;; amdgpu-corpus repo=pytorch/pytorch kind=compiled arch=gfx1250 opt=O3
	.amdgcn_target "amdgcn-amd-amdhsa--gfx1250"
	.amdhsa_code_object_version 6
	.section	.text._ZN7rocprim17ROCPRIM_400000_NS6detail31init_lookback_scan_state_kernelINS1_19lookback_scan_stateIjLb0ELb1EEENS1_16block_id_wrapperIjLb0EEEEEvT_jT0_jPNS7_10value_typeE,"axG",@progbits,_ZN7rocprim17ROCPRIM_400000_NS6detail31init_lookback_scan_state_kernelINS1_19lookback_scan_stateIjLb0ELb1EEENS1_16block_id_wrapperIjLb0EEEEEvT_jT0_jPNS7_10value_typeE,comdat
	.protected	_ZN7rocprim17ROCPRIM_400000_NS6detail31init_lookback_scan_state_kernelINS1_19lookback_scan_stateIjLb0ELb1EEENS1_16block_id_wrapperIjLb0EEEEEvT_jT0_jPNS7_10value_typeE ; -- Begin function _ZN7rocprim17ROCPRIM_400000_NS6detail31init_lookback_scan_state_kernelINS1_19lookback_scan_stateIjLb0ELb1EEENS1_16block_id_wrapperIjLb0EEEEEvT_jT0_jPNS7_10value_typeE
	.globl	_ZN7rocprim17ROCPRIM_400000_NS6detail31init_lookback_scan_state_kernelINS1_19lookback_scan_stateIjLb0ELb1EEENS1_16block_id_wrapperIjLb0EEEEEvT_jT0_jPNS7_10value_typeE
	.p2align	8
	.type	_ZN7rocprim17ROCPRIM_400000_NS6detail31init_lookback_scan_state_kernelINS1_19lookback_scan_stateIjLb0ELb1EEENS1_16block_id_wrapperIjLb0EEEEEvT_jT0_jPNS7_10value_typeE,@function
_ZN7rocprim17ROCPRIM_400000_NS6detail31init_lookback_scan_state_kernelINS1_19lookback_scan_stateIjLb0ELb1EEENS1_16block_id_wrapperIjLb0EEEEEvT_jT0_jPNS7_10value_typeE: ; @_ZN7rocprim17ROCPRIM_400000_NS6detail31init_lookback_scan_state_kernelINS1_19lookback_scan_stateIjLb0ELb1EEENS1_16block_id_wrapperIjLb0EEEEEvT_jT0_jPNS7_10value_typeE
; %bb.0:
	s_clause 0x2
	s_load_b32 s7, s[0:1], 0x2c
	s_load_b96 s[4:6], s[0:1], 0x0
	s_load_b64 s[2:3], s[0:1], 0x18
	s_bfe_u32 s8, ttmp6, 0x4000c
	s_and_b32 s9, ttmp6, 15
	s_add_co_i32 s8, s8, 1
	s_getreg_b32 s10, hwreg(HW_REG_IB_STS2, 6, 4)
	s_mul_i32 s8, ttmp9, s8
	s_delay_alu instid0(SALU_CYCLE_1)
	s_add_co_i32 s9, s9, s8
	s_wait_kmcnt 0x0
	s_and_b32 s7, s7, 0xffff
	s_cmp_eq_u32 s10, 0
	s_cselect_b32 s8, ttmp9, s9
	s_cmp_eq_u64 s[2:3], 0
	v_mad_u32 v4, s8, s7, v0
	s_cbranch_scc1 .LBB0_7
; %bb.1:
	s_load_b32 s0, s[0:1], 0x10
	s_mov_b32 s7, exec_lo
	s_wait_kmcnt 0x0
	s_cmp_lt_u32 s0, s6
	s_cselect_b32 s1, s0, 0
	s_delay_alu instid0(VALU_DEP_1) | instid1(SALU_CYCLE_1)
	v_cmpx_eq_u32_e64 s1, v4
	s_cbranch_execz .LBB0_6
; %bb.2:
	s_add_co_i32 s0, s0, 32
	s_delay_alu instid0(SALU_CYCLE_1) | instskip(SKIP_3) | instid1(VALU_DEP_1)
	v_dual_mov_b32 v2, 0 :: v_dual_mov_b32 v0, s0
	global_load_b64 v[0:1], v0, s[4:5] scale_offset scope:SCOPE_DEV
	s_wait_loadcnt 0x0
	v_and_b32_e32 v3, 0xff, v1
	v_cmp_ne_u64_e32 vcc_lo, 0, v[2:3]
	s_cbranch_vccnz .LBB0_5
; %bb.3:
	s_mov_b32 s1, 0
	s_delay_alu instid0(SALU_CYCLE_1) | instskip(NEXT) | instid1(SALU_CYCLE_1)
	s_lshl_b64 s[0:1], s[0:1], 3
	s_add_nc_u64 s[0:1], s[4:5], s[0:1]
.LBB0_4:                                ; =>This Inner Loop Header: Depth=1
	global_load_b64 v[0:1], v2, s[0:1] scope:SCOPE_DEV
	s_wait_loadcnt 0x0
	v_and_b32_e32 v3, 0xff, v1
	s_delay_alu instid0(VALU_DEP_1)
	v_cmp_eq_u64_e32 vcc_lo, 0, v[2:3]
	s_cbranch_vccnz .LBB0_4
.LBB0_5:
	v_mov_b32_e32 v1, 0
	global_store_b32 v1, v0, s[2:3]
.LBB0_6:
	s_wait_xcnt 0x0
	s_or_b32 exec_lo, exec_lo, s7
.LBB0_7:
	s_delay_alu instid0(SALU_CYCLE_1) | instskip(NEXT) | instid1(VALU_DEP_1)
	s_mov_b32 s0, exec_lo
	v_cmpx_gt_u32_e64 s6, v4
	s_cbranch_execz .LBB0_9
; %bb.8:
	v_mov_b64_e32 v[0:1], 0
	v_add_nc_u32_e32 v2, 32, v4
	global_store_b64 v2, v[0:1], s[4:5] scale_offset
.LBB0_9:
	s_wait_xcnt 0x0
	s_or_b32 exec_lo, exec_lo, s0
	s_delay_alu instid0(SALU_CYCLE_1)
	s_mov_b32 s0, exec_lo
	v_cmpx_gt_u32_e32 32, v4
	s_cbranch_execz .LBB0_11
; %bb.10:
	v_mov_b64_e32 v[0:1], 0xff00000000
	global_store_b64 v4, v[0:1], s[4:5] scale_offset
.LBB0_11:
	s_endpgm
	.section	.rodata,"a",@progbits
	.p2align	6, 0x0
	.amdhsa_kernel _ZN7rocprim17ROCPRIM_400000_NS6detail31init_lookback_scan_state_kernelINS1_19lookback_scan_stateIjLb0ELb1EEENS1_16block_id_wrapperIjLb0EEEEEvT_jT0_jPNS7_10value_typeE
		.amdhsa_group_segment_fixed_size 0
		.amdhsa_private_segment_fixed_size 0
		.amdhsa_kernarg_size 288
		.amdhsa_user_sgpr_count 2
		.amdhsa_user_sgpr_dispatch_ptr 0
		.amdhsa_user_sgpr_queue_ptr 0
		.amdhsa_user_sgpr_kernarg_segment_ptr 1
		.amdhsa_user_sgpr_dispatch_id 0
		.amdhsa_user_sgpr_kernarg_preload_length 0
		.amdhsa_user_sgpr_kernarg_preload_offset 0
		.amdhsa_user_sgpr_private_segment_size 0
		.amdhsa_wavefront_size32 1
		.amdhsa_uses_dynamic_stack 0
		.amdhsa_enable_private_segment 0
		.amdhsa_system_sgpr_workgroup_id_x 1
		.amdhsa_system_sgpr_workgroup_id_y 0
		.amdhsa_system_sgpr_workgroup_id_z 0
		.amdhsa_system_sgpr_workgroup_info 0
		.amdhsa_system_vgpr_workitem_id 0
		.amdhsa_next_free_vgpr 5
		.amdhsa_next_free_sgpr 11
		.amdhsa_named_barrier_count 0
		.amdhsa_reserve_vcc 1
		.amdhsa_float_round_mode_32 0
		.amdhsa_float_round_mode_16_64 0
		.amdhsa_float_denorm_mode_32 3
		.amdhsa_float_denorm_mode_16_64 3
		.amdhsa_fp16_overflow 0
		.amdhsa_memory_ordered 1
		.amdhsa_forward_progress 1
		.amdhsa_inst_pref_size 3
		.amdhsa_round_robin_scheduling 0
		.amdhsa_exception_fp_ieee_invalid_op 0
		.amdhsa_exception_fp_denorm_src 0
		.amdhsa_exception_fp_ieee_div_zero 0
		.amdhsa_exception_fp_ieee_overflow 0
		.amdhsa_exception_fp_ieee_underflow 0
		.amdhsa_exception_fp_ieee_inexact 0
		.amdhsa_exception_int_div_zero 0
	.end_amdhsa_kernel
	.section	.text._ZN7rocprim17ROCPRIM_400000_NS6detail31init_lookback_scan_state_kernelINS1_19lookback_scan_stateIjLb0ELb1EEENS1_16block_id_wrapperIjLb0EEEEEvT_jT0_jPNS7_10value_typeE,"axG",@progbits,_ZN7rocprim17ROCPRIM_400000_NS6detail31init_lookback_scan_state_kernelINS1_19lookback_scan_stateIjLb0ELb1EEENS1_16block_id_wrapperIjLb0EEEEEvT_jT0_jPNS7_10value_typeE,comdat
.Lfunc_end0:
	.size	_ZN7rocprim17ROCPRIM_400000_NS6detail31init_lookback_scan_state_kernelINS1_19lookback_scan_stateIjLb0ELb1EEENS1_16block_id_wrapperIjLb0EEEEEvT_jT0_jPNS7_10value_typeE, .Lfunc_end0-_ZN7rocprim17ROCPRIM_400000_NS6detail31init_lookback_scan_state_kernelINS1_19lookback_scan_stateIjLb0ELb1EEENS1_16block_id_wrapperIjLb0EEEEEvT_jT0_jPNS7_10value_typeE
                                        ; -- End function
	.set _ZN7rocprim17ROCPRIM_400000_NS6detail31init_lookback_scan_state_kernelINS1_19lookback_scan_stateIjLb0ELb1EEENS1_16block_id_wrapperIjLb0EEEEEvT_jT0_jPNS7_10value_typeE.num_vgpr, 5
	.set _ZN7rocprim17ROCPRIM_400000_NS6detail31init_lookback_scan_state_kernelINS1_19lookback_scan_stateIjLb0ELb1EEENS1_16block_id_wrapperIjLb0EEEEEvT_jT0_jPNS7_10value_typeE.num_agpr, 0
	.set _ZN7rocprim17ROCPRIM_400000_NS6detail31init_lookback_scan_state_kernelINS1_19lookback_scan_stateIjLb0ELb1EEENS1_16block_id_wrapperIjLb0EEEEEvT_jT0_jPNS7_10value_typeE.numbered_sgpr, 11
	.set _ZN7rocprim17ROCPRIM_400000_NS6detail31init_lookback_scan_state_kernelINS1_19lookback_scan_stateIjLb0ELb1EEENS1_16block_id_wrapperIjLb0EEEEEvT_jT0_jPNS7_10value_typeE.num_named_barrier, 0
	.set _ZN7rocprim17ROCPRIM_400000_NS6detail31init_lookback_scan_state_kernelINS1_19lookback_scan_stateIjLb0ELb1EEENS1_16block_id_wrapperIjLb0EEEEEvT_jT0_jPNS7_10value_typeE.private_seg_size, 0
	.set _ZN7rocprim17ROCPRIM_400000_NS6detail31init_lookback_scan_state_kernelINS1_19lookback_scan_stateIjLb0ELb1EEENS1_16block_id_wrapperIjLb0EEEEEvT_jT0_jPNS7_10value_typeE.uses_vcc, 1
	.set _ZN7rocprim17ROCPRIM_400000_NS6detail31init_lookback_scan_state_kernelINS1_19lookback_scan_stateIjLb0ELb1EEENS1_16block_id_wrapperIjLb0EEEEEvT_jT0_jPNS7_10value_typeE.uses_flat_scratch, 0
	.set _ZN7rocprim17ROCPRIM_400000_NS6detail31init_lookback_scan_state_kernelINS1_19lookback_scan_stateIjLb0ELb1EEENS1_16block_id_wrapperIjLb0EEEEEvT_jT0_jPNS7_10value_typeE.has_dyn_sized_stack, 0
	.set _ZN7rocprim17ROCPRIM_400000_NS6detail31init_lookback_scan_state_kernelINS1_19lookback_scan_stateIjLb0ELb1EEENS1_16block_id_wrapperIjLb0EEEEEvT_jT0_jPNS7_10value_typeE.has_recursion, 0
	.set _ZN7rocprim17ROCPRIM_400000_NS6detail31init_lookback_scan_state_kernelINS1_19lookback_scan_stateIjLb0ELb1EEENS1_16block_id_wrapperIjLb0EEEEEvT_jT0_jPNS7_10value_typeE.has_indirect_call, 0
	.section	.AMDGPU.csdata,"",@progbits
; Kernel info:
; codeLenInByte = 356
; TotalNumSgprs: 13
; NumVgprs: 5
; ScratchSize: 0
; MemoryBound: 0
; FloatMode: 240
; IeeeMode: 1
; LDSByteSize: 0 bytes/workgroup (compile time only)
; SGPRBlocks: 0
; VGPRBlocks: 0
; NumSGPRsForWavesPerEU: 13
; NumVGPRsForWavesPerEU: 5
; NamedBarCnt: 0
; Occupancy: 16
; WaveLimiterHint : 0
; COMPUTE_PGM_RSRC2:SCRATCH_EN: 0
; COMPUTE_PGM_RSRC2:USER_SGPR: 2
; COMPUTE_PGM_RSRC2:TRAP_HANDLER: 0
; COMPUTE_PGM_RSRC2:TGID_X_EN: 1
; COMPUTE_PGM_RSRC2:TGID_Y_EN: 0
; COMPUTE_PGM_RSRC2:TGID_Z_EN: 0
; COMPUTE_PGM_RSRC2:TIDIG_COMP_CNT: 0
	.section	.text._ZN7rocprim17ROCPRIM_400000_NS6detail17trampoline_kernelINS0_14default_configENS1_25partition_config_selectorILNS1_17partition_subalgoE9EiibEEZZNS1_14partition_implILS5_9ELb0ES3_jPKiN6thrust23THRUST_200600_302600_NS17counting_iteratorIiNSB_11use_defaultESD_SD_EEPNS0_10empty_typeENS0_5tupleIJPiSF_EEENSH_IJSI_SG_EEENS0_18inequality_wrapperIN6hipcub16HIPCUB_304000_NS8EqualityEEEPlJSF_EEE10hipError_tPvRmT3_T4_T5_T6_T7_T9_mT8_P12ihipStream_tbDpT10_ENKUlT_T0_E_clISt17integral_constantIbLb0EES1A_EEDaS15_S16_EUlS15_E_NS1_11comp_targetILNS1_3genE0ELNS1_11target_archE4294967295ELNS1_3gpuE0ELNS1_3repE0EEENS1_30default_config_static_selectorELNS0_4arch9wavefront6targetE0EEEvT1_,"axG",@progbits,_ZN7rocprim17ROCPRIM_400000_NS6detail17trampoline_kernelINS0_14default_configENS1_25partition_config_selectorILNS1_17partition_subalgoE9EiibEEZZNS1_14partition_implILS5_9ELb0ES3_jPKiN6thrust23THRUST_200600_302600_NS17counting_iteratorIiNSB_11use_defaultESD_SD_EEPNS0_10empty_typeENS0_5tupleIJPiSF_EEENSH_IJSI_SG_EEENS0_18inequality_wrapperIN6hipcub16HIPCUB_304000_NS8EqualityEEEPlJSF_EEE10hipError_tPvRmT3_T4_T5_T6_T7_T9_mT8_P12ihipStream_tbDpT10_ENKUlT_T0_E_clISt17integral_constantIbLb0EES1A_EEDaS15_S16_EUlS15_E_NS1_11comp_targetILNS1_3genE0ELNS1_11target_archE4294967295ELNS1_3gpuE0ELNS1_3repE0EEENS1_30default_config_static_selectorELNS0_4arch9wavefront6targetE0EEEvT1_,comdat
	.protected	_ZN7rocprim17ROCPRIM_400000_NS6detail17trampoline_kernelINS0_14default_configENS1_25partition_config_selectorILNS1_17partition_subalgoE9EiibEEZZNS1_14partition_implILS5_9ELb0ES3_jPKiN6thrust23THRUST_200600_302600_NS17counting_iteratorIiNSB_11use_defaultESD_SD_EEPNS0_10empty_typeENS0_5tupleIJPiSF_EEENSH_IJSI_SG_EEENS0_18inequality_wrapperIN6hipcub16HIPCUB_304000_NS8EqualityEEEPlJSF_EEE10hipError_tPvRmT3_T4_T5_T6_T7_T9_mT8_P12ihipStream_tbDpT10_ENKUlT_T0_E_clISt17integral_constantIbLb0EES1A_EEDaS15_S16_EUlS15_E_NS1_11comp_targetILNS1_3genE0ELNS1_11target_archE4294967295ELNS1_3gpuE0ELNS1_3repE0EEENS1_30default_config_static_selectorELNS0_4arch9wavefront6targetE0EEEvT1_ ; -- Begin function _ZN7rocprim17ROCPRIM_400000_NS6detail17trampoline_kernelINS0_14default_configENS1_25partition_config_selectorILNS1_17partition_subalgoE9EiibEEZZNS1_14partition_implILS5_9ELb0ES3_jPKiN6thrust23THRUST_200600_302600_NS17counting_iteratorIiNSB_11use_defaultESD_SD_EEPNS0_10empty_typeENS0_5tupleIJPiSF_EEENSH_IJSI_SG_EEENS0_18inequality_wrapperIN6hipcub16HIPCUB_304000_NS8EqualityEEEPlJSF_EEE10hipError_tPvRmT3_T4_T5_T6_T7_T9_mT8_P12ihipStream_tbDpT10_ENKUlT_T0_E_clISt17integral_constantIbLb0EES1A_EEDaS15_S16_EUlS15_E_NS1_11comp_targetILNS1_3genE0ELNS1_11target_archE4294967295ELNS1_3gpuE0ELNS1_3repE0EEENS1_30default_config_static_selectorELNS0_4arch9wavefront6targetE0EEEvT1_
	.globl	_ZN7rocprim17ROCPRIM_400000_NS6detail17trampoline_kernelINS0_14default_configENS1_25partition_config_selectorILNS1_17partition_subalgoE9EiibEEZZNS1_14partition_implILS5_9ELb0ES3_jPKiN6thrust23THRUST_200600_302600_NS17counting_iteratorIiNSB_11use_defaultESD_SD_EEPNS0_10empty_typeENS0_5tupleIJPiSF_EEENSH_IJSI_SG_EEENS0_18inequality_wrapperIN6hipcub16HIPCUB_304000_NS8EqualityEEEPlJSF_EEE10hipError_tPvRmT3_T4_T5_T6_T7_T9_mT8_P12ihipStream_tbDpT10_ENKUlT_T0_E_clISt17integral_constantIbLb0EES1A_EEDaS15_S16_EUlS15_E_NS1_11comp_targetILNS1_3genE0ELNS1_11target_archE4294967295ELNS1_3gpuE0ELNS1_3repE0EEENS1_30default_config_static_selectorELNS0_4arch9wavefront6targetE0EEEvT1_
	.p2align	8
	.type	_ZN7rocprim17ROCPRIM_400000_NS6detail17trampoline_kernelINS0_14default_configENS1_25partition_config_selectorILNS1_17partition_subalgoE9EiibEEZZNS1_14partition_implILS5_9ELb0ES3_jPKiN6thrust23THRUST_200600_302600_NS17counting_iteratorIiNSB_11use_defaultESD_SD_EEPNS0_10empty_typeENS0_5tupleIJPiSF_EEENSH_IJSI_SG_EEENS0_18inequality_wrapperIN6hipcub16HIPCUB_304000_NS8EqualityEEEPlJSF_EEE10hipError_tPvRmT3_T4_T5_T6_T7_T9_mT8_P12ihipStream_tbDpT10_ENKUlT_T0_E_clISt17integral_constantIbLb0EES1A_EEDaS15_S16_EUlS15_E_NS1_11comp_targetILNS1_3genE0ELNS1_11target_archE4294967295ELNS1_3gpuE0ELNS1_3repE0EEENS1_30default_config_static_selectorELNS0_4arch9wavefront6targetE0EEEvT1_,@function
_ZN7rocprim17ROCPRIM_400000_NS6detail17trampoline_kernelINS0_14default_configENS1_25partition_config_selectorILNS1_17partition_subalgoE9EiibEEZZNS1_14partition_implILS5_9ELb0ES3_jPKiN6thrust23THRUST_200600_302600_NS17counting_iteratorIiNSB_11use_defaultESD_SD_EEPNS0_10empty_typeENS0_5tupleIJPiSF_EEENSH_IJSI_SG_EEENS0_18inequality_wrapperIN6hipcub16HIPCUB_304000_NS8EqualityEEEPlJSF_EEE10hipError_tPvRmT3_T4_T5_T6_T7_T9_mT8_P12ihipStream_tbDpT10_ENKUlT_T0_E_clISt17integral_constantIbLb0EES1A_EEDaS15_S16_EUlS15_E_NS1_11comp_targetILNS1_3genE0ELNS1_11target_archE4294967295ELNS1_3gpuE0ELNS1_3repE0EEENS1_30default_config_static_selectorELNS0_4arch9wavefront6targetE0EEEvT1_: ; @_ZN7rocprim17ROCPRIM_400000_NS6detail17trampoline_kernelINS0_14default_configENS1_25partition_config_selectorILNS1_17partition_subalgoE9EiibEEZZNS1_14partition_implILS5_9ELb0ES3_jPKiN6thrust23THRUST_200600_302600_NS17counting_iteratorIiNSB_11use_defaultESD_SD_EEPNS0_10empty_typeENS0_5tupleIJPiSF_EEENSH_IJSI_SG_EEENS0_18inequality_wrapperIN6hipcub16HIPCUB_304000_NS8EqualityEEEPlJSF_EEE10hipError_tPvRmT3_T4_T5_T6_T7_T9_mT8_P12ihipStream_tbDpT10_ENKUlT_T0_E_clISt17integral_constantIbLb0EES1A_EEDaS15_S16_EUlS15_E_NS1_11comp_targetILNS1_3genE0ELNS1_11target_archE4294967295ELNS1_3gpuE0ELNS1_3repE0EEENS1_30default_config_static_selectorELNS0_4arch9wavefront6targetE0EEEvT1_
; %bb.0:
	s_clause 0x3
	s_load_b128 s[4:7], s[0:1], 0x8
	s_load_b128 s[24:27], s[0:1], 0x40
	s_load_b32 s12, s[0:1], 0x68
	s_load_b64 s[2:3], s[0:1], 0x50
	s_bfe_u32 s10, ttmp6, 0x4000c
	s_and_b32 s8, ttmp6, 15
	s_add_co_i32 s10, s10, 1
	s_mov_b32 s9, 0
	s_mul_i32 s10, ttmp9, s10
	s_getreg_b32 s13, hwreg(HW_REG_IB_STS2, 6, 4)
	s_add_co_i32 s14, s8, s10
	v_mov_b32_e32 v54, v0
	s_wait_kmcnt 0x0
	s_lshl_b64 s[10:11], s[6:7], 2
	s_load_b64 s[22:23], s[26:27], 0x0
	s_mul_i32 s8, s12, 0xd00
	s_cmp_eq_u32 s13, 0
	s_add_nc_u64 s[10:11], s[4:5], s[10:11]
	s_add_nc_u64 s[4:5], s[6:7], s[8:9]
	s_cselect_b32 s28, ttmp9, s14
	s_add_co_i32 s8, s8, s6
	v_cmp_le_u64_e64 s3, s[2:3], s[4:5]
	s_add_co_i32 s12, s12, -1
	s_sub_co_i32 s29, s2, s8
	s_cmp_eq_u32 s28, s12
	s_mul_i32 s4, s28, 0xd00
	s_wait_xcnt 0x0
	s_cselect_b32 s26, -1, 0
	s_mov_b32 s5, s9
	s_and_b32 s30, s26, s3
	s_lshl_b64 s[2:3], s[4:5], 2
	s_xor_b32 s27, s30, -1
	s_mov_b32 s8, -1
	s_and_b32 vcc_lo, exec_lo, s27
	s_add_nc_u64 s[2:3], s[10:11], s[2:3]
	s_cbranch_vccz .LBB1_2
; %bb.1:
	s_clause 0xc
	global_load_b32 v1, v0, s[2:3] scale_offset
	global_load_b32 v2, v0, s[2:3] offset:1024 scale_offset
	global_load_b32 v3, v0, s[2:3] offset:2048 scale_offset
	;; [unrolled: 1-line block ×12, first 2 shown]
	v_lshlrev_b32_e32 v14, 2, v0
	s_mov_b32 s8, 0
	s_wait_loadcnt 0xb
	ds_store_2addr_stride64_b32 v14, v1, v2 offset1:4
	s_wait_loadcnt 0x9
	ds_store_2addr_stride64_b32 v14, v3, v4 offset0:8 offset1:12
	s_wait_loadcnt 0x7
	ds_store_2addr_stride64_b32 v14, v5, v6 offset0:16 offset1:20
	;; [unrolled: 2-line block ×5, first 2 shown]
	s_wait_loadcnt 0x0
	ds_store_b32 v14, v13 offset:12288
	s_wait_dscnt 0x0
	s_barrier_signal -1
	s_barrier_wait -1
.LBB1_2:
	s_load_b32 s5, s[0:1], 0x18
	s_and_not1_b32 vcc_lo, exec_lo, s8
	s_addk_co_i32 s29, 0xd00
	s_cbranch_vccnz .LBB1_30
; %bb.3:
	v_mov_b32_e32 v2, 0
	s_mov_b32 s8, exec_lo
	s_delay_alu instid0(VALU_DEP_1)
	v_dual_mov_b32 v3, v2 :: v_dual_mov_b32 v4, v2
	v_dual_mov_b32 v5, v2 :: v_dual_mov_b32 v6, v2
	v_dual_mov_b32 v7, v2 :: v_dual_mov_b32 v8, v2
	v_dual_mov_b32 v9, v2 :: v_dual_mov_b32 v10, v2
	v_dual_mov_b32 v11, v2 :: v_dual_mov_b32 v12, v2
	v_dual_mov_b32 v13, v2 :: v_dual_mov_b32 v14, v2
	v_cmpx_gt_u32_e64 s29, v0
	s_cbranch_execz .LBB1_5
; %bb.4:
	global_load_b32 v4, v0, s[2:3] scale_offset
	v_dual_mov_b32 v5, v2 :: v_dual_mov_b32 v6, v2
	v_dual_mov_b32 v7, v2 :: v_dual_mov_b32 v8, v2
	;; [unrolled: 1-line block ×6, first 2 shown]
	s_wait_loadcnt 0x0
	v_mov_b64_e32 v[2:3], v[4:5]
	v_mov_b64_e32 v[4:5], v[6:7]
	;; [unrolled: 1-line block ×8, first 2 shown]
.LBB1_5:
	s_or_b32 exec_lo, exec_lo, s8
	v_or_b32_e32 v1, 0x100, v0
	s_mov_b32 s8, exec_lo
	s_delay_alu instid0(VALU_DEP_1)
	v_cmpx_gt_u32_e64 s29, v1
	s_cbranch_execz .LBB1_7
; %bb.6:
	global_load_b32 v3, v0, s[2:3] offset:1024 scale_offset
.LBB1_7:
	s_wait_xcnt 0x0
	s_or_b32 exec_lo, exec_lo, s8
	v_or_b32_e32 v1, 0x200, v0
	s_mov_b32 s8, exec_lo
	s_delay_alu instid0(VALU_DEP_1)
	v_cmpx_gt_u32_e64 s29, v1
	s_cbranch_execz .LBB1_9
; %bb.8:
	global_load_b32 v4, v0, s[2:3] offset:2048 scale_offset
.LBB1_9:
	s_wait_xcnt 0x0
	;; [unrolled: 10-line block ×12, first 2 shown]
	s_or_b32 exec_lo, exec_lo, s8
	v_lshlrev_b32_e32 v1, 2, v0
	s_wait_loadcnt 0x0
	ds_store_2addr_stride64_b32 v1, v2, v3 offset1:4
	ds_store_2addr_stride64_b32 v1, v4, v5 offset0:8 offset1:12
	ds_store_2addr_stride64_b32 v1, v6, v7 offset0:16 offset1:20
	;; [unrolled: 1-line block ×5, first 2 shown]
	ds_store_b32 v1, v14 offset:12288
	s_wait_dscnt 0x0
	s_barrier_signal -1
	s_barrier_wait -1
.LBB1_30:
	v_mul_u32_u24_e32 v1, 13, v0
	s_add_co_i32 s4, s4, s6
	s_wait_kmcnt 0x0
	s_add_co_i32 s4, s4, s5
	s_and_b32 vcc_lo, exec_lo, s27
	v_dual_lshlrev_b32 v4, 2, v1 :: v_dual_add_nc_u32 v5, s4, v0
	s_mov_b32 s4, -1
	ds_load_2addr_b32 v[40:41], v4 offset0:2 offset1:3
	ds_load_2addr_b32 v[44:45], v4 offset1:1
	ds_load_2addr_b32 v[38:39], v4 offset0:3 offset1:4
	ds_load_2addr_b32 v[2:3], v4 offset0:1 offset1:2
	;; [unrolled: 1-line block ×6, first 2 shown]
	v_add_nc_u32_e32 v6, 0x100, v5
	v_add_nc_u32_e32 v7, 0x200, v5
	;; [unrolled: 1-line block ×12, first 2 shown]
	s_wait_dscnt 0x0
	s_barrier_signal -1
	s_barrier_wait -1
	s_cbranch_vccz .LBB1_32
; %bb.31:
	v_lshlrev_b32_e32 v18, 2, v0
	s_mov_b32 s4, 0
	ds_store_2addr_stride64_b32 v18, v5, v6 offset1:4
	ds_store_2addr_stride64_b32 v18, v7, v8 offset0:8 offset1:12
	ds_store_2addr_stride64_b32 v18, v9, v10 offset0:16 offset1:20
	;; [unrolled: 1-line block ×5, first 2 shown]
	ds_store_b32 v18, v17 offset:12288
	s_wait_dscnt 0x0
	s_barrier_signal -1
	s_barrier_wait -1
.LBB1_32:
	s_and_not1_b32 vcc_lo, exec_lo, s4
	s_cbranch_vccnz .LBB1_34
; %bb.33:
	v_lshlrev_b32_e32 v18, 2, v0
	ds_store_2addr_stride64_b32 v18, v5, v6 offset1:4
	ds_store_2addr_stride64_b32 v18, v7, v8 offset0:8 offset1:12
	ds_store_2addr_stride64_b32 v18, v9, v10 offset0:16 offset1:20
	;; [unrolled: 1-line block ×5, first 2 shown]
	ds_store_b32 v18, v17 offset:12288
	s_wait_dscnt 0x0
	s_barrier_signal -1
	s_barrier_wait -1
.LBB1_34:
	ds_load_b32 v55, v4 offset:48
	ds_load_2addr_b32 v[18:19], v4 offset0:10 offset1:11
	ds_load_2addr_b32 v[20:21], v4 offset0:8 offset1:9
	ds_load_2addr_b32 v[28:29], v4 offset1:1
	ds_load_2addr_b32 v[26:27], v4 offset0:2 offset1:3
	ds_load_2addr_b32 v[24:25], v4 offset0:4 offset1:5
	;; [unrolled: 1-line block ×3, first 2 shown]
	s_cmp_lg_u32 s28, 0
	s_mov_b32 s20, 0
	s_cselect_b32 s31, -1, 0
	s_cmp_lg_u64 s[6:7], 0
	s_wait_dscnt 0x0
	s_cselect_b32 s4, -1, 0
	s_barrier_signal -1
	s_or_b32 s4, s31, s4
	s_barrier_wait -1
	s_and_b32 vcc_lo, exec_lo, s4
	s_cbranch_vccz .LBB1_39
; %bb.35:
	s_add_nc_u64 s[2:3], s[2:3], -4
	v_lshlrev_b32_e32 v7, 2, v0
	s_load_b32 s3, s[2:3], 0x0
	s_and_b32 vcc_lo, exec_lo, s27
	ds_store_b32 v7, v31
	s_cbranch_vccz .LBB1_41
; %bb.36:
	s_wait_kmcnt 0x0
	v_mov_b32_e32 v4, s3
	s_mov_b32 s4, 0
	s_mov_b32 s2, exec_lo
	s_wait_dscnt 0x0
	s_barrier_signal -1
	s_barrier_wait -1
	v_cmpx_ne_u32_e32 0, v0
; %bb.37:
	v_add_nc_u32_e32 v4, -4, v7
	ds_load_b32 v4, v4
; %bb.38:
	s_or_b32 exec_lo, exec_lo, s2
	v_cmp_ne_u32_e32 vcc_lo, v41, v40
	s_wait_dscnt 0x0
	v_cmp_ne_u32_e64 s2, v4, v44
	v_cndmask_b32_e64 v5, 0, 1, vcc_lo
	v_cmp_ne_u32_e32 vcc_lo, v45, v44
	s_delay_alu instid0(VALU_DEP_2) | instskip(SKIP_2) | instid1(VALU_DEP_2)
	v_lshlrev_b16 v5, 8, v5
	v_cndmask_b32_e64 v6, 0, 1, vcc_lo
	v_cmp_ne_u32_e32 vcc_lo, v36, v39
	v_lshlrev_b16 v6, 8, v6
	v_cndmask_b32_e64 v8, 0, 1, vcc_lo
	v_cmp_ne_u32_e32 vcc_lo, v34, v37
	s_delay_alu instid0(VALU_DEP_3) | instskip(NEXT) | instid1(VALU_DEP_3)
	v_lshrrev_b32_e32 v6, 8, v6
	v_lshlrev_b16 v8, 8, v8
	v_cndmask_b32_e64 v9, 0, 1, vcc_lo
	v_cmp_ne_u32_e32 vcc_lo, v32, v35
	v_lshrrev_b32_e32 v5, 8, v5
	v_lshlrev_b16 v6, 8, v6
	v_lshrrev_b32_e32 v8, 8, v8
	v_lshlrev_b16 v9, 8, v9
	v_cndmask_b32_e64 v10, 0, 1, vcc_lo
	v_cmp_ne_u32_e32 vcc_lo, v45, v40
	v_lshlrev_b16 v5, 8, v5
	v_lshlrev_b16 v8, 8, v8
	s_delay_alu instid0(VALU_DEP_4) | instskip(SKIP_2) | instid1(VALU_DEP_3)
	v_lshlrev_b16 v10, 8, v10
	v_cndmask_b32_e64 v11, 0, 1, vcc_lo
	v_cmp_ne_u32_e32 vcc_lo, v30, v33
	v_dual_lshrrev_b32 v9, 8, v9 :: v_dual_lshrrev_b32 v10, 8, v10
	s_delay_alu instid0(VALU_DEP_3) | instskip(SKIP_2) | instid1(VALU_DEP_4)
	v_or_b32_e32 v5, v11, v5
	v_cndmask_b32_e64 v12, 0, 1, vcc_lo
	v_cmp_ne_u32_e32 vcc_lo, v41, v39
	v_lshlrev_b16 v9, 8, v9
	v_lshlrev_b16 v10, 8, v10
	s_delay_alu instid0(VALU_DEP_4) | instskip(SKIP_2) | instid1(VALU_DEP_3)
	v_lshlrev_b16 v11, 8, v12
	v_cndmask_b32_e64 v12, 0, 1, vcc_lo
	v_cmp_ne_u32_e32 vcc_lo, v36, v37
	v_dual_lshlrev_b32 v5, 16, v5 :: v_dual_lshrrev_b32 v11, 8, v11
	v_cndmask_b32_e64 v13, 0, 1, vcc_lo
	v_cmp_ne_u32_e32 vcc_lo, v34, v35
	s_delay_alu instid0(VALU_DEP_3) | instskip(SKIP_2) | instid1(VALU_DEP_2)
	v_lshlrev_b16 v11, 8, v11
	v_cndmask_b32_e64 v14, 0, 1, vcc_lo
	v_cmp_ne_u32_e32 vcc_lo, v32, v33
	v_or_b32_e32 v10, v14, v10
	v_cndmask_b32_e64 v15, 0, 1, vcc_lo
	v_cmp_ne_u32_e32 vcc_lo, v30, v31
	s_delay_alu instid0(VALU_DEP_3) | instskip(NEXT) | instid1(VALU_DEP_3)
	v_and_b32_e32 v10, 0xffff, v10
	v_or_b32_e32 v11, v15, v11
	s_delay_alu instid0(VALU_DEP_1) | instskip(NEXT) | instid1(VALU_DEP_1)
	v_dual_lshlrev_b32 v11, 16, v11 :: v_dual_bitop2_b32 v9, v13, v9 bitop3:0x54
	v_dual_lshlrev_b32 v9, 16, v9 :: v_dual_bitop2_b32 v8, v12, v8 bitop3:0x54
	v_and_b32_e32 v12, 0xffff, v6
	v_cndmask_b32_e64 v6, 0, 1, vcc_lo
	s_delay_alu instid0(VALU_DEP_3) | instskip(NEXT) | instid1(VALU_DEP_3)
	v_and_b32_e32 v8, 0xffff, v8
	v_or_b32_e32 v4, v12, v5
	s_delay_alu instid0(VALU_DEP_2)
	v_or_b32_e32 v5, v8, v9
	v_or_b32_e32 v8, v10, v11
	s_and_b32 vcc_lo, exec_lo, s4
	s_cbranch_vccnz .LBB1_42
	s_branch .LBB1_45
.LBB1_39:
                                        ; implicit-def: $sgpr2
                                        ; implicit-def: $vgpr6
                                        ; implicit-def: $vgpr8
                                        ; implicit-def: $vgpr5
	s_branch .LBB1_46
.LBB1_40:
                                        ; implicit-def: $vgpr42
                                        ; implicit-def: $vgpr62
                                        ; implicit-def: $vgpr60
                                        ; implicit-def: $vgpr50
                                        ; implicit-def: $vgpr61
                                        ; implicit-def: $vgpr58
                                        ; implicit-def: $vgpr59
                                        ; implicit-def: $vgpr48
                                        ; implicit-def: $vgpr47
                                        ; implicit-def: $vgpr57
                                        ; implicit-def: $vgpr46
                                        ; implicit-def: $vgpr56
	s_branch .LBB1_54
.LBB1_41:
                                        ; implicit-def: $sgpr2
                                        ; implicit-def: $vgpr6
                                        ; implicit-def: $vgpr8
                                        ; implicit-def: $vgpr5
	s_cbranch_execz .LBB1_45
.LBB1_42:
	s_wait_kmcnt 0x0
	v_mov_b32_e32 v4, s3
	s_mov_b32 s2, exec_lo
	s_wait_dscnt 0x0
	s_barrier_signal -1
	s_barrier_wait -1
	v_cmpx_ne_u32_e32 0, v0
; %bb.43:
	v_add_nc_u32_e32 v4, -4, v7
	ds_load_b32 v4, v4
; %bb.44:
	s_or_b32 exec_lo, exec_lo, s2
	v_dual_add_nc_u32 v5, 12, v1 :: v_dual_add_nc_u32 v6, 11, v1
	v_add_nc_u32_e32 v7, 9, v1
	v_cmp_ne_u32_e64 s17, v41, v40
	v_cmp_ne_u32_e64 s11, v34, v37
	s_delay_alu instid0(VALU_DEP_4) | instskip(SKIP_4) | instid1(VALU_DEP_4)
	v_cmp_gt_u32_e64 s2, s29, v5
	v_add_nc_u32_e32 v5, 10, v1
	v_cmp_gt_u32_e64 s3, s29, v6
	v_cmp_gt_u32_e64 s5, s29, v7
	v_dual_add_nc_u32 v6, 7, v1 :: v_dual_add_nc_u32 v7, 8, v1
	v_cmp_gt_u32_e64 s6, s29, v5
	v_add_nc_u32_e32 v5, 5, v1
	v_cmp_ne_u32_e64 s20, v45, v44
	s_delay_alu instid0(VALU_DEP_4)
	v_cmp_gt_u32_e64 s9, s29, v6
	v_cmp_gt_u32_e64 s10, s29, v7
	v_dual_add_nc_u32 v7, 3, v1 :: v_dual_add_nc_u32 v6, 6, v1
	v_cmp_gt_u32_e64 s13, s29, v5
	v_add_nc_u32_e32 v5, 4, v1
	v_cmp_ne_u32_e64 s15, v36, v39
	s_delay_alu instid0(VALU_DEP_4)
	v_cmp_gt_u32_e64 s16, s29, v7
	v_cmp_gt_u32_e64 s14, s29, v6
	v_add_nc_u32_e32 v6, 2, v1
	v_cmp_gt_u32_e64 s19, s29, v5
	v_add_nc_u32_e32 v5, 1, v1
	s_and_b32 s16, s16, s17
	s_and_b32 s9, s9, s11
	v_cndmask_b32_e64 v7, 0, 1, s16
	v_cmp_gt_u32_e64 s21, s29, v6
	v_cmp_gt_u32_e64 s17, s29, v5
	v_cndmask_b32_e64 v6, 0, 1, s9
	v_cmp_ne_u32_e64 s4, v30, v33
	v_lshlrev_b16 v5, 8, v7
	v_cmp_ne_u32_e64 s7, v32, v35
	s_and_b32 s9, s17, s20
	v_lshlrev_b16 v6, 8, v6
	v_cndmask_b32_e64 v7, 0, 1, s9
	s_and_b32 s9, s13, s15
	v_lshrrev_b32_e32 v5, 8, v5
	v_cndmask_b32_e64 v8, 0, 1, s9
	v_cmp_ne_u32_e64 s9, v45, v40
	s_and_b32 s5, s5, s7
	s_and_b32 s3, s3, s4
	v_cmp_ne_u32_e32 vcc_lo, v30, v31
	v_cndmask_b32_e64 v10, 0, 1, s5
	s_and_b32 s9, s21, s9
	v_cndmask_b32_e64 v11, 0, 1, s3
	v_cmp_ne_u32_e64 s16, v41, v39
	v_lshlrev_b16 v8, 8, v8
	v_lshrrev_b32_e32 v9, 8, v6
	v_lshlrev_b16 v5, 8, v5
	v_cndmask_b32_e64 v6, 0, 1, s9
	v_cmp_ne_u32_e64 s18, v36, v37
	v_lshlrev_b16 v10, 8, v10
	s_and_b32 s2, s2, vcc_lo
	v_lshlrev_b16 v11, 8, v11
	v_cmp_ne_u32_e64 s12, v34, v35
	v_dual_lshrrev_b32 v8, 8, v8 :: v_dual_bitop2_b32 v5, v6, v5 bitop3:0x54
	v_cndmask_b32_e64 v6, 0, 1, s2
	s_and_b32 s2, s19, s16
	v_cmp_ne_u32_e64 s8, v32, v33
	v_cndmask_b32_e64 v12, 0, 1, s2
	s_and_b32 s2, s14, s18
	v_dual_lshrrev_b32 v10, 8, v10 :: v_dual_lshrrev_b32 v11, 8, v11
	v_cndmask_b32_e64 v13, 0, 1, s2
	s_and_b32 s2, s10, s12
	v_lshlrev_b16 v7, 8, v7
	v_cndmask_b32_e64 v14, 0, 1, s2
	s_and_b32 s2, s6, s8
	v_lshlrev_b16 v11, 8, v11
	v_cndmask_b32_e64 v15, 0, 1, s2
	v_dual_lshlrev_b32 v5, 16, v5 :: v_dual_lshrrev_b32 v7, 8, v7
	v_lshlrev_b16 v8, 8, v8
	v_lshlrev_b16 v9, 8, v9
	;; [unrolled: 1-line block ×3, first 2 shown]
	v_or_b32_e32 v11, v15, v11
	v_lshlrev_b16 v7, 8, v7
	v_cmp_gt_u32_e32 vcc_lo, s29, v1
	v_or_b32_e32 v9, v13, v9
	s_delay_alu instid0(VALU_DEP_4) | instskip(SKIP_2) | instid1(VALU_DEP_4)
	v_dual_lshlrev_b32 v11, 16, v11 :: v_dual_bitop2_b32 v10, v14, v10 bitop3:0x54
	v_or_b32_e32 v8, v12, v8
	v_and_b32_e32 v7, 0xffff, v7
	v_lshlrev_b32_e32 v9, 16, v9
	s_delay_alu instid0(VALU_DEP_4)
	v_and_b32_e32 v10, 0xffff, v10
	s_wait_dscnt 0x0
	v_cmp_ne_u32_e64 s2, v4, v44
	v_and_b32_e32 v8, 0xffff, v8
	v_or_b32_e32 v4, v7, v5
	s_and_b32 s2, vcc_lo, s2
	s_delay_alu instid0(VALU_DEP_2)
	v_or_b32_e32 v5, v8, v9
	v_or_b32_e32 v8, v10, v11
.LBB1_45:
	s_wait_kmcnt 0x0
	s_mov_b32 s20, -1
	s_cbranch_execnz .LBB1_40
.LBB1_46:
	v_lshlrev_b32_e32 v7, 2, v0
	v_cmp_ne_u32_e64 s2, v30, v31
	v_cmp_ne_u32_e64 s3, v32, v33
	;; [unrolled: 1-line block ×5, first 2 shown]
	s_and_b32 vcc_lo, exec_lo, s27
	ds_store_b32 v7, v31
	s_cbranch_vccz .LBB1_50
; %bb.47:
	v_cmp_ne_u32_e32 vcc_lo, v45, v40
	v_cndmask_b32_e64 v43, 0, 1, s6
	v_cndmask_b32_e64 v58, 0, 1, s5
	v_cndmask_b32_e64 v48, 0, 1, s4
	v_cndmask_b32_e64 v57, 0, 1, s3
	v_cndmask_b32_e64 v60, 0, 1, vcc_lo
	v_cmp_ne_u32_e32 vcc_lo, v45, v44
	v_cndmask_b32_e64 v56, 0, 1, s2
	v_lshlrev_b16 v11, 8, v43
	v_lshlrev_b16 v13, 8, v58
	;; [unrolled: 1-line block ×3, first 2 shown]
	v_cndmask_b32_e64 v10, 0, 1, vcc_lo
	v_cmp_ne_u32_e32 vcc_lo, v41, v40
	v_lshlrev_b16 v15, 8, v48
	v_lshlrev_b16 v17, 8, v57
	;; [unrolled: 1-line block ×3, first 2 shown]
	v_mov_b32_e32 v42, 1
	v_cndmask_b32_e64 v12, 0, 1, vcc_lo
	v_cmp_ne_u32_e32 vcc_lo, v36, v39
	s_mov_b32 s3, 0
	s_mov_b32 s4, exec_lo
	s_wait_dscnt 0x0
	s_barrier_signal -1
	v_cndmask_b32_e64 v14, 0, 1, vcc_lo
	v_cmp_ne_u32_e32 vcc_lo, v34, v37
	s_barrier_wait -1
                                        ; implicit-def: $sgpr2
                                        ; implicit-def: $vgpr6
                                        ; implicit-def: $vgpr8
                                        ; implicit-def: $vgpr5
	v_cndmask_b32_e64 v16, 0, 1, vcc_lo
	v_cmp_ne_u32_e32 vcc_lo, v32, v35
	v_cndmask_b32_e64 v46, 0, 1, vcc_lo
	v_cmp_ne_u32_e32 vcc_lo, v30, v33
	v_cndmask_b32_e64 v51, 0, 1, vcc_lo
	v_cmpx_ne_u32_e32 0, v0
	s_xor_b32 s4, exec_lo, s4
	s_cbranch_execz .LBB1_49
; %bb.48:
	v_lshlrev_b16 v4, 8, v46
	v_lshlrev_b16 v6, 8, v12
	v_lshlrev_b16 v8, 8, v16
	v_lshlrev_b16 v5, 8, v10
	v_lshlrev_b16 v47, 8, v14
	v_dual_lshrrev_b32 v4, 8, v4 :: v_dual_add_nc_u32 v52, -4, v7
	v_lshlrev_b16 v50, 8, v51
	s_delay_alu instid0(VALU_DEP_3) | instskip(NEXT) | instid1(VALU_DEP_3)
	v_dual_lshrrev_b32 v8, 8, v8 :: v_dual_lshrrev_b32 v47, 8, v47
	v_lshlrev_b16 v4, 8, v4
	v_lshrrev_b32_e32 v6, 8, v6
	s_delay_alu instid0(VALU_DEP_4)
	v_dual_lshrrev_b32 v50, 8, v50 :: v_dual_lshrrev_b32 v5, 8, v5
	ds_load_b32 v52, v52
	v_or_b32_e32 v4, v48, v4
	v_lshlrev_b16 v8, 8, v8
	v_lshlrev_b16 v6, 8, v6
	;; [unrolled: 1-line block ×5, first 2 shown]
	v_and_b32_e32 v4, 0xffff, v4
	v_or_b32_e32 v6, v60, v6
	v_or_b32_e32 v8, v58, v8
	s_or_b32 s20, s20, exec_lo
	s_delay_alu instid0(VALU_DEP_2) | instskip(NEXT) | instid1(VALU_DEP_2)
	v_dual_lshlrev_b32 v6, 16, v6 :: v_dual_bitop2_b32 v5, 1, v5 bitop3:0x54
	v_dual_lshlrev_b32 v53, 16, v8 :: v_dual_bitop2_b32 v50, v57, v50 bitop3:0x54
	v_or_b32_e32 v47, v43, v47
	s_delay_alu instid0(VALU_DEP_3) | instskip(NEXT) | instid1(VALU_DEP_3)
	v_and_b32_e32 v59, 0xffff, v5
	v_lshlrev_b32_e32 v50, 16, v50
	s_wait_dscnt 0x0
	v_cmp_ne_u32_e64 s2, v52, v44
	v_and_b32_e32 v47, 0xffff, v47
	s_delay_alu instid0(VALU_DEP_3) | instskip(SKIP_1) | instid1(VALU_DEP_3)
	v_or_b32_e32 v8, v4, v50
	v_or_b32_e32 v4, v59, v6
	v_dual_mov_b32 v6, v56 :: v_dual_bitop2_b32 v5, v47, v53 bitop3:0x54
.LBB1_49:
	s_or_b32 exec_lo, exec_lo, s4
	v_or_b32_e32 v62, v10, v9
	v_or_b32_e32 v50, v12, v11
	;; [unrolled: 1-line block ×6, first 2 shown]
	s_and_b32 vcc_lo, exec_lo, s3
	s_cbranch_vccnz .LBB1_51
	s_branch .LBB1_54
.LBB1_50:
                                        ; implicit-def: $sgpr2
                                        ; implicit-def: $vgpr6
                                        ; implicit-def: $vgpr8
                                        ; implicit-def: $vgpr5
                                        ; implicit-def: $vgpr42
                                        ; implicit-def: $vgpr62
                                        ; implicit-def: $vgpr60
                                        ; implicit-def: $vgpr50
                                        ; implicit-def: $vgpr61
                                        ; implicit-def: $vgpr58
                                        ; implicit-def: $vgpr59
                                        ; implicit-def: $vgpr48
                                        ; implicit-def: $vgpr47
                                        ; implicit-def: $vgpr57
                                        ; implicit-def: $vgpr46
                                        ; implicit-def: $vgpr56
	s_cbranch_execz .LBB1_54
.LBB1_51:
	v_dual_add_nc_u32 v4, 10, v1 :: v_dual_add_nc_u32 v5, 9, v1
	v_dual_add_nc_u32 v6, 12, v1 :: v_dual_add_nc_u32 v8, 11, v1
	v_cmp_ne_u32_e64 s15, v41, v39
	s_delay_alu instid0(VALU_DEP_3)
	v_cmp_gt_u32_e32 vcc_lo, s29, v4
	v_add_nc_u32_e32 v4, 6, v1
	v_cmp_gt_u32_e64 s2, s29, v5
	v_add_nc_u32_e32 v5, 5, v1
	v_cmp_gt_u32_e64 s3, s29, v6
	v_cmp_gt_u32_e64 s4, s29, v8
	;; [unrolled: 1-line block ×3, first 2 shown]
	v_dual_add_nc_u32 v4, 4, v1 :: v_dual_add_nc_u32 v6, 8, v1
	v_add_nc_u32_e32 v8, 7, v1
	v_cmp_gt_u32_e64 s10, s29, v5
	v_add_nc_u32_e32 v5, 3, v1
	s_delay_alu instid0(VALU_DEP_4)
	v_cmp_gt_u32_e64 s16, s29, v4
	v_cmp_gt_u32_e64 s11, s29, v6
	;; [unrolled: 1-line block ×3, first 2 shown]
	v_dual_add_nc_u32 v6, 1, v1 :: v_dual_add_nc_u32 v8, 2, v1
	s_and_b32 s15, s16, s15
	v_cmp_ne_u32_e64 s17, v40, v38
	v_cndmask_b32_e64 v4, 0, 1, s15
	v_cmp_gt_u32_e64 s15, s29, v5
	v_cmp_ne_u32_e64 s16, v45, v3
	v_cmp_gt_u32_e64 s18, s29, v8
	v_cmp_ne_u32_e64 s7, v30, v31
	v_cmp_ne_u32_e64 s13, v36, v37
	s_and_b32 s15, s15, s17
	v_cmp_ne_u32_e64 s17, v37, v34
	v_cndmask_b32_e64 v51, 0, 1, s15
	s_and_b32 s15, s18, s16
	v_cmp_ne_u32_e64 s16, v34, v35
	s_and_b32 s3, s3, s7
	v_cmp_ne_u32_e64 s8, v33, v30
	v_cndmask_b32_e64 v10, 0, 1, s15
	v_cmp_gt_u32_e64 s15, s29, v6
	s_and_b32 s11, s11, s16
	v_cndmask_b32_e64 v6, 0, 1, s3
	v_cndmask_b32_e64 v47, 0, 1, s11
	s_and_b32 s3, s9, s13
	v_cmp_ne_u32_e64 s5, v32, v33
	v_cndmask_b32_e64 v48, 0, 1, s3
	s_and_b32 s3, s12, s17
	v_cmp_ne_u32_e64 s19, v44, v2
	v_lshlrev_b16 v2, 8, v4
	v_lshlrev_b16 v5, 8, v47
	v_cndmask_b32_e64 v52, 0, 1, s3
	s_and_b32 s3, s4, s8
	v_lshlrev_b16 v8, 8, v6
	v_cndmask_b32_e64 v53, 0, 1, s3
	s_and_b32 s3, vcc_lo, s5
	v_or_b32_e32 v59, v52, v5
	v_or_b32_e32 v50, v51, v2
	v_cndmask_b32_e64 v49, 0, 1, s3
	v_lshlrev_b16 v3, 8, v10
	v_lshlrev_b16 v12, 8, v48
	v_dual_lshlrev_b32 v13, 16, v59 :: v_dual_bitop2_b32 v46, v53, v8 bitop3:0x54
	v_lshlrev_b32_e32 v2, 16, v50
	v_lshlrev_b16 v14, 8, v49
	v_cmp_ne_u32_e64 s6, v35, v32
	v_cmp_ne_u32_e64 s14, v39, v36
	v_and_b32_e32 v11, 0xffff, v3
	v_and_b32_e32 v5, 0xffff, v12
	v_lshlrev_b32_e32 v16, 16, v46
	v_and_b32_e32 v8, 0xffff, v14
	s_and_b32 s15, s15, s19
	s_and_b32 s3, s10, s14
	;; [unrolled: 1-line block ×3, first 2 shown]
	v_cndmask_b32_e64 v9, 0, 1, s15
	v_dual_mov_b32 v42, 1 :: v_dual_bitop2_b32 v11, v11, v2 bitop3:0x54
	v_cndmask_b32_e64 v38, 0, 1, s3
	v_or_b32_e32 v15, v5, v13
	v_cndmask_b32_e64 v43, 0, 1, s2
	v_or_b32_e32 v17, v8, v16
	s_mov_b32 s3, exec_lo
	s_wait_dscnt 0x0
	s_barrier_signal -1
	s_barrier_wait -1
                                        ; implicit-def: $sgpr2
                                        ; implicit-def: $vgpr8
                                        ; implicit-def: $vgpr5
	v_cmpx_ne_u32_e32 0, v0
	s_cbranch_execz .LBB1_53
; %bb.52:
	v_lshlrev_b16 v5, 8, v43
	v_lshlrev_b16 v8, 8, v51
	;; [unrolled: 1-line block ×5, first 2 shown]
	v_dual_lshrrev_b32 v5, 8, v5 :: v_dual_add_nc_u32 v7, -4, v7
	s_delay_alu instid0(VALU_DEP_4) | instskip(NEXT) | instid1(VALU_DEP_3)
	v_dual_lshrrev_b32 v8, 8, v8 :: v_dual_lshrrev_b32 v51, 8, v51
	v_dual_lshrrev_b32 v56, 8, v56 :: v_dual_lshrrev_b32 v53, 8, v53
	ds_load_b32 v7, v7
	v_lshlrev_b16 v5, 8, v5
	v_lshlrev_b16 v52, 8, v52
	;; [unrolled: 1-line block ×5, first 2 shown]
	v_or_b32_e32 v5, v47, v5
	v_lshlrev_b16 v47, 8, v56
	v_or_b32_e32 v8, v10, v8
	v_or_b32_e32 v49, v49, v53
	;; [unrolled: 1-line block ×3, first 2 shown]
	v_cmp_gt_u32_e32 vcc_lo, s29, v1
	v_or_b32_e32 v4, v4, v47
	s_delay_alu instid0(VALU_DEP_4) | instskip(SKIP_2) | instid1(VALU_DEP_4)
	v_dual_lshlrev_b32 v48, 16, v49 :: v_dual_bitop2_b32 v47, v48, v52 bitop3:0x54
	v_lshlrev_b32_e32 v49, 16, v8
	v_and_b32_e32 v10, 0xffff, v10
	v_and_b32_e32 v4, 0xffff, v4
	s_delay_alu instid0(VALU_DEP_4)
	v_lshlrev_b32_e32 v47, 16, v47
	v_and_b32_e32 v5, 0xffff, v5
	s_wait_dscnt 0x0
	v_cmp_ne_u32_e64 s2, v7, v44
	s_or_b32 s20, s20, exec_lo
	v_or_b32_e32 v8, v5, v48
	v_or_b32_e32 v5, v4, v47
	;; [unrolled: 1-line block ×3, first 2 shown]
	s_and_b32 s2, vcc_lo, s2
.LBB1_53:
	s_or_b32 exec_lo, exec_lo, s3
	v_dual_lshrrev_b32 v56, 24, v16 :: v_dual_bitop2_b32 v62, v9, v3 bitop3:0x54
	v_dual_lshrrev_b32 v48, 24, v13 :: v_dual_bitop2_b32 v61, v38, v12 bitop3:0x54
	;; [unrolled: 1-line block ×3, first 2 shown]
	v_dual_lshrrev_b32 v43, 24, v2 :: v_dual_lshrrev_b32 v58, 8, v15
	v_lshrrev_b32_e32 v60, 8, v11
.LBB1_54:
	s_and_saveexec_b32 s3, s20
	s_cbranch_execz .LBB1_56
; %bb.55:
	v_lshrrev_b64 v[50:51], 24, v[4:5]
	v_dual_lshrrev_b32 v61, 8, v5 :: v_dual_lshrrev_b32 v58, 16, v5
	v_dual_lshrrev_b32 v46, 24, v8 :: v_dual_lshrrev_b32 v57, 16, v8
	;; [unrolled: 1-line block ×4, first 2 shown]
	v_cndmask_b32_e64 v42, 0, 1, s2
	v_dual_mov_b32 v43, v5 :: v_dual_mov_b32 v48, v8
	v_mov_b32_e32 v56, v6
.LBB1_56:
	s_or_b32 exec_lo, exec_lo, s3
	s_load_b64 s[10:11], s[0:1], 0x60
	s_and_not1_b32 vcc_lo, exec_lo, s30
	s_cbranch_vccnz .LBB1_60
; %bb.57:
	v_perm_b32 v2, v42, v62, 0xc0c0004
	v_perm_b32 v3, v60, v50, 0xc0c0004
	v_cmp_gt_u32_e32 vcc_lo, s29, v1
	v_perm_b32 v4, v48, v47, 0xc0c0004
	v_perm_b32 v6, v57, v46, 0xc0c0004
	;; [unrolled: 1-line block ×3, first 2 shown]
	v_lshl_or_b32 v2, v3, 16, v2
	v_dual_add_nc_u32 v10, 4, v1 :: v_dual_add_nc_u32 v11, 8, v1
	v_perm_b32 v7, v43, v61, 0xc0c0004
	s_delay_alu instid0(VALU_DEP_3) | instskip(SKIP_2) | instid1(VALU_DEP_3)
	v_dual_add_nc_u32 v5, 1, v1 :: v_dual_cndmask_b32 v3, 0, v2, vcc_lo
	v_dual_add_nc_u32 v9, 3, v1 :: v_dual_lshlrev_b32 v8, 16, v8
	v_lshl_or_b32 v4, v6, 16, v4
	v_cmp_gt_u32_e32 vcc_lo, s29, v5
	s_delay_alu instid0(VALU_DEP_4) | instskip(SKIP_3) | instid1(VALU_DEP_4)
	v_and_b32_e32 v3, 0xff, v3
	v_cmp_gt_u32_e64 s2, s29, v10
	v_or_b32_e32 v6, v7, v8
	v_cmp_gt_u32_e64 s3, s29, v9
	v_dual_add_nc_u32 v5, 2, v1 :: v_dual_cndmask_b32 v3, v3, v2, vcc_lo
	v_and_b32_e32 v56, 0xff, v56
	v_add_nc_u32_e32 v9, 5, v1
	s_delay_alu instid0(VALU_DEP_3) | instskip(NEXT) | instid1(VALU_DEP_4)
	v_cmp_gt_u32_e32 vcc_lo, s29, v5
	v_and_b32_e32 v3, 0xffff, v3
	v_bitop3_b32 v5, v7, 0xffffff00, v8 bitop3:0xc8
	v_add_nc_u32_e32 v8, 9, v1
	v_and_b32_e32 v49, 0xffff, v56
	s_delay_alu instid0(VALU_DEP_4) | instskip(SKIP_2) | instid1(VALU_DEP_3)
	v_cndmask_b32_e32 v3, v3, v2, vcc_lo
	v_cmp_gt_u32_e32 vcc_lo, s29, v11
	v_dual_cndmask_b32 v5, v5, v6, s2 :: v_dual_cndmask_b32 v7, 0, v4, vcc_lo
	v_and_b32_e32 v3, 0xffffff, v3
	s_delay_alu instid0(VALU_DEP_2) | instskip(NEXT) | instid1(VALU_DEP_3)
	v_and_b32_e32 v5, 0xffff00ff, v5
	v_and_b32_e32 v7, 0xff, v7
	s_delay_alu instid0(VALU_DEP_3) | instskip(SKIP_1) | instid1(VALU_DEP_2)
	v_cndmask_b32_e64 v3, v3, v2, s3
	v_cmp_gt_u32_e64 s3, s29, v8
	v_dual_add_nc_u32 v8, 10, v1 :: v_dual_cndmask_b32 v3, v3, v2, s2
	v_cmp_gt_u32_e64 s2, s29, v9
	s_delay_alu instid0(VALU_DEP_3) | instskip(NEXT) | instid1(VALU_DEP_2)
	v_dual_cndmask_b32 v7, v7, v4, s3 :: v_dual_add_nc_u32 v9, 6, v1
	v_cndmask_b32_e64 v3, v3, v2, s2
	v_cndmask_b32_e64 v5, v5, v6, s2
	s_delay_alu instid0(VALU_DEP_3) | instskip(SKIP_4) | instid1(VALU_DEP_4)
	v_and_b32_e32 v7, 0xffff, v7
	v_cmp_gt_u32_e64 s2, s29, v8
	v_add_nc_u32_e32 v8, 11, v1
	v_cmp_gt_u32_e64 s5, s29, v9
	v_and_b32_e32 v5, 0xff00ffff, v5
	v_cndmask_b32_e64 v7, v7, v4, s2
	s_delay_alu instid0(VALU_DEP_4) | instskip(SKIP_1) | instid1(VALU_DEP_3)
	v_cmp_gt_u32_e64 s4, s29, v8
	v_dual_add_nc_u32 v8, 7, v1 :: v_dual_add_nc_u32 v1, 12, v1
	v_and_b32_e32 v7, 0xffffff, v7
	s_delay_alu instid0(VALU_DEP_1) | instskip(SKIP_1) | instid1(VALU_DEP_3)
	v_dual_cndmask_b32 v5, v5, v6, s5 :: v_dual_cndmask_b32 v48, v7, v4, s4
	s_or_b32 s4, s4, s2
	v_cmp_gt_u32_e64 s2, s29, v8
	s_or_b32 s3, s4, s3
	v_and_b32_e32 v4, 0xffffff, v5
	s_or_b32 s3, s3, vcc_lo
	v_lshrrev_b32_e32 v57, 16, v48
	s_or_b32 vcc_lo, s3, s2
	v_lshrrev_b64 v[46:47], 24, v[48:49]
	v_cndmask_b32_e32 v43, v4, v6, vcc_lo
	s_or_b32 vcc_lo, vcc_lo, s5
	v_dual_cndmask_b32 v42, v3, v2 :: v_dual_lshrrev_b32 v47, 8, v48
	s_mov_b32 s2, exec_lo
	s_delay_alu instid0(VALU_DEP_2) | instskip(SKIP_1) | instid1(VALU_DEP_3)
	v_dual_lshrrev_b32 v59, 24, v43 :: v_dual_lshrrev_b32 v58, 16, v43
	v_lshrrev_b32_e32 v61, 8, v43
	v_lshrrev_b64 v[50:51], 24, v[42:43]
	v_dual_lshrrev_b32 v60, 16, v42 :: v_dual_lshrrev_b32 v62, 8, v42
	v_cmpx_le_u32_e64 s29, v1
; %bb.58:
	v_mov_b32_e32 v56, 0
; %bb.59:
	s_or_b32 exec_lo, exec_lo, s2
.LBB1_60:
	v_and_b32_e32 v1, 0xff, v42
	v_and_b32_e32 v49, 0xff, v62
	;; [unrolled: 1-line block ×7, first 2 shown]
	v_add3_u32 v2, v49, v1, v51
	v_and_b32_e32 v67, 0xff, v59
	v_and_b32_e32 v68, 0xff, v48
	v_mbcnt_lo_u32_b32 v72, -1, 0
	v_and_b32_e32 v69, 0xff, v47
	v_add3_u32 v2, v2, v63, v64
	v_and_b32_e32 v70, 0xff, v57
	v_and_b32_e32 v71, 0xff, v46
	;; [unrolled: 1-line block ×4, first 2 shown]
	v_add3_u32 v2, v2, v65, v66
	v_dual_lshrrev_b32 v73, 5, v0 :: v_dual_bitop2_b32 v5, 31, v0 bitop3:0x54
	v_and_b32_e32 v6, 16, v72
	v_cmp_eq_u32_e64 s7, 0, v3
	s_delay_alu instid0(VALU_DEP_4)
	v_add3_u32 v2, v2, v67, v68
	v_cmp_lt_u32_e64 s6, 1, v3
	v_cmp_lt_u32_e64 s5, 3, v3
	;; [unrolled: 1-line block ×3, first 2 shown]
	v_cmp_eq_u32_e64 s3, 0, v6
	v_add3_u32 v2, v2, v69, v70
	v_cmp_eq_u32_e64 s2, v0, v5
	s_and_b32 vcc_lo, exec_lo, s31
	s_mov_b32 s8, -1
	s_wait_dscnt 0x0
	v_add3_u32 v74, v2, v71, v4
	s_barrier_signal -1
	s_barrier_wait -1
	s_cbranch_vccz .LBB1_82
; %bb.61:
	s_delay_alu instid0(VALU_DEP_1) | instskip(NEXT) | instid1(VALU_DEP_1)
	v_mov_b32_dpp v2, v74 row_shr:1 row_mask:0xf bank_mask:0xf
	v_cndmask_b32_e64 v2, v2, 0, s7
	s_delay_alu instid0(VALU_DEP_1) | instskip(NEXT) | instid1(VALU_DEP_1)
	v_add_nc_u32_e32 v2, v2, v74
	v_mov_b32_dpp v3, v2 row_shr:2 row_mask:0xf bank_mask:0xf
	s_delay_alu instid0(VALU_DEP_1) | instskip(NEXT) | instid1(VALU_DEP_1)
	v_cndmask_b32_e64 v3, 0, v3, s6
	v_add_nc_u32_e32 v2, v2, v3
	s_delay_alu instid0(VALU_DEP_1) | instskip(NEXT) | instid1(VALU_DEP_1)
	v_mov_b32_dpp v3, v2 row_shr:4 row_mask:0xf bank_mask:0xf
	v_cndmask_b32_e64 v3, 0, v3, s5
	s_delay_alu instid0(VALU_DEP_1) | instskip(NEXT) | instid1(VALU_DEP_1)
	v_add_nc_u32_e32 v2, v2, v3
	v_mov_b32_dpp v3, v2 row_shr:8 row_mask:0xf bank_mask:0xf
	s_delay_alu instid0(VALU_DEP_1) | instskip(NEXT) | instid1(VALU_DEP_1)
	v_cndmask_b32_e64 v3, 0, v3, s4
	v_add_nc_u32_e32 v2, v2, v3
	ds_swizzle_b32 v3, v2 offset:swizzle(BROADCAST,32,15)
	s_wait_dscnt 0x0
	v_cndmask_b32_e64 v3, v3, 0, s3
	s_delay_alu instid0(VALU_DEP_1)
	v_add_nc_u32_e32 v2, v2, v3
	s_and_saveexec_b32 s8, s2
; %bb.62:
	v_lshlrev_b32_e32 v3, 2, v73
	ds_store_b32 v3, v2
; %bb.63:
	s_or_b32 exec_lo, exec_lo, s8
	s_delay_alu instid0(SALU_CYCLE_1)
	s_mov_b32 s8, exec_lo
	s_wait_dscnt 0x0
	s_barrier_signal -1
	s_barrier_wait -1
	v_cmpx_gt_u32_e32 8, v0
	s_cbranch_execz .LBB1_65
; %bb.64:
	v_and_b32_e32 v5, 7, v72
	s_delay_alu instid0(VALU_DEP_1) | instskip(SKIP_4) | instid1(VALU_DEP_1)
	v_cmp_ne_u32_e32 vcc_lo, 0, v5
	v_lshlrev_b32_e32 v3, 2, v0
	ds_load_b32 v4, v3
	s_wait_dscnt 0x0
	v_mov_b32_dpp v6, v4 row_shr:1 row_mask:0xf bank_mask:0xf
	v_cndmask_b32_e32 v6, 0, v6, vcc_lo
	v_cmp_lt_u32_e32 vcc_lo, 1, v5
	s_delay_alu instid0(VALU_DEP_2) | instskip(NEXT) | instid1(VALU_DEP_1)
	v_add_nc_u32_e32 v4, v6, v4
	v_mov_b32_dpp v6, v4 row_shr:2 row_mask:0xf bank_mask:0xf
	s_delay_alu instid0(VALU_DEP_1) | instskip(SKIP_1) | instid1(VALU_DEP_2)
	v_cndmask_b32_e32 v6, 0, v6, vcc_lo
	v_cmp_lt_u32_e32 vcc_lo, 3, v5
	v_add_nc_u32_e32 v4, v4, v6
	s_delay_alu instid0(VALU_DEP_1) | instskip(NEXT) | instid1(VALU_DEP_1)
	v_mov_b32_dpp v6, v4 row_shr:4 row_mask:0xf bank_mask:0xf
	v_cndmask_b32_e32 v5, 0, v6, vcc_lo
	s_delay_alu instid0(VALU_DEP_1)
	v_add_nc_u32_e32 v4, v4, v5
	ds_store_b32 v3, v4
.LBB1_65:
	s_or_b32 exec_lo, exec_lo, s8
	s_delay_alu instid0(SALU_CYCLE_1)
	s_mov_b32 s9, exec_lo
	v_cmp_gt_u32_e32 vcc_lo, 32, v0
	s_wait_dscnt 0x0
	s_barrier_signal -1
	s_barrier_wait -1
                                        ; implicit-def: $vgpr10
	v_cmpx_lt_u32_e32 31, v0
	s_cbranch_execz .LBB1_67
; %bb.66:
	v_lshl_add_u32 v3, v73, 2, -4
	ds_load_b32 v10, v3
	s_wait_dscnt 0x0
	v_add_nc_u32_e32 v2, v10, v2
.LBB1_67:
	s_or_b32 exec_lo, exec_lo, s9
	v_sub_co_u32 v3, s8, v72, 1
	s_delay_alu instid0(VALU_DEP_1) | instskip(NEXT) | instid1(VALU_DEP_1)
	v_cmp_gt_i32_e64 s9, 0, v3
	v_cndmask_b32_e64 v3, v3, v72, s9
	s_delay_alu instid0(VALU_DEP_1)
	v_lshlrev_b32_e32 v3, 2, v3
	ds_bpermute_b32 v11, v3, v2
	s_and_saveexec_b32 s9, vcc_lo
	s_cbranch_execz .LBB1_87
; %bb.68:
	v_mov_b32_e32 v9, 0
	ds_load_b32 v2, v9 offset:28
	s_and_saveexec_b32 s12, s8
	s_cbranch_execz .LBB1_70
; %bb.69:
	s_add_co_i32 s13, s28, 32
	s_delay_alu instid0(SALU_CYCLE_1)
	v_dual_mov_b32 v3, 1 :: v_dual_mov_b32 v4, s13
	s_wait_xcnt 0x0
	s_wait_dscnt 0x0
	s_wait_kmcnt 0x0
	global_store_b64 v4, v[2:3], s[10:11] scale_offset scope:SCOPE_DEV
.LBB1_70:
	s_wait_xcnt 0x0
	s_or_b32 exec_lo, exec_lo, s12
	v_xad_u32 v4, v72, -1, s28
	s_mov_b32 s13, 0
	s_mov_b32 s12, exec_lo
	s_delay_alu instid0(VALU_DEP_1)
	v_add_nc_u32_e32 v8, 32, v4
	s_wait_kmcnt 0x0
	global_load_b64 v[6:7], v8, s[10:11] scale_offset scope:SCOPE_DEV
	s_wait_loadcnt 0x0
	v_and_b32_e32 v3, 0xff, v7
	s_wait_xcnt 0x0
	s_delay_alu instid0(VALU_DEP_1)
	v_cmpx_eq_u16_e32 0, v3
	s_cbranch_execz .LBB1_74
; %bb.71:
	v_lshl_add_u64 v[8:9], v[8:9], 3, s[10:11]
.LBB1_72:                               ; =>This Inner Loop Header: Depth=1
	global_load_b64 v[6:7], v[8:9], off scope:SCOPE_DEV
	s_wait_loadcnt 0x0
	v_and_b32_e32 v3, 0xff, v7
	s_delay_alu instid0(VALU_DEP_1)
	v_cmp_ne_u16_e32 vcc_lo, 0, v3
	s_or_b32 s13, vcc_lo, s13
	s_wait_xcnt 0x0
	s_and_not1_b32 exec_lo, exec_lo, s13
	s_cbranch_execnz .LBB1_72
; %bb.73:
	s_or_b32 exec_lo, exec_lo, s13
.LBB1_74:
	s_delay_alu instid0(SALU_CYCLE_1)
	s_or_b32 exec_lo, exec_lo, s12
	v_cmp_ne_u32_e32 vcc_lo, 31, v72
	v_lshlrev_b32_e64 v13, v72, -1
	v_lshl_or_b32 v53, v72, 2, 64
	v_dual_add_nc_u32 v15, 2, v72 :: v_dual_add_nc_u32 v17, 4, v72
	v_add_co_ci_u32_e64 v3, null, 0, v72, vcc_lo
	v_dual_add_nc_u32 v52, 8, v72 :: v_dual_add_nc_u32 v75, 16, v72
	s_delay_alu instid0(VALU_DEP_2)
	v_lshlrev_b32_e32 v12, 2, v3
	v_and_b32_e32 v3, 0xff, v7
	ds_bpermute_b32 v5, v12, v6
	v_cmp_eq_u16_e32 vcc_lo, 2, v3
	v_and_or_b32 v3, vcc_lo, v13, 0x80000000
	v_cmp_gt_u32_e32 vcc_lo, 30, v72
	s_delay_alu instid0(VALU_DEP_2) | instskip(SKIP_1) | instid1(VALU_DEP_2)
	v_ctz_i32_b32_e32 v3, v3
	v_cndmask_b32_e64 v8, 0, 2, vcc_lo
	v_cmp_lt_u32_e32 vcc_lo, v72, v3
	s_delay_alu instid0(VALU_DEP_2) | instskip(SKIP_3) | instid1(VALU_DEP_2)
	v_add_lshl_u32 v14, v8, v72, 2
	s_wait_dscnt 0x0
	v_cndmask_b32_e32 v5, 0, v5, vcc_lo
	v_cmp_gt_u32_e32 vcc_lo, 28, v72
	v_add_nc_u32_e32 v5, v5, v6
	v_cndmask_b32_e64 v8, 0, 4, vcc_lo
	v_cmp_le_u32_e32 vcc_lo, v15, v3
	ds_bpermute_b32 v6, v14, v5
	v_add_lshl_u32 v16, v8, v72, 2
	s_wait_dscnt 0x0
	v_cndmask_b32_e32 v6, 0, v6, vcc_lo
	v_cmp_gt_u32_e32 vcc_lo, 24, v72
	v_cndmask_b32_e64 v8, 0, 8, vcc_lo
	v_cmp_le_u32_e32 vcc_lo, v17, v3
	s_delay_alu instid0(VALU_DEP_4) | instskip(NEXT) | instid1(VALU_DEP_3)
	v_add_nc_u32_e32 v5, v5, v6
	v_add_lshl_u32 v38, v8, v72, 2
	ds_bpermute_b32 v6, v16, v5
	s_wait_dscnt 0x0
	v_cndmask_b32_e32 v6, 0, v6, vcc_lo
	v_cmp_le_u32_e32 vcc_lo, v52, v3
	s_delay_alu instid0(VALU_DEP_2) | instskip(SKIP_4) | instid1(VALU_DEP_2)
	v_add_nc_u32_e32 v5, v5, v6
	ds_bpermute_b32 v6, v38, v5
	s_wait_dscnt 0x0
	v_cndmask_b32_e32 v6, 0, v6, vcc_lo
	v_cmp_le_u32_e32 vcc_lo, v75, v3
	v_add_nc_u32_e32 v5, v5, v6
	ds_bpermute_b32 v6, v53, v5
	s_wait_dscnt 0x0
	v_cndmask_b32_e32 v3, 0, v6, vcc_lo
	s_delay_alu instid0(VALU_DEP_1)
	v_dual_mov_b32 v5, 0 :: v_dual_add_nc_u32 v6, v5, v3
	s_branch .LBB1_77
.LBB1_75:                               ;   in Loop: Header=BB1_77 Depth=1
	s_or_b32 exec_lo, exec_lo, s12
	v_and_b32_e32 v8, 0xff, v7
	ds_bpermute_b32 v9, v12, v6
	v_subrev_nc_u32_e32 v4, 32, v4
	s_mov_b32 s12, 0
	v_cmp_eq_u16_e32 vcc_lo, 2, v8
	v_and_or_b32 v8, vcc_lo, v13, 0x80000000
	s_delay_alu instid0(VALU_DEP_1) | instskip(NEXT) | instid1(VALU_DEP_1)
	v_ctz_i32_b32_e32 v8, v8
	v_cmp_lt_u32_e32 vcc_lo, v72, v8
	s_wait_dscnt 0x0
	v_cndmask_b32_e32 v9, 0, v9, vcc_lo
	v_cmp_le_u32_e32 vcc_lo, v15, v8
	s_delay_alu instid0(VALU_DEP_2) | instskip(SKIP_4) | instid1(VALU_DEP_2)
	v_add_nc_u32_e32 v6, v9, v6
	ds_bpermute_b32 v9, v14, v6
	s_wait_dscnt 0x0
	v_cndmask_b32_e32 v9, 0, v9, vcc_lo
	v_cmp_le_u32_e32 vcc_lo, v17, v8
	v_add_nc_u32_e32 v6, v6, v9
	ds_bpermute_b32 v9, v16, v6
	s_wait_dscnt 0x0
	v_cndmask_b32_e32 v9, 0, v9, vcc_lo
	v_cmp_le_u32_e32 vcc_lo, v52, v8
	s_delay_alu instid0(VALU_DEP_2) | instskip(SKIP_4) | instid1(VALU_DEP_2)
	v_add_nc_u32_e32 v6, v6, v9
	ds_bpermute_b32 v9, v38, v6
	s_wait_dscnt 0x0
	v_cndmask_b32_e32 v9, 0, v9, vcc_lo
	v_cmp_le_u32_e32 vcc_lo, v75, v8
	v_add_nc_u32_e32 v6, v6, v9
	ds_bpermute_b32 v9, v53, v6
	s_wait_dscnt 0x0
	v_cndmask_b32_e32 v8, 0, v9, vcc_lo
	s_delay_alu instid0(VALU_DEP_1)
	v_add3_u32 v6, v8, v3, v6
.LBB1_76:                               ;   in Loop: Header=BB1_77 Depth=1
	s_and_b32 vcc_lo, exec_lo, s12
	s_cbranch_vccnz .LBB1_83
.LBB1_77:                               ; =>This Loop Header: Depth=1
                                        ;     Child Loop BB1_80 Depth 2
	v_and_b32_e32 v3, 0xff, v7
	s_mov_b32 s12, -1
                                        ; implicit-def: $vgpr7
	s_delay_alu instid0(VALU_DEP_1)
	v_cmp_ne_u16_e32 vcc_lo, 2, v3
	v_mov_b32_e32 v3, v6
                                        ; implicit-def: $vgpr6
	s_cmp_lg_u32 vcc_lo, exec_lo
	s_cbranch_scc1 .LBB1_76
; %bb.78:                               ;   in Loop: Header=BB1_77 Depth=1
	global_load_b64 v[6:7], v4, s[10:11] scale_offset scope:SCOPE_DEV
	s_mov_b32 s12, exec_lo
	s_wait_loadcnt 0x0
	v_and_b32_e32 v8, 0xff, v7
	s_wait_xcnt 0x0
	s_delay_alu instid0(VALU_DEP_1)
	v_cmpx_eq_u16_e32 0, v8
	s_cbranch_execz .LBB1_75
; %bb.79:                               ;   in Loop: Header=BB1_77 Depth=1
	v_lshl_add_u64 v[8:9], v[4:5], 3, s[10:11]
	s_mov_b32 s13, 0
.LBB1_80:                               ;   Parent Loop BB1_77 Depth=1
                                        ; =>  This Inner Loop Header: Depth=2
	global_load_b64 v[6:7], v[8:9], off scope:SCOPE_DEV
	s_wait_loadcnt 0x0
	v_and_b32_e32 v76, 0xff, v7
	s_delay_alu instid0(VALU_DEP_1)
	v_cmp_ne_u16_e32 vcc_lo, 0, v76
	s_or_b32 s13, vcc_lo, s13
	s_wait_xcnt 0x0
	s_and_not1_b32 exec_lo, exec_lo, s13
	s_cbranch_execnz .LBB1_80
; %bb.81:                               ;   in Loop: Header=BB1_77 Depth=1
	s_or_b32 exec_lo, exec_lo, s13
	s_branch .LBB1_75
.LBB1_82:
                                        ; implicit-def: $vgpr38
                                        ; implicit-def: $vgpr52
                                        ; implicit-def: $vgpr2_vgpr3_vgpr4_vgpr5_vgpr6_vgpr7_vgpr8_vgpr9_vgpr10_vgpr11_vgpr12_vgpr13_vgpr14_vgpr15_vgpr16_vgpr17
	s_and_b32 vcc_lo, exec_lo, s8
	s_cbranch_vccnz .LBB1_88
	s_branch .LBB1_97
.LBB1_83:
	s_and_saveexec_b32 s12, s8
	s_cbranch_execz .LBB1_85
; %bb.84:
	s_add_co_i32 s13, s28, 32
	v_dual_mov_b32 v5, 2 :: v_dual_add_nc_u32 v4, v3, v2
	v_dual_mov_b32 v6, s13 :: v_dual_mov_b32 v7, 0
	global_store_b64 v6, v[4:5], s[10:11] scale_offset scope:SCOPE_DEV
	ds_store_b64 v7, v[2:3] offset:13312
.LBB1_85:
	s_wait_xcnt 0x0
	s_or_b32 exec_lo, exec_lo, s12
	v_cmp_eq_u32_e32 vcc_lo, 0, v0
	s_and_b32 exec_lo, exec_lo, vcc_lo
; %bb.86:
	v_mov_b32_e32 v2, 0
	ds_store_b32 v2, v3 offset:28
.LBB1_87:
	s_or_b32 exec_lo, exec_lo, s9
	s_wait_dscnt 0x0
	v_dual_mov_b32 v12, 0 :: v_dual_cndmask_b32 v3, v11, v10, s8
	s_wait_storecnt 0x0
	s_barrier_signal -1
	s_barrier_wait -1
	ds_load_b32 v2, v12 offset:28
	v_cmp_ne_u32_e32 vcc_lo, 0, v0
	s_wait_dscnt 0x0
	s_barrier_signal -1
	s_barrier_wait -1
	v_cndmask_b32_e32 v3, 0, v3, vcc_lo
	ds_load_b64 v[52:53], v12 offset:13312
	v_add_nc_u32_e32 v2, v2, v3
	s_wait_dscnt 0x0
	s_delay_alu instid0(VALU_DEP_1) | instskip(NEXT) | instid1(VALU_DEP_1)
	v_dual_mov_b32 v38, v53 :: v_dual_add_nc_u32 v3, v2, v1
	v_add_nc_u32_e32 v4, v3, v49
	s_delay_alu instid0(VALU_DEP_1) | instskip(NEXT) | instid1(VALU_DEP_1)
	v_add_nc_u32_e32 v5, v4, v51
	v_add_nc_u32_e32 v6, v5, v63
	s_delay_alu instid0(VALU_DEP_1) | instskip(NEXT) | instid1(VALU_DEP_1)
	v_add_nc_u32_e32 v7, v6, v64
	;; [unrolled: 3-line block ×5, first 2 shown]
	v_add_nc_u32_e32 v14, v13, v71
	s_branch .LBB1_97
.LBB1_88:
	v_mov_b32_dpp v2, v74 row_shr:1 row_mask:0xf bank_mask:0xf
	s_delay_alu instid0(VALU_DEP_1) | instskip(NEXT) | instid1(VALU_DEP_1)
	v_cndmask_b32_e64 v2, v2, 0, s7
	v_add_nc_u32_e32 v2, v2, v74
	s_delay_alu instid0(VALU_DEP_1) | instskip(NEXT) | instid1(VALU_DEP_1)
	v_mov_b32_dpp v3, v2 row_shr:2 row_mask:0xf bank_mask:0xf
	v_cndmask_b32_e64 v3, 0, v3, s6
	s_delay_alu instid0(VALU_DEP_1) | instskip(NEXT) | instid1(VALU_DEP_1)
	v_add_nc_u32_e32 v2, v2, v3
	v_mov_b32_dpp v3, v2 row_shr:4 row_mask:0xf bank_mask:0xf
	s_delay_alu instid0(VALU_DEP_1) | instskip(NEXT) | instid1(VALU_DEP_1)
	v_cndmask_b32_e64 v3, 0, v3, s5
	v_add_nc_u32_e32 v2, v2, v3
	s_delay_alu instid0(VALU_DEP_1) | instskip(NEXT) | instid1(VALU_DEP_1)
	v_mov_b32_dpp v3, v2 row_shr:8 row_mask:0xf bank_mask:0xf
	v_cndmask_b32_e64 v3, 0, v3, s4
	s_delay_alu instid0(VALU_DEP_1) | instskip(SKIP_3) | instid1(VALU_DEP_1)
	v_add_nc_u32_e32 v2, v2, v3
	ds_swizzle_b32 v3, v2 offset:swizzle(BROADCAST,32,15)
	s_wait_dscnt 0x0
	v_cndmask_b32_e64 v3, v3, 0, s3
	v_add_nc_u32_e32 v2, v2, v3
	s_and_saveexec_b32 s3, s2
; %bb.89:
	v_lshlrev_b32_e32 v3, 2, v73
	ds_store_b32 v3, v2
; %bb.90:
	s_or_b32 exec_lo, exec_lo, s3
	s_delay_alu instid0(SALU_CYCLE_1)
	s_mov_b32 s2, exec_lo
	s_wait_dscnt 0x0
	s_barrier_signal -1
	s_barrier_wait -1
	v_cmpx_gt_u32_e32 8, v0
	s_cbranch_execz .LBB1_92
; %bb.91:
	v_and_b32_e32 v5, 7, v72
	s_delay_alu instid0(VALU_DEP_1) | instskip(SKIP_4) | instid1(VALU_DEP_1)
	v_cmp_ne_u32_e32 vcc_lo, 0, v5
	v_lshlrev_b32_e32 v3, 2, v0
	ds_load_b32 v4, v3
	s_wait_dscnt 0x0
	v_mov_b32_dpp v6, v4 row_shr:1 row_mask:0xf bank_mask:0xf
	v_cndmask_b32_e32 v6, 0, v6, vcc_lo
	v_cmp_lt_u32_e32 vcc_lo, 1, v5
	s_delay_alu instid0(VALU_DEP_2) | instskip(NEXT) | instid1(VALU_DEP_1)
	v_add_nc_u32_e32 v4, v6, v4
	v_mov_b32_dpp v6, v4 row_shr:2 row_mask:0xf bank_mask:0xf
	s_delay_alu instid0(VALU_DEP_1) | instskip(SKIP_1) | instid1(VALU_DEP_2)
	v_cndmask_b32_e32 v6, 0, v6, vcc_lo
	v_cmp_lt_u32_e32 vcc_lo, 3, v5
	v_add_nc_u32_e32 v4, v4, v6
	s_delay_alu instid0(VALU_DEP_1) | instskip(NEXT) | instid1(VALU_DEP_1)
	v_mov_b32_dpp v6, v4 row_shr:4 row_mask:0xf bank_mask:0xf
	v_cndmask_b32_e32 v5, 0, v6, vcc_lo
	s_delay_alu instid0(VALU_DEP_1)
	v_add_nc_u32_e32 v4, v4, v5
	ds_store_b32 v3, v4
.LBB1_92:
	s_or_b32 exec_lo, exec_lo, s2
	v_dual_mov_b32 v4, 0 :: v_dual_mov_b32 v3, 0
	s_mov_b32 s2, exec_lo
	s_wait_dscnt 0x0
	s_barrier_signal -1
	s_barrier_wait -1
	v_cmpx_lt_u32_e32 31, v0
; %bb.93:
	v_lshl_add_u32 v3, v73, 2, -4
	ds_load_b32 v3, v3
; %bb.94:
	s_or_b32 exec_lo, exec_lo, s2
	v_sub_co_u32 v5, vcc_lo, v72, 1
	ds_load_b32 v52, v4 offset:28
	s_wait_dscnt 0x1
	v_add_nc_u32_e32 v2, v3, v2
	v_cmp_gt_i32_e64 s2, 0, v5
	s_delay_alu instid0(VALU_DEP_1) | instskip(SKIP_1) | instid1(VALU_DEP_2)
	v_cndmask_b32_e64 v5, v5, v72, s2
	v_cmp_eq_u32_e64 s2, 0, v0
	v_lshlrev_b32_e32 v5, 2, v5
	ds_bpermute_b32 v2, v5, v2
	s_and_saveexec_b32 s3, s2
	s_cbranch_execz .LBB1_96
; %bb.95:
	v_dual_mov_b32 v4, 0 :: v_dual_mov_b32 v53, 2
	s_wait_xcnt 0x0
	s_wait_dscnt 0x1
	s_wait_kmcnt 0x0
	global_store_b64 v4, v[52:53], s[10:11] offset:256 scope:SCOPE_DEV
.LBB1_96:
	s_wait_xcnt 0x0
	s_or_b32 exec_lo, exec_lo, s3
	s_wait_dscnt 0x0
	v_cndmask_b32_e32 v2, v2, v3, vcc_lo
	s_wait_storecnt 0x0
	s_barrier_signal -1
	s_barrier_wait -1
	s_delay_alu instid0(VALU_DEP_1) | instskip(NEXT) | instid1(VALU_DEP_1)
	v_cndmask_b32_e64 v2, v2, 0, s2
	v_dual_mov_b32 v38, 0 :: v_dual_add_nc_u32 v3, v2, v1
	s_delay_alu instid0(VALU_DEP_1) | instskip(NEXT) | instid1(VALU_DEP_1)
	v_add_nc_u32_e32 v4, v3, v49
	v_add_nc_u32_e32 v5, v4, v51
	s_delay_alu instid0(VALU_DEP_1) | instskip(NEXT) | instid1(VALU_DEP_1)
	v_add_nc_u32_e32 v6, v5, v63
	v_add_nc_u32_e32 v7, v6, v64
	;; [unrolled: 3-line block ×5, first 2 shown]
	s_delay_alu instid0(VALU_DEP_1)
	v_add_nc_u32_e32 v14, v13, v71
.LBB1_97:
	s_load_b128 s[4:7], s[0:1], 0x28
	v_dual_add_nc_u32 v49, v38, v52 :: v_dual_bitop2_b32 v15, 1, v42 bitop3:0x40
	s_wait_xcnt 0x0
	v_cmp_gt_u32_e64 s0, 0x101, v52
	s_mov_b32 s3, -1
	v_cmp_lt_u32_e64 s2, v2, v49
	v_cmp_eq_u32_e64 s1, 1, v15
	s_and_b32 vcc_lo, exec_lo, s0
	s_cbranch_vccz .LBB1_125
; %bb.98:
	s_lshl_b64 s[8:9], s[22:23], 2
	s_wait_kmcnt 0x0
	s_or_b32 s10, s27, s2
	s_add_nc_u64 s[2:3], s[4:5], s[8:9]
	s_and_b32 s8, s10, s1
	s_delay_alu instid0(SALU_CYCLE_1)
	s_and_saveexec_b32 s1, s8
	s_cbranch_execz .LBB1_100
; %bb.99:
	global_store_b32 v2, v44, s[2:3] scale_offset
.LBB1_100:
	s_wait_xcnt 0x0
	s_or_b32 exec_lo, exec_lo, s1
	v_and_b32_e32 v1, 1, v62
	v_cmp_lt_u32_e32 vcc_lo, v3, v49
	s_delay_alu instid0(VALU_DEP_2) | instskip(SKIP_1) | instid1(SALU_CYCLE_1)
	v_cmp_eq_u32_e64 s1, 1, v1
	s_or_b32 s8, s27, vcc_lo
	s_and_b32 s8, s8, s1
	s_delay_alu instid0(SALU_CYCLE_1)
	s_and_saveexec_b32 s1, s8
	s_cbranch_execz .LBB1_102
; %bb.101:
	global_store_b32 v3, v45, s[2:3] scale_offset
.LBB1_102:
	s_wait_xcnt 0x0
	s_or_b32 exec_lo, exec_lo, s1
	v_and_b32_e32 v1, 1, v60
	v_cmp_lt_u32_e32 vcc_lo, v4, v49
	s_delay_alu instid0(VALU_DEP_2) | instskip(SKIP_1) | instid1(SALU_CYCLE_1)
	v_cmp_eq_u32_e64 s1, 1, v1
	s_or_b32 s8, s27, vcc_lo
	;; [unrolled: 14-line block ×12, first 2 shown]
	s_and_b32 s8, s8, s1
	s_delay_alu instid0(SALU_CYCLE_1)
	s_and_saveexec_b32 s1, s8
	s_cbranch_execz .LBB1_124
; %bb.123:
	global_store_b32 v14, v31, s[2:3] scale_offset
.LBB1_124:
	s_wait_xcnt 0x0
	s_or_b32 exec_lo, exec_lo, s1
	s_mov_b32 s3, 0
.LBB1_125:
	s_delay_alu instid0(SALU_CYCLE_1)
	s_and_b32 vcc_lo, exec_lo, s3
	s_cbranch_vccz .LBB1_167
; %bb.126:
	s_mov_b32 s1, exec_lo
	v_cmpx_eq_u32_e32 1, v15
; %bb.127:
	v_sub_nc_u32_e32 v1, v2, v38
	s_delay_alu instid0(VALU_DEP_1)
	v_lshlrev_b32_e32 v1, 2, v1
	ds_store_b32 v1, v44
; %bb.128:
	s_or_b32 exec_lo, exec_lo, s1
	v_and_b32_e32 v1, 1, v62
	s_mov_b32 s1, exec_lo
	s_delay_alu instid0(VALU_DEP_1)
	v_cmpx_eq_u32_e32 1, v1
; %bb.129:
	v_sub_nc_u32_e32 v1, v3, v38
	s_delay_alu instid0(VALU_DEP_1)
	v_lshlrev_b32_e32 v1, 2, v1
	ds_store_b32 v1, v45
; %bb.130:
	s_or_b32 exec_lo, exec_lo, s1
	v_and_b32_e32 v1, 1, v60
	s_mov_b32 s1, exec_lo
	s_delay_alu instid0(VALU_DEP_1)
	;; [unrolled: 11-line block ×12, first 2 shown]
	v_cmpx_eq_u32_e32 1, v1
; %bb.151:
	v_sub_nc_u32_e32 v1, v14, v38
	s_delay_alu instid0(VALU_DEP_1)
	v_lshlrev_b32_e32 v1, 2, v1
	ds_store_b32 v1, v31
; %bb.152:
	s_or_b32 exec_lo, exec_lo, s1
	v_or_b32_e32 v1, 0x100, v0
	v_dual_mov_b32 v39, 0 :: v_dual_mov_b32 v30, v54
	s_lshl_b64 s[2:3], s[22:23], 2
	s_wait_storecnt_dscnt 0x0
	s_delay_alu instid0(VALU_DEP_2) | instskip(NEXT) | instid1(VALU_DEP_2)
	v_max_u32_e32 v32, v52, v1
	v_lshlrev_b64_e32 v[16:17], 2, v[38:39]
	s_wait_kmcnt 0x0
	s_add_nc_u64 s[2:3], s[4:5], s[2:3]
	s_mov_b32 s4, -1
	s_barrier_signal -1
	v_xad_u32 v31, v0, -1, v32
	s_barrier_wait -1
	v_add_nc_u64_e32 v[16:17], s[2:3], v[16:17]
	s_mov_b32 s2, exec_lo
	s_delay_alu instid0(VALU_DEP_2)
	v_cmp_gt_u32_e64 s1, 0x1b00, v31
	v_cmpx_lt_u32_e32 0x1aff, v31
	s_cbranch_execz .LBB1_163
; %bb.153:
	v_sub_nc_u32_e32 v30, v0, v32
	s_delay_alu instid0(VALU_DEP_1) | instskip(NEXT) | instid1(VALU_DEP_1)
	v_or_b32_e32 v30, 0xff, v30
	v_cmp_ge_u32_e32 vcc_lo, v30, v0
	v_mov_b32_e32 v30, v54
	s_and_saveexec_b32 s3, vcc_lo
	s_cbranch_execz .LBB1_162
; %bb.154:
	v_dual_mov_b32 v39, 0 :: v_dual_lshrrev_b32 v34, 8, v31
	s_delay_alu instid0(VALU_DEP_1) | instskip(NEXT) | instid1(VALU_DEP_1)
	v_add_nc_u32_e32 v30, -1, v34
	v_lshrrev_b32_e32 v31, 1, v30
	v_cmp_lt_u32_e32 vcc_lo, 13, v30
	s_delay_alu instid0(VALU_DEP_2)
	v_add_nc_u32_e32 v35, 1, v31
	v_mov_b64_e32 v[30:31], v[0:1]
	s_and_saveexec_b32 s4, vcc_lo
	s_cbranch_execz .LBB1_158
; %bb.155:
	v_mov_b64_e32 v[30:31], v[0:1]
	v_dual_lshlrev_b32 v37, 2, v0 :: v_dual_bitop2_b32 v36, -8, v35 bitop3:0x40
	v_mov_b32_e32 v33, 0
	s_mov_b32 s5, 0
	s_mov_b32 s8, 0
.LBB1_156:                              ; =>This Inner Loop Header: Depth=1
	s_delay_alu instid0(VALU_DEP_1)
	v_dual_mov_b32 v32, v30 :: v_dual_mov_b32 v45, v33
	ds_load_2addr_stride64_b32 v[40:41], v37 offset1:4
	ds_load_2addr_stride64_b32 v[64:65], v37 offset0:8 offset1:12
	ds_load_2addr_stride64_b32 v[68:69], v37 offset0:16 offset1:20
	;; [unrolled: 1-line block ×7, first 2 shown]
	v_add_nc_u32_e32 v37, 0x4000, v37
	v_lshl_add_u64 v[90:91], v[32:33], 2, v[16:17]
	v_mov_b32_e32 v32, v31
	v_dual_mov_b32 v67, v33 :: v_dual_add_nc_u32 v44, 0x200, v31
	v_dual_mov_b32 v71, v33 :: v_dual_add_nc_u32 v66, 0x400, v31
	s_delay_alu instid0(VALU_DEP_3) | instskip(SKIP_1) | instid1(VALU_DEP_4)
	v_lshl_add_u64 v[92:93], v[32:33], 2, v[16:17]
	v_add_nc_u32_e32 v32, 0x200, v30
	v_lshl_add_u64 v[44:45], v[44:45], 2, v[16:17]
	v_dual_mov_b32 v75, v33 :: v_dual_add_nc_u32 v70, 0x600, v31
	v_lshl_add_u64 v[66:67], v[66:67], 2, v[16:17]
	s_delay_alu instid0(VALU_DEP_4)
	v_lshl_add_u64 v[94:95], v[32:33], 2, v[16:17]
	v_add_nc_u32_e32 v32, 0x400, v30
	s_wait_dscnt 0x7
	s_clause 0x1
	global_store_b32 v[90:91], v40, off
	global_store_b32 v[92:93], v41, off
	s_wait_dscnt 0x6
	s_clause 0x1
	global_store_b32 v[94:95], v64, off
	global_store_b32 v[44:45], v65, off
	v_dual_mov_b32 v79, v33 :: v_dual_add_nc_u32 v74, 0x800, v31
	v_lshl_add_u64 v[96:97], v[32:33], 2, v[16:17]
	v_add_nc_u32_e32 v32, 0x600, v30
	v_lshl_add_u64 v[70:71], v[70:71], 2, v[16:17]
	s_wait_dscnt 0x5
	s_clause 0x1
	global_store_b32 v[96:97], v68, off
	global_store_b32 v[66:67], v69, off
	s_wait_xcnt 0x4
	v_lshl_add_u64 v[40:41], v[32:33], 2, v[16:17]
	v_add_nc_u32_e32 v32, 0x800, v30
	v_add_nc_u32_e32 v36, -8, v36
	v_dual_mov_b32 v83, v33 :: v_dual_add_nc_u32 v78, 0xa00, v31
	s_wait_dscnt 0x4
	global_store_b32 v[40:41], v72, off
	s_wait_xcnt 0x3
	v_lshl_add_u64 v[44:45], v[32:33], 2, v[16:17]
	v_add_nc_u32_e32 v32, 0xa00, v30
	v_dual_mov_b32 v87, v33 :: v_dual_add_nc_u32 v82, 0xc00, v31
	v_lshl_add_u64 v[74:75], v[74:75], 2, v[16:17]
	global_store_b32 v[70:71], v73, off
	s_wait_dscnt 0x3
	global_store_b32 v[44:45], v76, off
	s_wait_xcnt 0x2
	v_lshl_add_u64 v[40:41], v[32:33], 2, v[16:17]
	v_add_nc_u32_e32 v32, 0xc00, v30
	s_add_co_i32 s8, s8, 16
	s_delay_alu instid0(SALU_CYCLE_1)
	v_dual_mov_b32 v39, s8 :: v_dual_add_nc_u32 v86, 0xe00, v31
	v_cmp_eq_u32_e32 vcc_lo, 0, v36
	s_wait_xcnt 0x0
	v_lshl_add_u64 v[44:45], v[32:33], 2, v[16:17]
	v_add_nc_u32_e32 v32, 0xe00, v30
	v_lshl_add_u64 v[78:79], v[78:79], 2, v[16:17]
	v_add_nc_u32_e32 v31, 0x1000, v31
	v_add_nc_u32_e32 v30, 0x1000, v30
	v_lshl_add_u64 v[82:83], v[82:83], 2, v[16:17]
	global_store_b32 v[74:75], v77, off
	s_wait_dscnt 0x2
	s_clause 0x1
	global_store_b32 v[40:41], v80, off
	global_store_b32 v[78:79], v81, off
	s_wait_xcnt 0x1
	v_lshl_add_u64 v[40:41], v[32:33], 2, v[16:17]
	v_lshl_add_u64 v[86:87], v[86:87], 2, v[16:17]
	s_or_b32 s5, vcc_lo, s5
	s_wait_dscnt 0x1
	s_clause 0x1
	global_store_b32 v[44:45], v84, off
	global_store_b32 v[82:83], v85, off
	s_wait_dscnt 0x0
	s_clause 0x1
	global_store_b32 v[40:41], v88, off
	global_store_b32 v[86:87], v89, off
	s_wait_xcnt 0x0
	s_and_not1_b32 exec_lo, exec_lo, s5
	s_cbranch_execnz .LBB1_156
; %bb.157:
	s_or_b32 exec_lo, exec_lo, s5
.LBB1_158:
	s_delay_alu instid0(SALU_CYCLE_1) | instskip(SKIP_3) | instid1(VALU_DEP_1)
	s_or_b32 exec_lo, exec_lo, s4
	v_and_b32_e32 v1, 7, v35
	s_mov_b32 s5, 0
	s_mov_b32 s4, exec_lo
	v_cmpx_ne_u32_e32 0, v1
	s_cbranch_execz .LBB1_161
; %bb.159:
	v_dual_mov_b32 v33, 0 :: v_dual_lshlrev_b32 v32, 2, v0
	s_delay_alu instid0(VALU_DEP_1)
	v_lshl_or_b32 v35, v39, 10, v32
.LBB1_160:                              ; =>This Inner Loop Header: Depth=1
	ds_load_2addr_stride64_b32 v[36:37], v35 offset1:4
	v_dual_mov_b32 v32, v30 :: v_dual_add_nc_u32 v1, -1, v1
	v_add_nc_u32_e32 v30, 0x200, v30
	v_add_nc_u32_e32 v35, 0x800, v35
	s_delay_alu instid0(VALU_DEP_3) | instskip(SKIP_3) | instid1(VALU_DEP_3)
	v_lshl_add_u64 v[40:41], v[32:33], 2, v[16:17]
	v_mov_b32_e32 v32, v31
	v_cmp_eq_u32_e32 vcc_lo, 0, v1
	v_add_nc_u32_e32 v31, 0x200, v31
	v_lshl_add_u64 v[44:45], v[32:33], 2, v[16:17]
	s_or_b32 s5, vcc_lo, s5
	s_wait_dscnt 0x0
	s_clause 0x1
	global_store_b32 v[40:41], v36, off
	global_store_b32 v[44:45], v37, off
	s_wait_xcnt 0x0
	s_and_not1_b32 exec_lo, exec_lo, s5
	s_cbranch_execnz .LBB1_160
.LBB1_161:
	s_or_b32 exec_lo, exec_lo, s4
	v_add_nc_u32_e32 v1, 1, v34
	s_delay_alu instid0(VALU_DEP_1) | instskip(NEXT) | instid1(VALU_DEP_1)
	v_and_b32_e32 v30, 0x1fffffe, v1
	v_cmp_ne_u32_e32 vcc_lo, v1, v30
	v_lshl_or_b32 v30, v30, 8, v0
	s_or_not1_b32 s4, vcc_lo, exec_lo
.LBB1_162:
	s_or_b32 exec_lo, exec_lo, s3
	s_delay_alu instid0(SALU_CYCLE_1) | instskip(SKIP_1) | instid1(SALU_CYCLE_1)
	s_and_not1_b32 s1, s1, exec_lo
	s_and_b32 s3, s4, exec_lo
	s_or_b32 s1, s1, s3
.LBB1_163:
	s_or_b32 exec_lo, exec_lo, s2
	s_and_saveexec_b32 s2, s1
	s_cbranch_execz .LBB1_166
; %bb.164:
	v_lshlrev_b32_e32 v1, 2, v30
	s_mov_b32 s1, 0
.LBB1_165:                              ; =>This Inner Loop Header: Depth=1
	ds_load_b32 v31, v1
	v_readfirstlane_b32 s4, v16
	v_readfirstlane_b32 s5, v17
	v_add_nc_u32_e32 v1, 0x400, v1
	s_wait_dscnt 0x0
	global_store_b32 v30, v31, s[4:5] scale_offset
	s_wait_xcnt 0x0
	v_add_nc_u32_e32 v30, 0x100, v30
	s_delay_alu instid0(VALU_DEP_1) | instskip(SKIP_1) | instid1(SALU_CYCLE_1)
	v_cmp_ge_u32_e32 vcc_lo, v30, v52
	s_or_b32 s1, vcc_lo, s1
	s_and_not1_b32 exec_lo, exec_lo, s1
	s_cbranch_execnz .LBB1_165
.LBB1_166:
	s_or_b32 exec_lo, exec_lo, s2
.LBB1_167:
	s_delay_alu instid0(SALU_CYCLE_1)
	s_and_b32 vcc_lo, exec_lo, s0
	s_mov_b32 s0, -1
	s_wait_storecnt 0x0
	s_barrier_signal -1
	s_barrier_wait -1
	s_cbranch_vccnz .LBB1_171
; %bb.168:
	s_and_b32 vcc_lo, exec_lo, s0
	s_cbranch_vccnz .LBB1_198
.LBB1_169:
	v_cmp_eq_u32_e32 vcc_lo, 0, v0
	s_and_b32 s0, vcc_lo, s26
	s_delay_alu instid0(SALU_CYCLE_1)
	s_and_saveexec_b32 s1, s0
	s_cbranch_execnz .LBB1_239
.LBB1_170:
	s_sendmsg sendmsg(MSG_DEALLOC_VGPRS)
	s_endpgm
.LBB1_171:
	v_cmp_lt_u32_e32 vcc_lo, v2, v49
	v_cmp_eq_u32_e64 s0, 1, v15
	s_lshl_b64 s[2:3], s[22:23], 2
	s_wait_kmcnt 0x0
	s_add_nc_u64 s[2:3], s[6:7], s[2:3]
	s_or_b32 s1, s27, vcc_lo
	s_delay_alu instid0(SALU_CYCLE_1) | instskip(NEXT) | instid1(SALU_CYCLE_1)
	s_and_b32 s1, s1, s0
	s_and_saveexec_b32 s0, s1
	s_cbranch_execz .LBB1_173
; %bb.172:
	global_store_b32 v2, v28, s[2:3] scale_offset
.LBB1_173:
	s_wait_xcnt 0x0
	s_or_b32 exec_lo, exec_lo, s0
	v_and_b32_e32 v1, 1, v62
	v_cmp_lt_u32_e32 vcc_lo, v3, v49
	s_delay_alu instid0(VALU_DEP_2) | instskip(SKIP_1) | instid1(SALU_CYCLE_1)
	v_cmp_eq_u32_e64 s0, 1, v1
	s_or_b32 s1, s27, vcc_lo
	s_and_b32 s1, s1, s0
	s_delay_alu instid0(SALU_CYCLE_1)
	s_and_saveexec_b32 s0, s1
	s_cbranch_execz .LBB1_175
; %bb.174:
	global_store_b32 v3, v29, s[2:3] scale_offset
.LBB1_175:
	s_wait_xcnt 0x0
	s_or_b32 exec_lo, exec_lo, s0
	v_and_b32_e32 v1, 1, v60
	v_cmp_lt_u32_e32 vcc_lo, v4, v49
	s_delay_alu instid0(VALU_DEP_2) | instskip(SKIP_1) | instid1(SALU_CYCLE_1)
	v_cmp_eq_u32_e64 s0, 1, v1
	s_or_b32 s1, s27, vcc_lo
	s_and_b32 s1, s1, s0
	s_delay_alu instid0(SALU_CYCLE_1)
	;; [unrolled: 14-line block ×12, first 2 shown]
	s_and_saveexec_b32 s0, s1
	s_cbranch_execz .LBB1_197
; %bb.196:
	global_store_b32 v14, v55, s[2:3] scale_offset
.LBB1_197:
	s_wait_xcnt 0x0
	s_or_b32 exec_lo, exec_lo, s0
	s_branch .LBB1_169
.LBB1_198:
	s_mov_b32 s0, exec_lo
	v_cmpx_eq_u32_e32 1, v15
; %bb.199:
	v_sub_nc_u32_e32 v1, v2, v38
	s_delay_alu instid0(VALU_DEP_1)
	v_lshlrev_b32_e32 v1, 2, v1
	ds_store_b32 v1, v28
; %bb.200:
	s_or_b32 exec_lo, exec_lo, s0
	v_and_b32_e32 v1, 1, v62
	s_mov_b32 s0, exec_lo
	s_delay_alu instid0(VALU_DEP_1)
	v_cmpx_eq_u32_e32 1, v1
; %bb.201:
	v_sub_nc_u32_e32 v1, v3, v38
	s_delay_alu instid0(VALU_DEP_1)
	v_lshlrev_b32_e32 v1, 2, v1
	ds_store_b32 v1, v29
; %bb.202:
	s_or_b32 exec_lo, exec_lo, s0
	v_and_b32_e32 v1, 1, v60
	s_mov_b32 s0, exec_lo
	s_delay_alu instid0(VALU_DEP_1)
	;; [unrolled: 11-line block ×12, first 2 shown]
	v_cmpx_eq_u32_e32 1, v1
; %bb.223:
	v_sub_nc_u32_e32 v1, v14, v38
	s_delay_alu instid0(VALU_DEP_1)
	v_lshlrev_b32_e32 v1, 2, v1
	ds_store_b32 v1, v55
; %bb.224:
	s_or_b32 exec_lo, exec_lo, s0
	v_or_b32_e32 v1, 0x100, v0
	v_mov_b32_e32 v39, 0
	s_lshl_b64 s[0:1], s[22:23], 2
	s_mov_b32 s3, -1
	s_wait_kmcnt 0x0
	s_add_nc_u64 s[0:1], s[6:7], s[0:1]
	v_max_u32_e32 v5, v52, v1
	v_lshlrev_b64_e32 v[2:3], 2, v[38:39]
	s_wait_storecnt_dscnt 0x0
	s_barrier_signal -1
	s_barrier_wait -1
	v_xad_u32 v4, v0, -1, v5
	s_delay_alu instid0(VALU_DEP_2) | instskip(SKIP_1) | instid1(VALU_DEP_2)
	v_add_nc_u64_e32 v[2:3], s[0:1], v[2:3]
	s_mov_b32 s1, exec_lo
	v_cmp_gt_u32_e64 s0, 0x1b00, v4
	v_cmpx_lt_u32_e32 0x1aff, v4
	s_cbranch_execz .LBB1_235
; %bb.225:
	v_sub_nc_u32_e32 v5, v0, v5
	s_mov_b32 s2, exec_lo
	s_delay_alu instid0(VALU_DEP_1) | instskip(NEXT) | instid1(VALU_DEP_1)
	v_or_b32_e32 v5, 0xff, v5
	v_cmpx_ge_u32_e64 v5, v0
	s_cbranch_execz .LBB1_234
; %bb.226:
	v_dual_mov_b32 v13, 0 :: v_dual_lshrrev_b32 v8, 8, v4
	s_delay_alu instid0(VALU_DEP_1) | instskip(NEXT) | instid1(VALU_DEP_1)
	v_add_nc_u32_e32 v4, -1, v8
	v_lshrrev_b32_e32 v5, 1, v4
	v_lshlrev_b32_e32 v9, 2, v0
	v_cmp_lt_u32_e32 vcc_lo, 13, v4
	s_delay_alu instid0(VALU_DEP_3)
	v_add_nc_u32_e32 v10, 1, v5
	v_mov_b64_e32 v[4:5], v[0:1]
	s_and_saveexec_b32 s3, vcc_lo
	s_cbranch_execz .LBB1_230
; %bb.227:
	v_mov_b64_e32 v[4:5], v[0:1]
	v_dual_mov_b32 v7, 0 :: v_dual_bitop2_b32 v11, -8, v10 bitop3:0x40
	v_mov_b32_e32 v12, v9
	s_mov_b32 s4, 0
	s_mov_b32 s5, 0
.LBB1_228:                              ; =>This Inner Loop Header: Depth=1
	s_delay_alu instid0(VALU_DEP_2)
	v_dual_mov_b32 v6, v4 :: v_dual_mov_b32 v17, v7
	ds_load_2addr_stride64_b32 v[14:15], v12 offset1:4
	v_add_nc_u32_e32 v11, -8, v11
	ds_load_2addr_stride64_b32 v[18:19], v12 offset0:8 offset1:12
	v_lshl_add_u64 v[46:47], v[6:7], 2, v[2:3]
	v_mov_b32_e32 v6, v5
	ds_load_2addr_stride64_b32 v[22:23], v12 offset0:16 offset1:20
	ds_load_2addr_stride64_b32 v[26:27], v12 offset0:24 offset1:28
	v_dual_mov_b32 v21, v7 :: v_dual_add_nc_u32 v16, 0x200, v5
	v_lshl_add_u64 v[48:49], v[6:7], 2, v[2:3]
	v_add_nc_u32_e32 v6, 0x200, v4
	ds_load_2addr_stride64_b32 v[30:31], v12 offset0:32 offset1:36
	v_lshl_add_u64 v[16:17], v[16:17], 2, v[2:3]
	ds_load_2addr_stride64_b32 v[34:35], v12 offset0:40 offset1:44
	ds_load_2addr_stride64_b32 v[40:41], v12 offset0:48 offset1:52
	v_lshl_add_u64 v[50:51], v[6:7], 2, v[2:3]
	v_add_nc_u32_e32 v6, 0x400, v4
	ds_load_2addr_stride64_b32 v[44:45], v12 offset0:56 offset1:60
	s_wait_dscnt 0x7
	s_clause 0x1
	global_store_b32 v[46:47], v14, off
	global_store_b32 v[48:49], v15, off
	s_wait_dscnt 0x6
	s_clause 0x1
	global_store_b32 v[50:51], v18, off
	global_store_b32 v[16:17], v19, off
	v_lshl_add_u64 v[54:55], v[6:7], 2, v[2:3]
	v_add_nc_u32_e32 v6, 0x600, v4
	v_dual_mov_b32 v25, v7 :: v_dual_add_nc_u32 v20, 0x400, v5
	v_dual_mov_b32 v29, v7 :: v_dual_add_nc_u32 v24, 0x600, v5
	s_wait_xcnt 0x2
	s_delay_alu instid0(VALU_DEP_3)
	v_lshl_add_u64 v[14:15], v[6:7], 2, v[2:3]
	v_add_nc_u32_e32 v6, 0x800, v4
	v_lshl_add_u64 v[20:21], v[20:21], 2, v[2:3]
	v_dual_mov_b32 v33, v7 :: v_dual_add_nc_u32 v28, 0x800, v5
	v_lshl_add_u64 v[24:25], v[24:25], 2, v[2:3]
	s_wait_xcnt 0x0
	v_lshl_add_u64 v[16:17], v[6:7], 2, v[2:3]
	v_add_nc_u32_e32 v6, 0xa00, v4
	s_wait_dscnt 0x5
	s_clause 0x1
	global_store_b32 v[54:55], v22, off
	global_store_b32 v[20:21], v23, off
	s_wait_dscnt 0x4
	global_store_b32 v[14:15], v26, off
	v_dual_mov_b32 v37, v7 :: v_dual_add_nc_u32 v32, 0xa00, v5
	s_wait_xcnt 0x0
	v_lshl_add_u64 v[14:15], v[6:7], 2, v[2:3]
	v_add_nc_u32_e32 v6, 0xc00, v4
	v_dual_mov_b32 v43, v7 :: v_dual_add_nc_u32 v36, 0xc00, v5
	v_lshl_add_u64 v[28:29], v[28:29], 2, v[2:3]
	global_store_b32 v[24:25], v27, off
	s_wait_dscnt 0x3
	global_store_b32 v[16:17], v30, off
	s_wait_xcnt 0x0
	v_lshl_add_u64 v[16:17], v[6:7], 2, v[2:3]
	v_add_nc_u32_e32 v6, 0xe00, v4
	s_add_co_i32 s5, s5, 16
	s_delay_alu instid0(SALU_CYCLE_1)
	v_dual_mov_b32 v13, s5 :: v_dual_add_nc_u32 v42, 0xe00, v5
	v_cmp_eq_u32_e32 vcc_lo, 0, v11
	v_lshl_add_u64 v[32:33], v[32:33], 2, v[2:3]
	v_add_nc_u32_e32 v12, 0x4000, v12
	v_add_nc_u32_e32 v5, 0x1000, v5
	;; [unrolled: 1-line block ×3, first 2 shown]
	v_lshl_add_u64 v[36:37], v[36:37], 2, v[2:3]
	global_store_b32 v[28:29], v31, off
	s_wait_dscnt 0x2
	s_clause 0x1
	global_store_b32 v[14:15], v34, off
	global_store_b32 v[32:33], v35, off
	s_wait_xcnt 0x1
	v_lshl_add_u64 v[14:15], v[6:7], 2, v[2:3]
	v_lshl_add_u64 v[42:43], v[42:43], 2, v[2:3]
	s_or_b32 s4, vcc_lo, s4
	s_wait_dscnt 0x1
	s_clause 0x1
	global_store_b32 v[16:17], v40, off
	global_store_b32 v[36:37], v41, off
	s_wait_dscnt 0x0
	s_clause 0x1
	global_store_b32 v[14:15], v44, off
	global_store_b32 v[42:43], v45, off
	s_wait_xcnt 0x0
	s_and_not1_b32 exec_lo, exec_lo, s4
	s_cbranch_execnz .LBB1_228
; %bb.229:
	s_or_b32 exec_lo, exec_lo, s4
.LBB1_230:
	s_delay_alu instid0(SALU_CYCLE_1) | instskip(SKIP_3) | instid1(VALU_DEP_1)
	s_or_b32 exec_lo, exec_lo, s3
	v_and_b32_e32 v1, 7, v10
	s_mov_b32 s4, 0
	s_mov_b32 s3, exec_lo
	v_cmpx_ne_u32_e32 0, v1
	s_cbranch_execz .LBB1_233
; %bb.231:
	v_lshl_or_b32 v9, v13, 10, v9
	v_mov_b32_e32 v7, 0
.LBB1_232:                              ; =>This Inner Loop Header: Depth=1
	ds_load_2addr_stride64_b32 v[10:11], v9 offset1:4
	v_dual_mov_b32 v6, v4 :: v_dual_add_nc_u32 v1, -1, v1
	v_add_nc_u32_e32 v4, 0x200, v4
	v_add_nc_u32_e32 v9, 0x800, v9
	s_delay_alu instid0(VALU_DEP_3) | instskip(SKIP_3) | instid1(VALU_DEP_3)
	v_lshl_add_u64 v[12:13], v[6:7], 2, v[2:3]
	v_mov_b32_e32 v6, v5
	v_cmp_eq_u32_e32 vcc_lo, 0, v1
	v_add_nc_u32_e32 v5, 0x200, v5
	v_lshl_add_u64 v[14:15], v[6:7], 2, v[2:3]
	s_or_b32 s4, vcc_lo, s4
	s_wait_dscnt 0x0
	s_clause 0x1
	global_store_b32 v[12:13], v10, off
	global_store_b32 v[14:15], v11, off
	s_wait_xcnt 0x0
	s_and_not1_b32 exec_lo, exec_lo, s4
	s_cbranch_execnz .LBB1_232
.LBB1_233:
	s_or_b32 exec_lo, exec_lo, s3
	v_add_nc_u32_e32 v1, 1, v8
	s_delay_alu instid0(VALU_DEP_1) | instskip(NEXT) | instid1(VALU_DEP_1)
	v_and_b32_e32 v4, 0x1fffffe, v1
	v_cmp_ne_u32_e32 vcc_lo, v1, v4
	v_lshl_or_b32 v54, v4, 8, v0
	s_or_not1_b32 s3, vcc_lo, exec_lo
.LBB1_234:
	s_or_b32 exec_lo, exec_lo, s2
	s_delay_alu instid0(SALU_CYCLE_1) | instskip(SKIP_1) | instid1(SALU_CYCLE_1)
	s_and_not1_b32 s0, s0, exec_lo
	s_and_b32 s2, s3, exec_lo
	s_or_b32 s0, s0, s2
.LBB1_235:
	s_or_b32 exec_lo, exec_lo, s1
	s_and_saveexec_b32 s1, s0
	s_cbranch_execz .LBB1_238
; %bb.236:
	v_lshlrev_b32_e32 v1, 2, v54
	s_mov_b32 s0, 0
.LBB1_237:                              ; =>This Inner Loop Header: Depth=1
	ds_load_b32 v4, v1
	v_readfirstlane_b32 s2, v2
	v_readfirstlane_b32 s3, v3
	v_add_nc_u32_e32 v1, 0x400, v1
	s_wait_dscnt 0x0
	global_store_b32 v54, v4, s[2:3] scale_offset
	s_wait_xcnt 0x0
	v_add_nc_u32_e32 v54, 0x100, v54
	s_delay_alu instid0(VALU_DEP_1) | instskip(SKIP_1) | instid1(SALU_CYCLE_1)
	v_cmp_ge_u32_e32 vcc_lo, v54, v52
	s_or_b32 s0, vcc_lo, s0
	s_and_not1_b32 exec_lo, exec_lo, s0
	s_cbranch_execnz .LBB1_237
.LBB1_238:
	s_or_b32 exec_lo, exec_lo, s1
	v_cmp_eq_u32_e32 vcc_lo, 0, v0
	s_and_b32 s0, vcc_lo, s26
	s_delay_alu instid0(SALU_CYCLE_1)
	s_and_saveexec_b32 s1, s0
	s_cbranch_execz .LBB1_170
.LBB1_239:
	v_mov_b32_e32 v53, 0
	s_delay_alu instid0(VALU_DEP_1) | instskip(SKIP_1) | instid1(VALU_DEP_1)
	v_add_nc_u64_e32 v[0:1], s[22:23], v[52:53]
	v_mov_b32_e32 v39, v53
	v_add_nc_u64_e32 v[0:1], v[0:1], v[38:39]
	global_store_b64 v53, v[0:1], s[24:25]
	s_sendmsg sendmsg(MSG_DEALLOC_VGPRS)
	s_endpgm
	.section	.rodata,"a",@progbits
	.p2align	6, 0x0
	.amdhsa_kernel _ZN7rocprim17ROCPRIM_400000_NS6detail17trampoline_kernelINS0_14default_configENS1_25partition_config_selectorILNS1_17partition_subalgoE9EiibEEZZNS1_14partition_implILS5_9ELb0ES3_jPKiN6thrust23THRUST_200600_302600_NS17counting_iteratorIiNSB_11use_defaultESD_SD_EEPNS0_10empty_typeENS0_5tupleIJPiSF_EEENSH_IJSI_SG_EEENS0_18inequality_wrapperIN6hipcub16HIPCUB_304000_NS8EqualityEEEPlJSF_EEE10hipError_tPvRmT3_T4_T5_T6_T7_T9_mT8_P12ihipStream_tbDpT10_ENKUlT_T0_E_clISt17integral_constantIbLb0EES1A_EEDaS15_S16_EUlS15_E_NS1_11comp_targetILNS1_3genE0ELNS1_11target_archE4294967295ELNS1_3gpuE0ELNS1_3repE0EEENS1_30default_config_static_selectorELNS0_4arch9wavefront6targetE0EEEvT1_
		.amdhsa_group_segment_fixed_size 13320
		.amdhsa_private_segment_fixed_size 0
		.amdhsa_kernarg_size 112
		.amdhsa_user_sgpr_count 2
		.amdhsa_user_sgpr_dispatch_ptr 0
		.amdhsa_user_sgpr_queue_ptr 0
		.amdhsa_user_sgpr_kernarg_segment_ptr 1
		.amdhsa_user_sgpr_dispatch_id 0
		.amdhsa_user_sgpr_kernarg_preload_length 0
		.amdhsa_user_sgpr_kernarg_preload_offset 0
		.amdhsa_user_sgpr_private_segment_size 0
		.amdhsa_wavefront_size32 1
		.amdhsa_uses_dynamic_stack 0
		.amdhsa_enable_private_segment 0
		.amdhsa_system_sgpr_workgroup_id_x 1
		.amdhsa_system_sgpr_workgroup_id_y 0
		.amdhsa_system_sgpr_workgroup_id_z 0
		.amdhsa_system_sgpr_workgroup_info 0
		.amdhsa_system_vgpr_workitem_id 0
		.amdhsa_next_free_vgpr 98
		.amdhsa_next_free_sgpr 32
		.amdhsa_named_barrier_count 0
		.amdhsa_reserve_vcc 1
		.amdhsa_float_round_mode_32 0
		.amdhsa_float_round_mode_16_64 0
		.amdhsa_float_denorm_mode_32 3
		.amdhsa_float_denorm_mode_16_64 3
		.amdhsa_fp16_overflow 0
		.amdhsa_memory_ordered 1
		.amdhsa_forward_progress 1
		.amdhsa_inst_pref_size 98
		.amdhsa_round_robin_scheduling 0
		.amdhsa_exception_fp_ieee_invalid_op 0
		.amdhsa_exception_fp_denorm_src 0
		.amdhsa_exception_fp_ieee_div_zero 0
		.amdhsa_exception_fp_ieee_overflow 0
		.amdhsa_exception_fp_ieee_underflow 0
		.amdhsa_exception_fp_ieee_inexact 0
		.amdhsa_exception_int_div_zero 0
	.end_amdhsa_kernel
	.section	.text._ZN7rocprim17ROCPRIM_400000_NS6detail17trampoline_kernelINS0_14default_configENS1_25partition_config_selectorILNS1_17partition_subalgoE9EiibEEZZNS1_14partition_implILS5_9ELb0ES3_jPKiN6thrust23THRUST_200600_302600_NS17counting_iteratorIiNSB_11use_defaultESD_SD_EEPNS0_10empty_typeENS0_5tupleIJPiSF_EEENSH_IJSI_SG_EEENS0_18inequality_wrapperIN6hipcub16HIPCUB_304000_NS8EqualityEEEPlJSF_EEE10hipError_tPvRmT3_T4_T5_T6_T7_T9_mT8_P12ihipStream_tbDpT10_ENKUlT_T0_E_clISt17integral_constantIbLb0EES1A_EEDaS15_S16_EUlS15_E_NS1_11comp_targetILNS1_3genE0ELNS1_11target_archE4294967295ELNS1_3gpuE0ELNS1_3repE0EEENS1_30default_config_static_selectorELNS0_4arch9wavefront6targetE0EEEvT1_,"axG",@progbits,_ZN7rocprim17ROCPRIM_400000_NS6detail17trampoline_kernelINS0_14default_configENS1_25partition_config_selectorILNS1_17partition_subalgoE9EiibEEZZNS1_14partition_implILS5_9ELb0ES3_jPKiN6thrust23THRUST_200600_302600_NS17counting_iteratorIiNSB_11use_defaultESD_SD_EEPNS0_10empty_typeENS0_5tupleIJPiSF_EEENSH_IJSI_SG_EEENS0_18inequality_wrapperIN6hipcub16HIPCUB_304000_NS8EqualityEEEPlJSF_EEE10hipError_tPvRmT3_T4_T5_T6_T7_T9_mT8_P12ihipStream_tbDpT10_ENKUlT_T0_E_clISt17integral_constantIbLb0EES1A_EEDaS15_S16_EUlS15_E_NS1_11comp_targetILNS1_3genE0ELNS1_11target_archE4294967295ELNS1_3gpuE0ELNS1_3repE0EEENS1_30default_config_static_selectorELNS0_4arch9wavefront6targetE0EEEvT1_,comdat
.Lfunc_end1:
	.size	_ZN7rocprim17ROCPRIM_400000_NS6detail17trampoline_kernelINS0_14default_configENS1_25partition_config_selectorILNS1_17partition_subalgoE9EiibEEZZNS1_14partition_implILS5_9ELb0ES3_jPKiN6thrust23THRUST_200600_302600_NS17counting_iteratorIiNSB_11use_defaultESD_SD_EEPNS0_10empty_typeENS0_5tupleIJPiSF_EEENSH_IJSI_SG_EEENS0_18inequality_wrapperIN6hipcub16HIPCUB_304000_NS8EqualityEEEPlJSF_EEE10hipError_tPvRmT3_T4_T5_T6_T7_T9_mT8_P12ihipStream_tbDpT10_ENKUlT_T0_E_clISt17integral_constantIbLb0EES1A_EEDaS15_S16_EUlS15_E_NS1_11comp_targetILNS1_3genE0ELNS1_11target_archE4294967295ELNS1_3gpuE0ELNS1_3repE0EEENS1_30default_config_static_selectorELNS0_4arch9wavefront6targetE0EEEvT1_, .Lfunc_end1-_ZN7rocprim17ROCPRIM_400000_NS6detail17trampoline_kernelINS0_14default_configENS1_25partition_config_selectorILNS1_17partition_subalgoE9EiibEEZZNS1_14partition_implILS5_9ELb0ES3_jPKiN6thrust23THRUST_200600_302600_NS17counting_iteratorIiNSB_11use_defaultESD_SD_EEPNS0_10empty_typeENS0_5tupleIJPiSF_EEENSH_IJSI_SG_EEENS0_18inequality_wrapperIN6hipcub16HIPCUB_304000_NS8EqualityEEEPlJSF_EEE10hipError_tPvRmT3_T4_T5_T6_T7_T9_mT8_P12ihipStream_tbDpT10_ENKUlT_T0_E_clISt17integral_constantIbLb0EES1A_EEDaS15_S16_EUlS15_E_NS1_11comp_targetILNS1_3genE0ELNS1_11target_archE4294967295ELNS1_3gpuE0ELNS1_3repE0EEENS1_30default_config_static_selectorELNS0_4arch9wavefront6targetE0EEEvT1_
                                        ; -- End function
	.set _ZN7rocprim17ROCPRIM_400000_NS6detail17trampoline_kernelINS0_14default_configENS1_25partition_config_selectorILNS1_17partition_subalgoE9EiibEEZZNS1_14partition_implILS5_9ELb0ES3_jPKiN6thrust23THRUST_200600_302600_NS17counting_iteratorIiNSB_11use_defaultESD_SD_EEPNS0_10empty_typeENS0_5tupleIJPiSF_EEENSH_IJSI_SG_EEENS0_18inequality_wrapperIN6hipcub16HIPCUB_304000_NS8EqualityEEEPlJSF_EEE10hipError_tPvRmT3_T4_T5_T6_T7_T9_mT8_P12ihipStream_tbDpT10_ENKUlT_T0_E_clISt17integral_constantIbLb0EES1A_EEDaS15_S16_EUlS15_E_NS1_11comp_targetILNS1_3genE0ELNS1_11target_archE4294967295ELNS1_3gpuE0ELNS1_3repE0EEENS1_30default_config_static_selectorELNS0_4arch9wavefront6targetE0EEEvT1_.num_vgpr, 98
	.set _ZN7rocprim17ROCPRIM_400000_NS6detail17trampoline_kernelINS0_14default_configENS1_25partition_config_selectorILNS1_17partition_subalgoE9EiibEEZZNS1_14partition_implILS5_9ELb0ES3_jPKiN6thrust23THRUST_200600_302600_NS17counting_iteratorIiNSB_11use_defaultESD_SD_EEPNS0_10empty_typeENS0_5tupleIJPiSF_EEENSH_IJSI_SG_EEENS0_18inequality_wrapperIN6hipcub16HIPCUB_304000_NS8EqualityEEEPlJSF_EEE10hipError_tPvRmT3_T4_T5_T6_T7_T9_mT8_P12ihipStream_tbDpT10_ENKUlT_T0_E_clISt17integral_constantIbLb0EES1A_EEDaS15_S16_EUlS15_E_NS1_11comp_targetILNS1_3genE0ELNS1_11target_archE4294967295ELNS1_3gpuE0ELNS1_3repE0EEENS1_30default_config_static_selectorELNS0_4arch9wavefront6targetE0EEEvT1_.num_agpr, 0
	.set _ZN7rocprim17ROCPRIM_400000_NS6detail17trampoline_kernelINS0_14default_configENS1_25partition_config_selectorILNS1_17partition_subalgoE9EiibEEZZNS1_14partition_implILS5_9ELb0ES3_jPKiN6thrust23THRUST_200600_302600_NS17counting_iteratorIiNSB_11use_defaultESD_SD_EEPNS0_10empty_typeENS0_5tupleIJPiSF_EEENSH_IJSI_SG_EEENS0_18inequality_wrapperIN6hipcub16HIPCUB_304000_NS8EqualityEEEPlJSF_EEE10hipError_tPvRmT3_T4_T5_T6_T7_T9_mT8_P12ihipStream_tbDpT10_ENKUlT_T0_E_clISt17integral_constantIbLb0EES1A_EEDaS15_S16_EUlS15_E_NS1_11comp_targetILNS1_3genE0ELNS1_11target_archE4294967295ELNS1_3gpuE0ELNS1_3repE0EEENS1_30default_config_static_selectorELNS0_4arch9wavefront6targetE0EEEvT1_.numbered_sgpr, 32
	.set _ZN7rocprim17ROCPRIM_400000_NS6detail17trampoline_kernelINS0_14default_configENS1_25partition_config_selectorILNS1_17partition_subalgoE9EiibEEZZNS1_14partition_implILS5_9ELb0ES3_jPKiN6thrust23THRUST_200600_302600_NS17counting_iteratorIiNSB_11use_defaultESD_SD_EEPNS0_10empty_typeENS0_5tupleIJPiSF_EEENSH_IJSI_SG_EEENS0_18inequality_wrapperIN6hipcub16HIPCUB_304000_NS8EqualityEEEPlJSF_EEE10hipError_tPvRmT3_T4_T5_T6_T7_T9_mT8_P12ihipStream_tbDpT10_ENKUlT_T0_E_clISt17integral_constantIbLb0EES1A_EEDaS15_S16_EUlS15_E_NS1_11comp_targetILNS1_3genE0ELNS1_11target_archE4294967295ELNS1_3gpuE0ELNS1_3repE0EEENS1_30default_config_static_selectorELNS0_4arch9wavefront6targetE0EEEvT1_.num_named_barrier, 0
	.set _ZN7rocprim17ROCPRIM_400000_NS6detail17trampoline_kernelINS0_14default_configENS1_25partition_config_selectorILNS1_17partition_subalgoE9EiibEEZZNS1_14partition_implILS5_9ELb0ES3_jPKiN6thrust23THRUST_200600_302600_NS17counting_iteratorIiNSB_11use_defaultESD_SD_EEPNS0_10empty_typeENS0_5tupleIJPiSF_EEENSH_IJSI_SG_EEENS0_18inequality_wrapperIN6hipcub16HIPCUB_304000_NS8EqualityEEEPlJSF_EEE10hipError_tPvRmT3_T4_T5_T6_T7_T9_mT8_P12ihipStream_tbDpT10_ENKUlT_T0_E_clISt17integral_constantIbLb0EES1A_EEDaS15_S16_EUlS15_E_NS1_11comp_targetILNS1_3genE0ELNS1_11target_archE4294967295ELNS1_3gpuE0ELNS1_3repE0EEENS1_30default_config_static_selectorELNS0_4arch9wavefront6targetE0EEEvT1_.private_seg_size, 0
	.set _ZN7rocprim17ROCPRIM_400000_NS6detail17trampoline_kernelINS0_14default_configENS1_25partition_config_selectorILNS1_17partition_subalgoE9EiibEEZZNS1_14partition_implILS5_9ELb0ES3_jPKiN6thrust23THRUST_200600_302600_NS17counting_iteratorIiNSB_11use_defaultESD_SD_EEPNS0_10empty_typeENS0_5tupleIJPiSF_EEENSH_IJSI_SG_EEENS0_18inequality_wrapperIN6hipcub16HIPCUB_304000_NS8EqualityEEEPlJSF_EEE10hipError_tPvRmT3_T4_T5_T6_T7_T9_mT8_P12ihipStream_tbDpT10_ENKUlT_T0_E_clISt17integral_constantIbLb0EES1A_EEDaS15_S16_EUlS15_E_NS1_11comp_targetILNS1_3genE0ELNS1_11target_archE4294967295ELNS1_3gpuE0ELNS1_3repE0EEENS1_30default_config_static_selectorELNS0_4arch9wavefront6targetE0EEEvT1_.uses_vcc, 1
	.set _ZN7rocprim17ROCPRIM_400000_NS6detail17trampoline_kernelINS0_14default_configENS1_25partition_config_selectorILNS1_17partition_subalgoE9EiibEEZZNS1_14partition_implILS5_9ELb0ES3_jPKiN6thrust23THRUST_200600_302600_NS17counting_iteratorIiNSB_11use_defaultESD_SD_EEPNS0_10empty_typeENS0_5tupleIJPiSF_EEENSH_IJSI_SG_EEENS0_18inequality_wrapperIN6hipcub16HIPCUB_304000_NS8EqualityEEEPlJSF_EEE10hipError_tPvRmT3_T4_T5_T6_T7_T9_mT8_P12ihipStream_tbDpT10_ENKUlT_T0_E_clISt17integral_constantIbLb0EES1A_EEDaS15_S16_EUlS15_E_NS1_11comp_targetILNS1_3genE0ELNS1_11target_archE4294967295ELNS1_3gpuE0ELNS1_3repE0EEENS1_30default_config_static_selectorELNS0_4arch9wavefront6targetE0EEEvT1_.uses_flat_scratch, 0
	.set _ZN7rocprim17ROCPRIM_400000_NS6detail17trampoline_kernelINS0_14default_configENS1_25partition_config_selectorILNS1_17partition_subalgoE9EiibEEZZNS1_14partition_implILS5_9ELb0ES3_jPKiN6thrust23THRUST_200600_302600_NS17counting_iteratorIiNSB_11use_defaultESD_SD_EEPNS0_10empty_typeENS0_5tupleIJPiSF_EEENSH_IJSI_SG_EEENS0_18inequality_wrapperIN6hipcub16HIPCUB_304000_NS8EqualityEEEPlJSF_EEE10hipError_tPvRmT3_T4_T5_T6_T7_T9_mT8_P12ihipStream_tbDpT10_ENKUlT_T0_E_clISt17integral_constantIbLb0EES1A_EEDaS15_S16_EUlS15_E_NS1_11comp_targetILNS1_3genE0ELNS1_11target_archE4294967295ELNS1_3gpuE0ELNS1_3repE0EEENS1_30default_config_static_selectorELNS0_4arch9wavefront6targetE0EEEvT1_.has_dyn_sized_stack, 0
	.set _ZN7rocprim17ROCPRIM_400000_NS6detail17trampoline_kernelINS0_14default_configENS1_25partition_config_selectorILNS1_17partition_subalgoE9EiibEEZZNS1_14partition_implILS5_9ELb0ES3_jPKiN6thrust23THRUST_200600_302600_NS17counting_iteratorIiNSB_11use_defaultESD_SD_EEPNS0_10empty_typeENS0_5tupleIJPiSF_EEENSH_IJSI_SG_EEENS0_18inequality_wrapperIN6hipcub16HIPCUB_304000_NS8EqualityEEEPlJSF_EEE10hipError_tPvRmT3_T4_T5_T6_T7_T9_mT8_P12ihipStream_tbDpT10_ENKUlT_T0_E_clISt17integral_constantIbLb0EES1A_EEDaS15_S16_EUlS15_E_NS1_11comp_targetILNS1_3genE0ELNS1_11target_archE4294967295ELNS1_3gpuE0ELNS1_3repE0EEENS1_30default_config_static_selectorELNS0_4arch9wavefront6targetE0EEEvT1_.has_recursion, 0
	.set _ZN7rocprim17ROCPRIM_400000_NS6detail17trampoline_kernelINS0_14default_configENS1_25partition_config_selectorILNS1_17partition_subalgoE9EiibEEZZNS1_14partition_implILS5_9ELb0ES3_jPKiN6thrust23THRUST_200600_302600_NS17counting_iteratorIiNSB_11use_defaultESD_SD_EEPNS0_10empty_typeENS0_5tupleIJPiSF_EEENSH_IJSI_SG_EEENS0_18inequality_wrapperIN6hipcub16HIPCUB_304000_NS8EqualityEEEPlJSF_EEE10hipError_tPvRmT3_T4_T5_T6_T7_T9_mT8_P12ihipStream_tbDpT10_ENKUlT_T0_E_clISt17integral_constantIbLb0EES1A_EEDaS15_S16_EUlS15_E_NS1_11comp_targetILNS1_3genE0ELNS1_11target_archE4294967295ELNS1_3gpuE0ELNS1_3repE0EEENS1_30default_config_static_selectorELNS0_4arch9wavefront6targetE0EEEvT1_.has_indirect_call, 0
	.section	.AMDGPU.csdata,"",@progbits
; Kernel info:
; codeLenInByte = 12536
; TotalNumSgprs: 34
; NumVgprs: 98
; ScratchSize: 0
; MemoryBound: 0
; FloatMode: 240
; IeeeMode: 1
; LDSByteSize: 13320 bytes/workgroup (compile time only)
; SGPRBlocks: 0
; VGPRBlocks: 6
; NumSGPRsForWavesPerEU: 34
; NumVGPRsForWavesPerEU: 98
; NamedBarCnt: 0
; Occupancy: 9
; WaveLimiterHint : 1
; COMPUTE_PGM_RSRC2:SCRATCH_EN: 0
; COMPUTE_PGM_RSRC2:USER_SGPR: 2
; COMPUTE_PGM_RSRC2:TRAP_HANDLER: 0
; COMPUTE_PGM_RSRC2:TGID_X_EN: 1
; COMPUTE_PGM_RSRC2:TGID_Y_EN: 0
; COMPUTE_PGM_RSRC2:TGID_Z_EN: 0
; COMPUTE_PGM_RSRC2:TIDIG_COMP_CNT: 0
	.section	.text._ZN7rocprim17ROCPRIM_400000_NS6detail17trampoline_kernelINS0_14default_configENS1_25partition_config_selectorILNS1_17partition_subalgoE9EiibEEZZNS1_14partition_implILS5_9ELb0ES3_jPKiN6thrust23THRUST_200600_302600_NS17counting_iteratorIiNSB_11use_defaultESD_SD_EEPNS0_10empty_typeENS0_5tupleIJPiSF_EEENSH_IJSI_SG_EEENS0_18inequality_wrapperIN6hipcub16HIPCUB_304000_NS8EqualityEEEPlJSF_EEE10hipError_tPvRmT3_T4_T5_T6_T7_T9_mT8_P12ihipStream_tbDpT10_ENKUlT_T0_E_clISt17integral_constantIbLb0EES1A_EEDaS15_S16_EUlS15_E_NS1_11comp_targetILNS1_3genE5ELNS1_11target_archE942ELNS1_3gpuE9ELNS1_3repE0EEENS1_30default_config_static_selectorELNS0_4arch9wavefront6targetE0EEEvT1_,"axG",@progbits,_ZN7rocprim17ROCPRIM_400000_NS6detail17trampoline_kernelINS0_14default_configENS1_25partition_config_selectorILNS1_17partition_subalgoE9EiibEEZZNS1_14partition_implILS5_9ELb0ES3_jPKiN6thrust23THRUST_200600_302600_NS17counting_iteratorIiNSB_11use_defaultESD_SD_EEPNS0_10empty_typeENS0_5tupleIJPiSF_EEENSH_IJSI_SG_EEENS0_18inequality_wrapperIN6hipcub16HIPCUB_304000_NS8EqualityEEEPlJSF_EEE10hipError_tPvRmT3_T4_T5_T6_T7_T9_mT8_P12ihipStream_tbDpT10_ENKUlT_T0_E_clISt17integral_constantIbLb0EES1A_EEDaS15_S16_EUlS15_E_NS1_11comp_targetILNS1_3genE5ELNS1_11target_archE942ELNS1_3gpuE9ELNS1_3repE0EEENS1_30default_config_static_selectorELNS0_4arch9wavefront6targetE0EEEvT1_,comdat
	.protected	_ZN7rocprim17ROCPRIM_400000_NS6detail17trampoline_kernelINS0_14default_configENS1_25partition_config_selectorILNS1_17partition_subalgoE9EiibEEZZNS1_14partition_implILS5_9ELb0ES3_jPKiN6thrust23THRUST_200600_302600_NS17counting_iteratorIiNSB_11use_defaultESD_SD_EEPNS0_10empty_typeENS0_5tupleIJPiSF_EEENSH_IJSI_SG_EEENS0_18inequality_wrapperIN6hipcub16HIPCUB_304000_NS8EqualityEEEPlJSF_EEE10hipError_tPvRmT3_T4_T5_T6_T7_T9_mT8_P12ihipStream_tbDpT10_ENKUlT_T0_E_clISt17integral_constantIbLb0EES1A_EEDaS15_S16_EUlS15_E_NS1_11comp_targetILNS1_3genE5ELNS1_11target_archE942ELNS1_3gpuE9ELNS1_3repE0EEENS1_30default_config_static_selectorELNS0_4arch9wavefront6targetE0EEEvT1_ ; -- Begin function _ZN7rocprim17ROCPRIM_400000_NS6detail17trampoline_kernelINS0_14default_configENS1_25partition_config_selectorILNS1_17partition_subalgoE9EiibEEZZNS1_14partition_implILS5_9ELb0ES3_jPKiN6thrust23THRUST_200600_302600_NS17counting_iteratorIiNSB_11use_defaultESD_SD_EEPNS0_10empty_typeENS0_5tupleIJPiSF_EEENSH_IJSI_SG_EEENS0_18inequality_wrapperIN6hipcub16HIPCUB_304000_NS8EqualityEEEPlJSF_EEE10hipError_tPvRmT3_T4_T5_T6_T7_T9_mT8_P12ihipStream_tbDpT10_ENKUlT_T0_E_clISt17integral_constantIbLb0EES1A_EEDaS15_S16_EUlS15_E_NS1_11comp_targetILNS1_3genE5ELNS1_11target_archE942ELNS1_3gpuE9ELNS1_3repE0EEENS1_30default_config_static_selectorELNS0_4arch9wavefront6targetE0EEEvT1_
	.globl	_ZN7rocprim17ROCPRIM_400000_NS6detail17trampoline_kernelINS0_14default_configENS1_25partition_config_selectorILNS1_17partition_subalgoE9EiibEEZZNS1_14partition_implILS5_9ELb0ES3_jPKiN6thrust23THRUST_200600_302600_NS17counting_iteratorIiNSB_11use_defaultESD_SD_EEPNS0_10empty_typeENS0_5tupleIJPiSF_EEENSH_IJSI_SG_EEENS0_18inequality_wrapperIN6hipcub16HIPCUB_304000_NS8EqualityEEEPlJSF_EEE10hipError_tPvRmT3_T4_T5_T6_T7_T9_mT8_P12ihipStream_tbDpT10_ENKUlT_T0_E_clISt17integral_constantIbLb0EES1A_EEDaS15_S16_EUlS15_E_NS1_11comp_targetILNS1_3genE5ELNS1_11target_archE942ELNS1_3gpuE9ELNS1_3repE0EEENS1_30default_config_static_selectorELNS0_4arch9wavefront6targetE0EEEvT1_
	.p2align	8
	.type	_ZN7rocprim17ROCPRIM_400000_NS6detail17trampoline_kernelINS0_14default_configENS1_25partition_config_selectorILNS1_17partition_subalgoE9EiibEEZZNS1_14partition_implILS5_9ELb0ES3_jPKiN6thrust23THRUST_200600_302600_NS17counting_iteratorIiNSB_11use_defaultESD_SD_EEPNS0_10empty_typeENS0_5tupleIJPiSF_EEENSH_IJSI_SG_EEENS0_18inequality_wrapperIN6hipcub16HIPCUB_304000_NS8EqualityEEEPlJSF_EEE10hipError_tPvRmT3_T4_T5_T6_T7_T9_mT8_P12ihipStream_tbDpT10_ENKUlT_T0_E_clISt17integral_constantIbLb0EES1A_EEDaS15_S16_EUlS15_E_NS1_11comp_targetILNS1_3genE5ELNS1_11target_archE942ELNS1_3gpuE9ELNS1_3repE0EEENS1_30default_config_static_selectorELNS0_4arch9wavefront6targetE0EEEvT1_,@function
_ZN7rocprim17ROCPRIM_400000_NS6detail17trampoline_kernelINS0_14default_configENS1_25partition_config_selectorILNS1_17partition_subalgoE9EiibEEZZNS1_14partition_implILS5_9ELb0ES3_jPKiN6thrust23THRUST_200600_302600_NS17counting_iteratorIiNSB_11use_defaultESD_SD_EEPNS0_10empty_typeENS0_5tupleIJPiSF_EEENSH_IJSI_SG_EEENS0_18inequality_wrapperIN6hipcub16HIPCUB_304000_NS8EqualityEEEPlJSF_EEE10hipError_tPvRmT3_T4_T5_T6_T7_T9_mT8_P12ihipStream_tbDpT10_ENKUlT_T0_E_clISt17integral_constantIbLb0EES1A_EEDaS15_S16_EUlS15_E_NS1_11comp_targetILNS1_3genE5ELNS1_11target_archE942ELNS1_3gpuE9ELNS1_3repE0EEENS1_30default_config_static_selectorELNS0_4arch9wavefront6targetE0EEEvT1_: ; @_ZN7rocprim17ROCPRIM_400000_NS6detail17trampoline_kernelINS0_14default_configENS1_25partition_config_selectorILNS1_17partition_subalgoE9EiibEEZZNS1_14partition_implILS5_9ELb0ES3_jPKiN6thrust23THRUST_200600_302600_NS17counting_iteratorIiNSB_11use_defaultESD_SD_EEPNS0_10empty_typeENS0_5tupleIJPiSF_EEENSH_IJSI_SG_EEENS0_18inequality_wrapperIN6hipcub16HIPCUB_304000_NS8EqualityEEEPlJSF_EEE10hipError_tPvRmT3_T4_T5_T6_T7_T9_mT8_P12ihipStream_tbDpT10_ENKUlT_T0_E_clISt17integral_constantIbLb0EES1A_EEDaS15_S16_EUlS15_E_NS1_11comp_targetILNS1_3genE5ELNS1_11target_archE942ELNS1_3gpuE9ELNS1_3repE0EEENS1_30default_config_static_selectorELNS0_4arch9wavefront6targetE0EEEvT1_
; %bb.0:
	.section	.rodata,"a",@progbits
	.p2align	6, 0x0
	.amdhsa_kernel _ZN7rocprim17ROCPRIM_400000_NS6detail17trampoline_kernelINS0_14default_configENS1_25partition_config_selectorILNS1_17partition_subalgoE9EiibEEZZNS1_14partition_implILS5_9ELb0ES3_jPKiN6thrust23THRUST_200600_302600_NS17counting_iteratorIiNSB_11use_defaultESD_SD_EEPNS0_10empty_typeENS0_5tupleIJPiSF_EEENSH_IJSI_SG_EEENS0_18inequality_wrapperIN6hipcub16HIPCUB_304000_NS8EqualityEEEPlJSF_EEE10hipError_tPvRmT3_T4_T5_T6_T7_T9_mT8_P12ihipStream_tbDpT10_ENKUlT_T0_E_clISt17integral_constantIbLb0EES1A_EEDaS15_S16_EUlS15_E_NS1_11comp_targetILNS1_3genE5ELNS1_11target_archE942ELNS1_3gpuE9ELNS1_3repE0EEENS1_30default_config_static_selectorELNS0_4arch9wavefront6targetE0EEEvT1_
		.amdhsa_group_segment_fixed_size 0
		.amdhsa_private_segment_fixed_size 0
		.amdhsa_kernarg_size 112
		.amdhsa_user_sgpr_count 2
		.amdhsa_user_sgpr_dispatch_ptr 0
		.amdhsa_user_sgpr_queue_ptr 0
		.amdhsa_user_sgpr_kernarg_segment_ptr 1
		.amdhsa_user_sgpr_dispatch_id 0
		.amdhsa_user_sgpr_kernarg_preload_length 0
		.amdhsa_user_sgpr_kernarg_preload_offset 0
		.amdhsa_user_sgpr_private_segment_size 0
		.amdhsa_wavefront_size32 1
		.amdhsa_uses_dynamic_stack 0
		.amdhsa_enable_private_segment 0
		.amdhsa_system_sgpr_workgroup_id_x 1
		.amdhsa_system_sgpr_workgroup_id_y 0
		.amdhsa_system_sgpr_workgroup_id_z 0
		.amdhsa_system_sgpr_workgroup_info 0
		.amdhsa_system_vgpr_workitem_id 0
		.amdhsa_next_free_vgpr 1
		.amdhsa_next_free_sgpr 1
		.amdhsa_named_barrier_count 0
		.amdhsa_reserve_vcc 0
		.amdhsa_float_round_mode_32 0
		.amdhsa_float_round_mode_16_64 0
		.amdhsa_float_denorm_mode_32 3
		.amdhsa_float_denorm_mode_16_64 3
		.amdhsa_fp16_overflow 0
		.amdhsa_memory_ordered 1
		.amdhsa_forward_progress 1
		.amdhsa_inst_pref_size 0
		.amdhsa_round_robin_scheduling 0
		.amdhsa_exception_fp_ieee_invalid_op 0
		.amdhsa_exception_fp_denorm_src 0
		.amdhsa_exception_fp_ieee_div_zero 0
		.amdhsa_exception_fp_ieee_overflow 0
		.amdhsa_exception_fp_ieee_underflow 0
		.amdhsa_exception_fp_ieee_inexact 0
		.amdhsa_exception_int_div_zero 0
	.end_amdhsa_kernel
	.section	.text._ZN7rocprim17ROCPRIM_400000_NS6detail17trampoline_kernelINS0_14default_configENS1_25partition_config_selectorILNS1_17partition_subalgoE9EiibEEZZNS1_14partition_implILS5_9ELb0ES3_jPKiN6thrust23THRUST_200600_302600_NS17counting_iteratorIiNSB_11use_defaultESD_SD_EEPNS0_10empty_typeENS0_5tupleIJPiSF_EEENSH_IJSI_SG_EEENS0_18inequality_wrapperIN6hipcub16HIPCUB_304000_NS8EqualityEEEPlJSF_EEE10hipError_tPvRmT3_T4_T5_T6_T7_T9_mT8_P12ihipStream_tbDpT10_ENKUlT_T0_E_clISt17integral_constantIbLb0EES1A_EEDaS15_S16_EUlS15_E_NS1_11comp_targetILNS1_3genE5ELNS1_11target_archE942ELNS1_3gpuE9ELNS1_3repE0EEENS1_30default_config_static_selectorELNS0_4arch9wavefront6targetE0EEEvT1_,"axG",@progbits,_ZN7rocprim17ROCPRIM_400000_NS6detail17trampoline_kernelINS0_14default_configENS1_25partition_config_selectorILNS1_17partition_subalgoE9EiibEEZZNS1_14partition_implILS5_9ELb0ES3_jPKiN6thrust23THRUST_200600_302600_NS17counting_iteratorIiNSB_11use_defaultESD_SD_EEPNS0_10empty_typeENS0_5tupleIJPiSF_EEENSH_IJSI_SG_EEENS0_18inequality_wrapperIN6hipcub16HIPCUB_304000_NS8EqualityEEEPlJSF_EEE10hipError_tPvRmT3_T4_T5_T6_T7_T9_mT8_P12ihipStream_tbDpT10_ENKUlT_T0_E_clISt17integral_constantIbLb0EES1A_EEDaS15_S16_EUlS15_E_NS1_11comp_targetILNS1_3genE5ELNS1_11target_archE942ELNS1_3gpuE9ELNS1_3repE0EEENS1_30default_config_static_selectorELNS0_4arch9wavefront6targetE0EEEvT1_,comdat
.Lfunc_end2:
	.size	_ZN7rocprim17ROCPRIM_400000_NS6detail17trampoline_kernelINS0_14default_configENS1_25partition_config_selectorILNS1_17partition_subalgoE9EiibEEZZNS1_14partition_implILS5_9ELb0ES3_jPKiN6thrust23THRUST_200600_302600_NS17counting_iteratorIiNSB_11use_defaultESD_SD_EEPNS0_10empty_typeENS0_5tupleIJPiSF_EEENSH_IJSI_SG_EEENS0_18inequality_wrapperIN6hipcub16HIPCUB_304000_NS8EqualityEEEPlJSF_EEE10hipError_tPvRmT3_T4_T5_T6_T7_T9_mT8_P12ihipStream_tbDpT10_ENKUlT_T0_E_clISt17integral_constantIbLb0EES1A_EEDaS15_S16_EUlS15_E_NS1_11comp_targetILNS1_3genE5ELNS1_11target_archE942ELNS1_3gpuE9ELNS1_3repE0EEENS1_30default_config_static_selectorELNS0_4arch9wavefront6targetE0EEEvT1_, .Lfunc_end2-_ZN7rocprim17ROCPRIM_400000_NS6detail17trampoline_kernelINS0_14default_configENS1_25partition_config_selectorILNS1_17partition_subalgoE9EiibEEZZNS1_14partition_implILS5_9ELb0ES3_jPKiN6thrust23THRUST_200600_302600_NS17counting_iteratorIiNSB_11use_defaultESD_SD_EEPNS0_10empty_typeENS0_5tupleIJPiSF_EEENSH_IJSI_SG_EEENS0_18inequality_wrapperIN6hipcub16HIPCUB_304000_NS8EqualityEEEPlJSF_EEE10hipError_tPvRmT3_T4_T5_T6_T7_T9_mT8_P12ihipStream_tbDpT10_ENKUlT_T0_E_clISt17integral_constantIbLb0EES1A_EEDaS15_S16_EUlS15_E_NS1_11comp_targetILNS1_3genE5ELNS1_11target_archE942ELNS1_3gpuE9ELNS1_3repE0EEENS1_30default_config_static_selectorELNS0_4arch9wavefront6targetE0EEEvT1_
                                        ; -- End function
	.set _ZN7rocprim17ROCPRIM_400000_NS6detail17trampoline_kernelINS0_14default_configENS1_25partition_config_selectorILNS1_17partition_subalgoE9EiibEEZZNS1_14partition_implILS5_9ELb0ES3_jPKiN6thrust23THRUST_200600_302600_NS17counting_iteratorIiNSB_11use_defaultESD_SD_EEPNS0_10empty_typeENS0_5tupleIJPiSF_EEENSH_IJSI_SG_EEENS0_18inequality_wrapperIN6hipcub16HIPCUB_304000_NS8EqualityEEEPlJSF_EEE10hipError_tPvRmT3_T4_T5_T6_T7_T9_mT8_P12ihipStream_tbDpT10_ENKUlT_T0_E_clISt17integral_constantIbLb0EES1A_EEDaS15_S16_EUlS15_E_NS1_11comp_targetILNS1_3genE5ELNS1_11target_archE942ELNS1_3gpuE9ELNS1_3repE0EEENS1_30default_config_static_selectorELNS0_4arch9wavefront6targetE0EEEvT1_.num_vgpr, 0
	.set _ZN7rocprim17ROCPRIM_400000_NS6detail17trampoline_kernelINS0_14default_configENS1_25partition_config_selectorILNS1_17partition_subalgoE9EiibEEZZNS1_14partition_implILS5_9ELb0ES3_jPKiN6thrust23THRUST_200600_302600_NS17counting_iteratorIiNSB_11use_defaultESD_SD_EEPNS0_10empty_typeENS0_5tupleIJPiSF_EEENSH_IJSI_SG_EEENS0_18inequality_wrapperIN6hipcub16HIPCUB_304000_NS8EqualityEEEPlJSF_EEE10hipError_tPvRmT3_T4_T5_T6_T7_T9_mT8_P12ihipStream_tbDpT10_ENKUlT_T0_E_clISt17integral_constantIbLb0EES1A_EEDaS15_S16_EUlS15_E_NS1_11comp_targetILNS1_3genE5ELNS1_11target_archE942ELNS1_3gpuE9ELNS1_3repE0EEENS1_30default_config_static_selectorELNS0_4arch9wavefront6targetE0EEEvT1_.num_agpr, 0
	.set _ZN7rocprim17ROCPRIM_400000_NS6detail17trampoline_kernelINS0_14default_configENS1_25partition_config_selectorILNS1_17partition_subalgoE9EiibEEZZNS1_14partition_implILS5_9ELb0ES3_jPKiN6thrust23THRUST_200600_302600_NS17counting_iteratorIiNSB_11use_defaultESD_SD_EEPNS0_10empty_typeENS0_5tupleIJPiSF_EEENSH_IJSI_SG_EEENS0_18inequality_wrapperIN6hipcub16HIPCUB_304000_NS8EqualityEEEPlJSF_EEE10hipError_tPvRmT3_T4_T5_T6_T7_T9_mT8_P12ihipStream_tbDpT10_ENKUlT_T0_E_clISt17integral_constantIbLb0EES1A_EEDaS15_S16_EUlS15_E_NS1_11comp_targetILNS1_3genE5ELNS1_11target_archE942ELNS1_3gpuE9ELNS1_3repE0EEENS1_30default_config_static_selectorELNS0_4arch9wavefront6targetE0EEEvT1_.numbered_sgpr, 0
	.set _ZN7rocprim17ROCPRIM_400000_NS6detail17trampoline_kernelINS0_14default_configENS1_25partition_config_selectorILNS1_17partition_subalgoE9EiibEEZZNS1_14partition_implILS5_9ELb0ES3_jPKiN6thrust23THRUST_200600_302600_NS17counting_iteratorIiNSB_11use_defaultESD_SD_EEPNS0_10empty_typeENS0_5tupleIJPiSF_EEENSH_IJSI_SG_EEENS0_18inequality_wrapperIN6hipcub16HIPCUB_304000_NS8EqualityEEEPlJSF_EEE10hipError_tPvRmT3_T4_T5_T6_T7_T9_mT8_P12ihipStream_tbDpT10_ENKUlT_T0_E_clISt17integral_constantIbLb0EES1A_EEDaS15_S16_EUlS15_E_NS1_11comp_targetILNS1_3genE5ELNS1_11target_archE942ELNS1_3gpuE9ELNS1_3repE0EEENS1_30default_config_static_selectorELNS0_4arch9wavefront6targetE0EEEvT1_.num_named_barrier, 0
	.set _ZN7rocprim17ROCPRIM_400000_NS6detail17trampoline_kernelINS0_14default_configENS1_25partition_config_selectorILNS1_17partition_subalgoE9EiibEEZZNS1_14partition_implILS5_9ELb0ES3_jPKiN6thrust23THRUST_200600_302600_NS17counting_iteratorIiNSB_11use_defaultESD_SD_EEPNS0_10empty_typeENS0_5tupleIJPiSF_EEENSH_IJSI_SG_EEENS0_18inequality_wrapperIN6hipcub16HIPCUB_304000_NS8EqualityEEEPlJSF_EEE10hipError_tPvRmT3_T4_T5_T6_T7_T9_mT8_P12ihipStream_tbDpT10_ENKUlT_T0_E_clISt17integral_constantIbLb0EES1A_EEDaS15_S16_EUlS15_E_NS1_11comp_targetILNS1_3genE5ELNS1_11target_archE942ELNS1_3gpuE9ELNS1_3repE0EEENS1_30default_config_static_selectorELNS0_4arch9wavefront6targetE0EEEvT1_.private_seg_size, 0
	.set _ZN7rocprim17ROCPRIM_400000_NS6detail17trampoline_kernelINS0_14default_configENS1_25partition_config_selectorILNS1_17partition_subalgoE9EiibEEZZNS1_14partition_implILS5_9ELb0ES3_jPKiN6thrust23THRUST_200600_302600_NS17counting_iteratorIiNSB_11use_defaultESD_SD_EEPNS0_10empty_typeENS0_5tupleIJPiSF_EEENSH_IJSI_SG_EEENS0_18inequality_wrapperIN6hipcub16HIPCUB_304000_NS8EqualityEEEPlJSF_EEE10hipError_tPvRmT3_T4_T5_T6_T7_T9_mT8_P12ihipStream_tbDpT10_ENKUlT_T0_E_clISt17integral_constantIbLb0EES1A_EEDaS15_S16_EUlS15_E_NS1_11comp_targetILNS1_3genE5ELNS1_11target_archE942ELNS1_3gpuE9ELNS1_3repE0EEENS1_30default_config_static_selectorELNS0_4arch9wavefront6targetE0EEEvT1_.uses_vcc, 0
	.set _ZN7rocprim17ROCPRIM_400000_NS6detail17trampoline_kernelINS0_14default_configENS1_25partition_config_selectorILNS1_17partition_subalgoE9EiibEEZZNS1_14partition_implILS5_9ELb0ES3_jPKiN6thrust23THRUST_200600_302600_NS17counting_iteratorIiNSB_11use_defaultESD_SD_EEPNS0_10empty_typeENS0_5tupleIJPiSF_EEENSH_IJSI_SG_EEENS0_18inequality_wrapperIN6hipcub16HIPCUB_304000_NS8EqualityEEEPlJSF_EEE10hipError_tPvRmT3_T4_T5_T6_T7_T9_mT8_P12ihipStream_tbDpT10_ENKUlT_T0_E_clISt17integral_constantIbLb0EES1A_EEDaS15_S16_EUlS15_E_NS1_11comp_targetILNS1_3genE5ELNS1_11target_archE942ELNS1_3gpuE9ELNS1_3repE0EEENS1_30default_config_static_selectorELNS0_4arch9wavefront6targetE0EEEvT1_.uses_flat_scratch, 0
	.set _ZN7rocprim17ROCPRIM_400000_NS6detail17trampoline_kernelINS0_14default_configENS1_25partition_config_selectorILNS1_17partition_subalgoE9EiibEEZZNS1_14partition_implILS5_9ELb0ES3_jPKiN6thrust23THRUST_200600_302600_NS17counting_iteratorIiNSB_11use_defaultESD_SD_EEPNS0_10empty_typeENS0_5tupleIJPiSF_EEENSH_IJSI_SG_EEENS0_18inequality_wrapperIN6hipcub16HIPCUB_304000_NS8EqualityEEEPlJSF_EEE10hipError_tPvRmT3_T4_T5_T6_T7_T9_mT8_P12ihipStream_tbDpT10_ENKUlT_T0_E_clISt17integral_constantIbLb0EES1A_EEDaS15_S16_EUlS15_E_NS1_11comp_targetILNS1_3genE5ELNS1_11target_archE942ELNS1_3gpuE9ELNS1_3repE0EEENS1_30default_config_static_selectorELNS0_4arch9wavefront6targetE0EEEvT1_.has_dyn_sized_stack, 0
	.set _ZN7rocprim17ROCPRIM_400000_NS6detail17trampoline_kernelINS0_14default_configENS1_25partition_config_selectorILNS1_17partition_subalgoE9EiibEEZZNS1_14partition_implILS5_9ELb0ES3_jPKiN6thrust23THRUST_200600_302600_NS17counting_iteratorIiNSB_11use_defaultESD_SD_EEPNS0_10empty_typeENS0_5tupleIJPiSF_EEENSH_IJSI_SG_EEENS0_18inequality_wrapperIN6hipcub16HIPCUB_304000_NS8EqualityEEEPlJSF_EEE10hipError_tPvRmT3_T4_T5_T6_T7_T9_mT8_P12ihipStream_tbDpT10_ENKUlT_T0_E_clISt17integral_constantIbLb0EES1A_EEDaS15_S16_EUlS15_E_NS1_11comp_targetILNS1_3genE5ELNS1_11target_archE942ELNS1_3gpuE9ELNS1_3repE0EEENS1_30default_config_static_selectorELNS0_4arch9wavefront6targetE0EEEvT1_.has_recursion, 0
	.set _ZN7rocprim17ROCPRIM_400000_NS6detail17trampoline_kernelINS0_14default_configENS1_25partition_config_selectorILNS1_17partition_subalgoE9EiibEEZZNS1_14partition_implILS5_9ELb0ES3_jPKiN6thrust23THRUST_200600_302600_NS17counting_iteratorIiNSB_11use_defaultESD_SD_EEPNS0_10empty_typeENS0_5tupleIJPiSF_EEENSH_IJSI_SG_EEENS0_18inequality_wrapperIN6hipcub16HIPCUB_304000_NS8EqualityEEEPlJSF_EEE10hipError_tPvRmT3_T4_T5_T6_T7_T9_mT8_P12ihipStream_tbDpT10_ENKUlT_T0_E_clISt17integral_constantIbLb0EES1A_EEDaS15_S16_EUlS15_E_NS1_11comp_targetILNS1_3genE5ELNS1_11target_archE942ELNS1_3gpuE9ELNS1_3repE0EEENS1_30default_config_static_selectorELNS0_4arch9wavefront6targetE0EEEvT1_.has_indirect_call, 0
	.section	.AMDGPU.csdata,"",@progbits
; Kernel info:
; codeLenInByte = 0
; TotalNumSgprs: 0
; NumVgprs: 0
; ScratchSize: 0
; MemoryBound: 0
; FloatMode: 240
; IeeeMode: 1
; LDSByteSize: 0 bytes/workgroup (compile time only)
; SGPRBlocks: 0
; VGPRBlocks: 0
; NumSGPRsForWavesPerEU: 1
; NumVGPRsForWavesPerEU: 1
; NamedBarCnt: 0
; Occupancy: 16
; WaveLimiterHint : 0
; COMPUTE_PGM_RSRC2:SCRATCH_EN: 0
; COMPUTE_PGM_RSRC2:USER_SGPR: 2
; COMPUTE_PGM_RSRC2:TRAP_HANDLER: 0
; COMPUTE_PGM_RSRC2:TGID_X_EN: 1
; COMPUTE_PGM_RSRC2:TGID_Y_EN: 0
; COMPUTE_PGM_RSRC2:TGID_Z_EN: 0
; COMPUTE_PGM_RSRC2:TIDIG_COMP_CNT: 0
	.section	.text._ZN7rocprim17ROCPRIM_400000_NS6detail17trampoline_kernelINS0_14default_configENS1_25partition_config_selectorILNS1_17partition_subalgoE9EiibEEZZNS1_14partition_implILS5_9ELb0ES3_jPKiN6thrust23THRUST_200600_302600_NS17counting_iteratorIiNSB_11use_defaultESD_SD_EEPNS0_10empty_typeENS0_5tupleIJPiSF_EEENSH_IJSI_SG_EEENS0_18inequality_wrapperIN6hipcub16HIPCUB_304000_NS8EqualityEEEPlJSF_EEE10hipError_tPvRmT3_T4_T5_T6_T7_T9_mT8_P12ihipStream_tbDpT10_ENKUlT_T0_E_clISt17integral_constantIbLb0EES1A_EEDaS15_S16_EUlS15_E_NS1_11comp_targetILNS1_3genE4ELNS1_11target_archE910ELNS1_3gpuE8ELNS1_3repE0EEENS1_30default_config_static_selectorELNS0_4arch9wavefront6targetE0EEEvT1_,"axG",@progbits,_ZN7rocprim17ROCPRIM_400000_NS6detail17trampoline_kernelINS0_14default_configENS1_25partition_config_selectorILNS1_17partition_subalgoE9EiibEEZZNS1_14partition_implILS5_9ELb0ES3_jPKiN6thrust23THRUST_200600_302600_NS17counting_iteratorIiNSB_11use_defaultESD_SD_EEPNS0_10empty_typeENS0_5tupleIJPiSF_EEENSH_IJSI_SG_EEENS0_18inequality_wrapperIN6hipcub16HIPCUB_304000_NS8EqualityEEEPlJSF_EEE10hipError_tPvRmT3_T4_T5_T6_T7_T9_mT8_P12ihipStream_tbDpT10_ENKUlT_T0_E_clISt17integral_constantIbLb0EES1A_EEDaS15_S16_EUlS15_E_NS1_11comp_targetILNS1_3genE4ELNS1_11target_archE910ELNS1_3gpuE8ELNS1_3repE0EEENS1_30default_config_static_selectorELNS0_4arch9wavefront6targetE0EEEvT1_,comdat
	.protected	_ZN7rocprim17ROCPRIM_400000_NS6detail17trampoline_kernelINS0_14default_configENS1_25partition_config_selectorILNS1_17partition_subalgoE9EiibEEZZNS1_14partition_implILS5_9ELb0ES3_jPKiN6thrust23THRUST_200600_302600_NS17counting_iteratorIiNSB_11use_defaultESD_SD_EEPNS0_10empty_typeENS0_5tupleIJPiSF_EEENSH_IJSI_SG_EEENS0_18inequality_wrapperIN6hipcub16HIPCUB_304000_NS8EqualityEEEPlJSF_EEE10hipError_tPvRmT3_T4_T5_T6_T7_T9_mT8_P12ihipStream_tbDpT10_ENKUlT_T0_E_clISt17integral_constantIbLb0EES1A_EEDaS15_S16_EUlS15_E_NS1_11comp_targetILNS1_3genE4ELNS1_11target_archE910ELNS1_3gpuE8ELNS1_3repE0EEENS1_30default_config_static_selectorELNS0_4arch9wavefront6targetE0EEEvT1_ ; -- Begin function _ZN7rocprim17ROCPRIM_400000_NS6detail17trampoline_kernelINS0_14default_configENS1_25partition_config_selectorILNS1_17partition_subalgoE9EiibEEZZNS1_14partition_implILS5_9ELb0ES3_jPKiN6thrust23THRUST_200600_302600_NS17counting_iteratorIiNSB_11use_defaultESD_SD_EEPNS0_10empty_typeENS0_5tupleIJPiSF_EEENSH_IJSI_SG_EEENS0_18inequality_wrapperIN6hipcub16HIPCUB_304000_NS8EqualityEEEPlJSF_EEE10hipError_tPvRmT3_T4_T5_T6_T7_T9_mT8_P12ihipStream_tbDpT10_ENKUlT_T0_E_clISt17integral_constantIbLb0EES1A_EEDaS15_S16_EUlS15_E_NS1_11comp_targetILNS1_3genE4ELNS1_11target_archE910ELNS1_3gpuE8ELNS1_3repE0EEENS1_30default_config_static_selectorELNS0_4arch9wavefront6targetE0EEEvT1_
	.globl	_ZN7rocprim17ROCPRIM_400000_NS6detail17trampoline_kernelINS0_14default_configENS1_25partition_config_selectorILNS1_17partition_subalgoE9EiibEEZZNS1_14partition_implILS5_9ELb0ES3_jPKiN6thrust23THRUST_200600_302600_NS17counting_iteratorIiNSB_11use_defaultESD_SD_EEPNS0_10empty_typeENS0_5tupleIJPiSF_EEENSH_IJSI_SG_EEENS0_18inequality_wrapperIN6hipcub16HIPCUB_304000_NS8EqualityEEEPlJSF_EEE10hipError_tPvRmT3_T4_T5_T6_T7_T9_mT8_P12ihipStream_tbDpT10_ENKUlT_T0_E_clISt17integral_constantIbLb0EES1A_EEDaS15_S16_EUlS15_E_NS1_11comp_targetILNS1_3genE4ELNS1_11target_archE910ELNS1_3gpuE8ELNS1_3repE0EEENS1_30default_config_static_selectorELNS0_4arch9wavefront6targetE0EEEvT1_
	.p2align	8
	.type	_ZN7rocprim17ROCPRIM_400000_NS6detail17trampoline_kernelINS0_14default_configENS1_25partition_config_selectorILNS1_17partition_subalgoE9EiibEEZZNS1_14partition_implILS5_9ELb0ES3_jPKiN6thrust23THRUST_200600_302600_NS17counting_iteratorIiNSB_11use_defaultESD_SD_EEPNS0_10empty_typeENS0_5tupleIJPiSF_EEENSH_IJSI_SG_EEENS0_18inequality_wrapperIN6hipcub16HIPCUB_304000_NS8EqualityEEEPlJSF_EEE10hipError_tPvRmT3_T4_T5_T6_T7_T9_mT8_P12ihipStream_tbDpT10_ENKUlT_T0_E_clISt17integral_constantIbLb0EES1A_EEDaS15_S16_EUlS15_E_NS1_11comp_targetILNS1_3genE4ELNS1_11target_archE910ELNS1_3gpuE8ELNS1_3repE0EEENS1_30default_config_static_selectorELNS0_4arch9wavefront6targetE0EEEvT1_,@function
_ZN7rocprim17ROCPRIM_400000_NS6detail17trampoline_kernelINS0_14default_configENS1_25partition_config_selectorILNS1_17partition_subalgoE9EiibEEZZNS1_14partition_implILS5_9ELb0ES3_jPKiN6thrust23THRUST_200600_302600_NS17counting_iteratorIiNSB_11use_defaultESD_SD_EEPNS0_10empty_typeENS0_5tupleIJPiSF_EEENSH_IJSI_SG_EEENS0_18inequality_wrapperIN6hipcub16HIPCUB_304000_NS8EqualityEEEPlJSF_EEE10hipError_tPvRmT3_T4_T5_T6_T7_T9_mT8_P12ihipStream_tbDpT10_ENKUlT_T0_E_clISt17integral_constantIbLb0EES1A_EEDaS15_S16_EUlS15_E_NS1_11comp_targetILNS1_3genE4ELNS1_11target_archE910ELNS1_3gpuE8ELNS1_3repE0EEENS1_30default_config_static_selectorELNS0_4arch9wavefront6targetE0EEEvT1_: ; @_ZN7rocprim17ROCPRIM_400000_NS6detail17trampoline_kernelINS0_14default_configENS1_25partition_config_selectorILNS1_17partition_subalgoE9EiibEEZZNS1_14partition_implILS5_9ELb0ES3_jPKiN6thrust23THRUST_200600_302600_NS17counting_iteratorIiNSB_11use_defaultESD_SD_EEPNS0_10empty_typeENS0_5tupleIJPiSF_EEENSH_IJSI_SG_EEENS0_18inequality_wrapperIN6hipcub16HIPCUB_304000_NS8EqualityEEEPlJSF_EEE10hipError_tPvRmT3_T4_T5_T6_T7_T9_mT8_P12ihipStream_tbDpT10_ENKUlT_T0_E_clISt17integral_constantIbLb0EES1A_EEDaS15_S16_EUlS15_E_NS1_11comp_targetILNS1_3genE4ELNS1_11target_archE910ELNS1_3gpuE8ELNS1_3repE0EEENS1_30default_config_static_selectorELNS0_4arch9wavefront6targetE0EEEvT1_
; %bb.0:
	.section	.rodata,"a",@progbits
	.p2align	6, 0x0
	.amdhsa_kernel _ZN7rocprim17ROCPRIM_400000_NS6detail17trampoline_kernelINS0_14default_configENS1_25partition_config_selectorILNS1_17partition_subalgoE9EiibEEZZNS1_14partition_implILS5_9ELb0ES3_jPKiN6thrust23THRUST_200600_302600_NS17counting_iteratorIiNSB_11use_defaultESD_SD_EEPNS0_10empty_typeENS0_5tupleIJPiSF_EEENSH_IJSI_SG_EEENS0_18inequality_wrapperIN6hipcub16HIPCUB_304000_NS8EqualityEEEPlJSF_EEE10hipError_tPvRmT3_T4_T5_T6_T7_T9_mT8_P12ihipStream_tbDpT10_ENKUlT_T0_E_clISt17integral_constantIbLb0EES1A_EEDaS15_S16_EUlS15_E_NS1_11comp_targetILNS1_3genE4ELNS1_11target_archE910ELNS1_3gpuE8ELNS1_3repE0EEENS1_30default_config_static_selectorELNS0_4arch9wavefront6targetE0EEEvT1_
		.amdhsa_group_segment_fixed_size 0
		.amdhsa_private_segment_fixed_size 0
		.amdhsa_kernarg_size 112
		.amdhsa_user_sgpr_count 2
		.amdhsa_user_sgpr_dispatch_ptr 0
		.amdhsa_user_sgpr_queue_ptr 0
		.amdhsa_user_sgpr_kernarg_segment_ptr 1
		.amdhsa_user_sgpr_dispatch_id 0
		.amdhsa_user_sgpr_kernarg_preload_length 0
		.amdhsa_user_sgpr_kernarg_preload_offset 0
		.amdhsa_user_sgpr_private_segment_size 0
		.amdhsa_wavefront_size32 1
		.amdhsa_uses_dynamic_stack 0
		.amdhsa_enable_private_segment 0
		.amdhsa_system_sgpr_workgroup_id_x 1
		.amdhsa_system_sgpr_workgroup_id_y 0
		.amdhsa_system_sgpr_workgroup_id_z 0
		.amdhsa_system_sgpr_workgroup_info 0
		.amdhsa_system_vgpr_workitem_id 0
		.amdhsa_next_free_vgpr 1
		.amdhsa_next_free_sgpr 1
		.amdhsa_named_barrier_count 0
		.amdhsa_reserve_vcc 0
		.amdhsa_float_round_mode_32 0
		.amdhsa_float_round_mode_16_64 0
		.amdhsa_float_denorm_mode_32 3
		.amdhsa_float_denorm_mode_16_64 3
		.amdhsa_fp16_overflow 0
		.amdhsa_memory_ordered 1
		.amdhsa_forward_progress 1
		.amdhsa_inst_pref_size 0
		.amdhsa_round_robin_scheduling 0
		.amdhsa_exception_fp_ieee_invalid_op 0
		.amdhsa_exception_fp_denorm_src 0
		.amdhsa_exception_fp_ieee_div_zero 0
		.amdhsa_exception_fp_ieee_overflow 0
		.amdhsa_exception_fp_ieee_underflow 0
		.amdhsa_exception_fp_ieee_inexact 0
		.amdhsa_exception_int_div_zero 0
	.end_amdhsa_kernel
	.section	.text._ZN7rocprim17ROCPRIM_400000_NS6detail17trampoline_kernelINS0_14default_configENS1_25partition_config_selectorILNS1_17partition_subalgoE9EiibEEZZNS1_14partition_implILS5_9ELb0ES3_jPKiN6thrust23THRUST_200600_302600_NS17counting_iteratorIiNSB_11use_defaultESD_SD_EEPNS0_10empty_typeENS0_5tupleIJPiSF_EEENSH_IJSI_SG_EEENS0_18inequality_wrapperIN6hipcub16HIPCUB_304000_NS8EqualityEEEPlJSF_EEE10hipError_tPvRmT3_T4_T5_T6_T7_T9_mT8_P12ihipStream_tbDpT10_ENKUlT_T0_E_clISt17integral_constantIbLb0EES1A_EEDaS15_S16_EUlS15_E_NS1_11comp_targetILNS1_3genE4ELNS1_11target_archE910ELNS1_3gpuE8ELNS1_3repE0EEENS1_30default_config_static_selectorELNS0_4arch9wavefront6targetE0EEEvT1_,"axG",@progbits,_ZN7rocprim17ROCPRIM_400000_NS6detail17trampoline_kernelINS0_14default_configENS1_25partition_config_selectorILNS1_17partition_subalgoE9EiibEEZZNS1_14partition_implILS5_9ELb0ES3_jPKiN6thrust23THRUST_200600_302600_NS17counting_iteratorIiNSB_11use_defaultESD_SD_EEPNS0_10empty_typeENS0_5tupleIJPiSF_EEENSH_IJSI_SG_EEENS0_18inequality_wrapperIN6hipcub16HIPCUB_304000_NS8EqualityEEEPlJSF_EEE10hipError_tPvRmT3_T4_T5_T6_T7_T9_mT8_P12ihipStream_tbDpT10_ENKUlT_T0_E_clISt17integral_constantIbLb0EES1A_EEDaS15_S16_EUlS15_E_NS1_11comp_targetILNS1_3genE4ELNS1_11target_archE910ELNS1_3gpuE8ELNS1_3repE0EEENS1_30default_config_static_selectorELNS0_4arch9wavefront6targetE0EEEvT1_,comdat
.Lfunc_end3:
	.size	_ZN7rocprim17ROCPRIM_400000_NS6detail17trampoline_kernelINS0_14default_configENS1_25partition_config_selectorILNS1_17partition_subalgoE9EiibEEZZNS1_14partition_implILS5_9ELb0ES3_jPKiN6thrust23THRUST_200600_302600_NS17counting_iteratorIiNSB_11use_defaultESD_SD_EEPNS0_10empty_typeENS0_5tupleIJPiSF_EEENSH_IJSI_SG_EEENS0_18inequality_wrapperIN6hipcub16HIPCUB_304000_NS8EqualityEEEPlJSF_EEE10hipError_tPvRmT3_T4_T5_T6_T7_T9_mT8_P12ihipStream_tbDpT10_ENKUlT_T0_E_clISt17integral_constantIbLb0EES1A_EEDaS15_S16_EUlS15_E_NS1_11comp_targetILNS1_3genE4ELNS1_11target_archE910ELNS1_3gpuE8ELNS1_3repE0EEENS1_30default_config_static_selectorELNS0_4arch9wavefront6targetE0EEEvT1_, .Lfunc_end3-_ZN7rocprim17ROCPRIM_400000_NS6detail17trampoline_kernelINS0_14default_configENS1_25partition_config_selectorILNS1_17partition_subalgoE9EiibEEZZNS1_14partition_implILS5_9ELb0ES3_jPKiN6thrust23THRUST_200600_302600_NS17counting_iteratorIiNSB_11use_defaultESD_SD_EEPNS0_10empty_typeENS0_5tupleIJPiSF_EEENSH_IJSI_SG_EEENS0_18inequality_wrapperIN6hipcub16HIPCUB_304000_NS8EqualityEEEPlJSF_EEE10hipError_tPvRmT3_T4_T5_T6_T7_T9_mT8_P12ihipStream_tbDpT10_ENKUlT_T0_E_clISt17integral_constantIbLb0EES1A_EEDaS15_S16_EUlS15_E_NS1_11comp_targetILNS1_3genE4ELNS1_11target_archE910ELNS1_3gpuE8ELNS1_3repE0EEENS1_30default_config_static_selectorELNS0_4arch9wavefront6targetE0EEEvT1_
                                        ; -- End function
	.set _ZN7rocprim17ROCPRIM_400000_NS6detail17trampoline_kernelINS0_14default_configENS1_25partition_config_selectorILNS1_17partition_subalgoE9EiibEEZZNS1_14partition_implILS5_9ELb0ES3_jPKiN6thrust23THRUST_200600_302600_NS17counting_iteratorIiNSB_11use_defaultESD_SD_EEPNS0_10empty_typeENS0_5tupleIJPiSF_EEENSH_IJSI_SG_EEENS0_18inequality_wrapperIN6hipcub16HIPCUB_304000_NS8EqualityEEEPlJSF_EEE10hipError_tPvRmT3_T4_T5_T6_T7_T9_mT8_P12ihipStream_tbDpT10_ENKUlT_T0_E_clISt17integral_constantIbLb0EES1A_EEDaS15_S16_EUlS15_E_NS1_11comp_targetILNS1_3genE4ELNS1_11target_archE910ELNS1_3gpuE8ELNS1_3repE0EEENS1_30default_config_static_selectorELNS0_4arch9wavefront6targetE0EEEvT1_.num_vgpr, 0
	.set _ZN7rocprim17ROCPRIM_400000_NS6detail17trampoline_kernelINS0_14default_configENS1_25partition_config_selectorILNS1_17partition_subalgoE9EiibEEZZNS1_14partition_implILS5_9ELb0ES3_jPKiN6thrust23THRUST_200600_302600_NS17counting_iteratorIiNSB_11use_defaultESD_SD_EEPNS0_10empty_typeENS0_5tupleIJPiSF_EEENSH_IJSI_SG_EEENS0_18inequality_wrapperIN6hipcub16HIPCUB_304000_NS8EqualityEEEPlJSF_EEE10hipError_tPvRmT3_T4_T5_T6_T7_T9_mT8_P12ihipStream_tbDpT10_ENKUlT_T0_E_clISt17integral_constantIbLb0EES1A_EEDaS15_S16_EUlS15_E_NS1_11comp_targetILNS1_3genE4ELNS1_11target_archE910ELNS1_3gpuE8ELNS1_3repE0EEENS1_30default_config_static_selectorELNS0_4arch9wavefront6targetE0EEEvT1_.num_agpr, 0
	.set _ZN7rocprim17ROCPRIM_400000_NS6detail17trampoline_kernelINS0_14default_configENS1_25partition_config_selectorILNS1_17partition_subalgoE9EiibEEZZNS1_14partition_implILS5_9ELb0ES3_jPKiN6thrust23THRUST_200600_302600_NS17counting_iteratorIiNSB_11use_defaultESD_SD_EEPNS0_10empty_typeENS0_5tupleIJPiSF_EEENSH_IJSI_SG_EEENS0_18inequality_wrapperIN6hipcub16HIPCUB_304000_NS8EqualityEEEPlJSF_EEE10hipError_tPvRmT3_T4_T5_T6_T7_T9_mT8_P12ihipStream_tbDpT10_ENKUlT_T0_E_clISt17integral_constantIbLb0EES1A_EEDaS15_S16_EUlS15_E_NS1_11comp_targetILNS1_3genE4ELNS1_11target_archE910ELNS1_3gpuE8ELNS1_3repE0EEENS1_30default_config_static_selectorELNS0_4arch9wavefront6targetE0EEEvT1_.numbered_sgpr, 0
	.set _ZN7rocprim17ROCPRIM_400000_NS6detail17trampoline_kernelINS0_14default_configENS1_25partition_config_selectorILNS1_17partition_subalgoE9EiibEEZZNS1_14partition_implILS5_9ELb0ES3_jPKiN6thrust23THRUST_200600_302600_NS17counting_iteratorIiNSB_11use_defaultESD_SD_EEPNS0_10empty_typeENS0_5tupleIJPiSF_EEENSH_IJSI_SG_EEENS0_18inequality_wrapperIN6hipcub16HIPCUB_304000_NS8EqualityEEEPlJSF_EEE10hipError_tPvRmT3_T4_T5_T6_T7_T9_mT8_P12ihipStream_tbDpT10_ENKUlT_T0_E_clISt17integral_constantIbLb0EES1A_EEDaS15_S16_EUlS15_E_NS1_11comp_targetILNS1_3genE4ELNS1_11target_archE910ELNS1_3gpuE8ELNS1_3repE0EEENS1_30default_config_static_selectorELNS0_4arch9wavefront6targetE0EEEvT1_.num_named_barrier, 0
	.set _ZN7rocprim17ROCPRIM_400000_NS6detail17trampoline_kernelINS0_14default_configENS1_25partition_config_selectorILNS1_17partition_subalgoE9EiibEEZZNS1_14partition_implILS5_9ELb0ES3_jPKiN6thrust23THRUST_200600_302600_NS17counting_iteratorIiNSB_11use_defaultESD_SD_EEPNS0_10empty_typeENS0_5tupleIJPiSF_EEENSH_IJSI_SG_EEENS0_18inequality_wrapperIN6hipcub16HIPCUB_304000_NS8EqualityEEEPlJSF_EEE10hipError_tPvRmT3_T4_T5_T6_T7_T9_mT8_P12ihipStream_tbDpT10_ENKUlT_T0_E_clISt17integral_constantIbLb0EES1A_EEDaS15_S16_EUlS15_E_NS1_11comp_targetILNS1_3genE4ELNS1_11target_archE910ELNS1_3gpuE8ELNS1_3repE0EEENS1_30default_config_static_selectorELNS0_4arch9wavefront6targetE0EEEvT1_.private_seg_size, 0
	.set _ZN7rocprim17ROCPRIM_400000_NS6detail17trampoline_kernelINS0_14default_configENS1_25partition_config_selectorILNS1_17partition_subalgoE9EiibEEZZNS1_14partition_implILS5_9ELb0ES3_jPKiN6thrust23THRUST_200600_302600_NS17counting_iteratorIiNSB_11use_defaultESD_SD_EEPNS0_10empty_typeENS0_5tupleIJPiSF_EEENSH_IJSI_SG_EEENS0_18inequality_wrapperIN6hipcub16HIPCUB_304000_NS8EqualityEEEPlJSF_EEE10hipError_tPvRmT3_T4_T5_T6_T7_T9_mT8_P12ihipStream_tbDpT10_ENKUlT_T0_E_clISt17integral_constantIbLb0EES1A_EEDaS15_S16_EUlS15_E_NS1_11comp_targetILNS1_3genE4ELNS1_11target_archE910ELNS1_3gpuE8ELNS1_3repE0EEENS1_30default_config_static_selectorELNS0_4arch9wavefront6targetE0EEEvT1_.uses_vcc, 0
	.set _ZN7rocprim17ROCPRIM_400000_NS6detail17trampoline_kernelINS0_14default_configENS1_25partition_config_selectorILNS1_17partition_subalgoE9EiibEEZZNS1_14partition_implILS5_9ELb0ES3_jPKiN6thrust23THRUST_200600_302600_NS17counting_iteratorIiNSB_11use_defaultESD_SD_EEPNS0_10empty_typeENS0_5tupleIJPiSF_EEENSH_IJSI_SG_EEENS0_18inequality_wrapperIN6hipcub16HIPCUB_304000_NS8EqualityEEEPlJSF_EEE10hipError_tPvRmT3_T4_T5_T6_T7_T9_mT8_P12ihipStream_tbDpT10_ENKUlT_T0_E_clISt17integral_constantIbLb0EES1A_EEDaS15_S16_EUlS15_E_NS1_11comp_targetILNS1_3genE4ELNS1_11target_archE910ELNS1_3gpuE8ELNS1_3repE0EEENS1_30default_config_static_selectorELNS0_4arch9wavefront6targetE0EEEvT1_.uses_flat_scratch, 0
	.set _ZN7rocprim17ROCPRIM_400000_NS6detail17trampoline_kernelINS0_14default_configENS1_25partition_config_selectorILNS1_17partition_subalgoE9EiibEEZZNS1_14partition_implILS5_9ELb0ES3_jPKiN6thrust23THRUST_200600_302600_NS17counting_iteratorIiNSB_11use_defaultESD_SD_EEPNS0_10empty_typeENS0_5tupleIJPiSF_EEENSH_IJSI_SG_EEENS0_18inequality_wrapperIN6hipcub16HIPCUB_304000_NS8EqualityEEEPlJSF_EEE10hipError_tPvRmT3_T4_T5_T6_T7_T9_mT8_P12ihipStream_tbDpT10_ENKUlT_T0_E_clISt17integral_constantIbLb0EES1A_EEDaS15_S16_EUlS15_E_NS1_11comp_targetILNS1_3genE4ELNS1_11target_archE910ELNS1_3gpuE8ELNS1_3repE0EEENS1_30default_config_static_selectorELNS0_4arch9wavefront6targetE0EEEvT1_.has_dyn_sized_stack, 0
	.set _ZN7rocprim17ROCPRIM_400000_NS6detail17trampoline_kernelINS0_14default_configENS1_25partition_config_selectorILNS1_17partition_subalgoE9EiibEEZZNS1_14partition_implILS5_9ELb0ES3_jPKiN6thrust23THRUST_200600_302600_NS17counting_iteratorIiNSB_11use_defaultESD_SD_EEPNS0_10empty_typeENS0_5tupleIJPiSF_EEENSH_IJSI_SG_EEENS0_18inequality_wrapperIN6hipcub16HIPCUB_304000_NS8EqualityEEEPlJSF_EEE10hipError_tPvRmT3_T4_T5_T6_T7_T9_mT8_P12ihipStream_tbDpT10_ENKUlT_T0_E_clISt17integral_constantIbLb0EES1A_EEDaS15_S16_EUlS15_E_NS1_11comp_targetILNS1_3genE4ELNS1_11target_archE910ELNS1_3gpuE8ELNS1_3repE0EEENS1_30default_config_static_selectorELNS0_4arch9wavefront6targetE0EEEvT1_.has_recursion, 0
	.set _ZN7rocprim17ROCPRIM_400000_NS6detail17trampoline_kernelINS0_14default_configENS1_25partition_config_selectorILNS1_17partition_subalgoE9EiibEEZZNS1_14partition_implILS5_9ELb0ES3_jPKiN6thrust23THRUST_200600_302600_NS17counting_iteratorIiNSB_11use_defaultESD_SD_EEPNS0_10empty_typeENS0_5tupleIJPiSF_EEENSH_IJSI_SG_EEENS0_18inequality_wrapperIN6hipcub16HIPCUB_304000_NS8EqualityEEEPlJSF_EEE10hipError_tPvRmT3_T4_T5_T6_T7_T9_mT8_P12ihipStream_tbDpT10_ENKUlT_T0_E_clISt17integral_constantIbLb0EES1A_EEDaS15_S16_EUlS15_E_NS1_11comp_targetILNS1_3genE4ELNS1_11target_archE910ELNS1_3gpuE8ELNS1_3repE0EEENS1_30default_config_static_selectorELNS0_4arch9wavefront6targetE0EEEvT1_.has_indirect_call, 0
	.section	.AMDGPU.csdata,"",@progbits
; Kernel info:
; codeLenInByte = 0
; TotalNumSgprs: 0
; NumVgprs: 0
; ScratchSize: 0
; MemoryBound: 0
; FloatMode: 240
; IeeeMode: 1
; LDSByteSize: 0 bytes/workgroup (compile time only)
; SGPRBlocks: 0
; VGPRBlocks: 0
; NumSGPRsForWavesPerEU: 1
; NumVGPRsForWavesPerEU: 1
; NamedBarCnt: 0
; Occupancy: 16
; WaveLimiterHint : 0
; COMPUTE_PGM_RSRC2:SCRATCH_EN: 0
; COMPUTE_PGM_RSRC2:USER_SGPR: 2
; COMPUTE_PGM_RSRC2:TRAP_HANDLER: 0
; COMPUTE_PGM_RSRC2:TGID_X_EN: 1
; COMPUTE_PGM_RSRC2:TGID_Y_EN: 0
; COMPUTE_PGM_RSRC2:TGID_Z_EN: 0
; COMPUTE_PGM_RSRC2:TIDIG_COMP_CNT: 0
	.section	.text._ZN7rocprim17ROCPRIM_400000_NS6detail17trampoline_kernelINS0_14default_configENS1_25partition_config_selectorILNS1_17partition_subalgoE9EiibEEZZNS1_14partition_implILS5_9ELb0ES3_jPKiN6thrust23THRUST_200600_302600_NS17counting_iteratorIiNSB_11use_defaultESD_SD_EEPNS0_10empty_typeENS0_5tupleIJPiSF_EEENSH_IJSI_SG_EEENS0_18inequality_wrapperIN6hipcub16HIPCUB_304000_NS8EqualityEEEPlJSF_EEE10hipError_tPvRmT3_T4_T5_T6_T7_T9_mT8_P12ihipStream_tbDpT10_ENKUlT_T0_E_clISt17integral_constantIbLb0EES1A_EEDaS15_S16_EUlS15_E_NS1_11comp_targetILNS1_3genE3ELNS1_11target_archE908ELNS1_3gpuE7ELNS1_3repE0EEENS1_30default_config_static_selectorELNS0_4arch9wavefront6targetE0EEEvT1_,"axG",@progbits,_ZN7rocprim17ROCPRIM_400000_NS6detail17trampoline_kernelINS0_14default_configENS1_25partition_config_selectorILNS1_17partition_subalgoE9EiibEEZZNS1_14partition_implILS5_9ELb0ES3_jPKiN6thrust23THRUST_200600_302600_NS17counting_iteratorIiNSB_11use_defaultESD_SD_EEPNS0_10empty_typeENS0_5tupleIJPiSF_EEENSH_IJSI_SG_EEENS0_18inequality_wrapperIN6hipcub16HIPCUB_304000_NS8EqualityEEEPlJSF_EEE10hipError_tPvRmT3_T4_T5_T6_T7_T9_mT8_P12ihipStream_tbDpT10_ENKUlT_T0_E_clISt17integral_constantIbLb0EES1A_EEDaS15_S16_EUlS15_E_NS1_11comp_targetILNS1_3genE3ELNS1_11target_archE908ELNS1_3gpuE7ELNS1_3repE0EEENS1_30default_config_static_selectorELNS0_4arch9wavefront6targetE0EEEvT1_,comdat
	.protected	_ZN7rocprim17ROCPRIM_400000_NS6detail17trampoline_kernelINS0_14default_configENS1_25partition_config_selectorILNS1_17partition_subalgoE9EiibEEZZNS1_14partition_implILS5_9ELb0ES3_jPKiN6thrust23THRUST_200600_302600_NS17counting_iteratorIiNSB_11use_defaultESD_SD_EEPNS0_10empty_typeENS0_5tupleIJPiSF_EEENSH_IJSI_SG_EEENS0_18inequality_wrapperIN6hipcub16HIPCUB_304000_NS8EqualityEEEPlJSF_EEE10hipError_tPvRmT3_T4_T5_T6_T7_T9_mT8_P12ihipStream_tbDpT10_ENKUlT_T0_E_clISt17integral_constantIbLb0EES1A_EEDaS15_S16_EUlS15_E_NS1_11comp_targetILNS1_3genE3ELNS1_11target_archE908ELNS1_3gpuE7ELNS1_3repE0EEENS1_30default_config_static_selectorELNS0_4arch9wavefront6targetE0EEEvT1_ ; -- Begin function _ZN7rocprim17ROCPRIM_400000_NS6detail17trampoline_kernelINS0_14default_configENS1_25partition_config_selectorILNS1_17partition_subalgoE9EiibEEZZNS1_14partition_implILS5_9ELb0ES3_jPKiN6thrust23THRUST_200600_302600_NS17counting_iteratorIiNSB_11use_defaultESD_SD_EEPNS0_10empty_typeENS0_5tupleIJPiSF_EEENSH_IJSI_SG_EEENS0_18inequality_wrapperIN6hipcub16HIPCUB_304000_NS8EqualityEEEPlJSF_EEE10hipError_tPvRmT3_T4_T5_T6_T7_T9_mT8_P12ihipStream_tbDpT10_ENKUlT_T0_E_clISt17integral_constantIbLb0EES1A_EEDaS15_S16_EUlS15_E_NS1_11comp_targetILNS1_3genE3ELNS1_11target_archE908ELNS1_3gpuE7ELNS1_3repE0EEENS1_30default_config_static_selectorELNS0_4arch9wavefront6targetE0EEEvT1_
	.globl	_ZN7rocprim17ROCPRIM_400000_NS6detail17trampoline_kernelINS0_14default_configENS1_25partition_config_selectorILNS1_17partition_subalgoE9EiibEEZZNS1_14partition_implILS5_9ELb0ES3_jPKiN6thrust23THRUST_200600_302600_NS17counting_iteratorIiNSB_11use_defaultESD_SD_EEPNS0_10empty_typeENS0_5tupleIJPiSF_EEENSH_IJSI_SG_EEENS0_18inequality_wrapperIN6hipcub16HIPCUB_304000_NS8EqualityEEEPlJSF_EEE10hipError_tPvRmT3_T4_T5_T6_T7_T9_mT8_P12ihipStream_tbDpT10_ENKUlT_T0_E_clISt17integral_constantIbLb0EES1A_EEDaS15_S16_EUlS15_E_NS1_11comp_targetILNS1_3genE3ELNS1_11target_archE908ELNS1_3gpuE7ELNS1_3repE0EEENS1_30default_config_static_selectorELNS0_4arch9wavefront6targetE0EEEvT1_
	.p2align	8
	.type	_ZN7rocprim17ROCPRIM_400000_NS6detail17trampoline_kernelINS0_14default_configENS1_25partition_config_selectorILNS1_17partition_subalgoE9EiibEEZZNS1_14partition_implILS5_9ELb0ES3_jPKiN6thrust23THRUST_200600_302600_NS17counting_iteratorIiNSB_11use_defaultESD_SD_EEPNS0_10empty_typeENS0_5tupleIJPiSF_EEENSH_IJSI_SG_EEENS0_18inequality_wrapperIN6hipcub16HIPCUB_304000_NS8EqualityEEEPlJSF_EEE10hipError_tPvRmT3_T4_T5_T6_T7_T9_mT8_P12ihipStream_tbDpT10_ENKUlT_T0_E_clISt17integral_constantIbLb0EES1A_EEDaS15_S16_EUlS15_E_NS1_11comp_targetILNS1_3genE3ELNS1_11target_archE908ELNS1_3gpuE7ELNS1_3repE0EEENS1_30default_config_static_selectorELNS0_4arch9wavefront6targetE0EEEvT1_,@function
_ZN7rocprim17ROCPRIM_400000_NS6detail17trampoline_kernelINS0_14default_configENS1_25partition_config_selectorILNS1_17partition_subalgoE9EiibEEZZNS1_14partition_implILS5_9ELb0ES3_jPKiN6thrust23THRUST_200600_302600_NS17counting_iteratorIiNSB_11use_defaultESD_SD_EEPNS0_10empty_typeENS0_5tupleIJPiSF_EEENSH_IJSI_SG_EEENS0_18inequality_wrapperIN6hipcub16HIPCUB_304000_NS8EqualityEEEPlJSF_EEE10hipError_tPvRmT3_T4_T5_T6_T7_T9_mT8_P12ihipStream_tbDpT10_ENKUlT_T0_E_clISt17integral_constantIbLb0EES1A_EEDaS15_S16_EUlS15_E_NS1_11comp_targetILNS1_3genE3ELNS1_11target_archE908ELNS1_3gpuE7ELNS1_3repE0EEENS1_30default_config_static_selectorELNS0_4arch9wavefront6targetE0EEEvT1_: ; @_ZN7rocprim17ROCPRIM_400000_NS6detail17trampoline_kernelINS0_14default_configENS1_25partition_config_selectorILNS1_17partition_subalgoE9EiibEEZZNS1_14partition_implILS5_9ELb0ES3_jPKiN6thrust23THRUST_200600_302600_NS17counting_iteratorIiNSB_11use_defaultESD_SD_EEPNS0_10empty_typeENS0_5tupleIJPiSF_EEENSH_IJSI_SG_EEENS0_18inequality_wrapperIN6hipcub16HIPCUB_304000_NS8EqualityEEEPlJSF_EEE10hipError_tPvRmT3_T4_T5_T6_T7_T9_mT8_P12ihipStream_tbDpT10_ENKUlT_T0_E_clISt17integral_constantIbLb0EES1A_EEDaS15_S16_EUlS15_E_NS1_11comp_targetILNS1_3genE3ELNS1_11target_archE908ELNS1_3gpuE7ELNS1_3repE0EEENS1_30default_config_static_selectorELNS0_4arch9wavefront6targetE0EEEvT1_
; %bb.0:
	.section	.rodata,"a",@progbits
	.p2align	6, 0x0
	.amdhsa_kernel _ZN7rocprim17ROCPRIM_400000_NS6detail17trampoline_kernelINS0_14default_configENS1_25partition_config_selectorILNS1_17partition_subalgoE9EiibEEZZNS1_14partition_implILS5_9ELb0ES3_jPKiN6thrust23THRUST_200600_302600_NS17counting_iteratorIiNSB_11use_defaultESD_SD_EEPNS0_10empty_typeENS0_5tupleIJPiSF_EEENSH_IJSI_SG_EEENS0_18inequality_wrapperIN6hipcub16HIPCUB_304000_NS8EqualityEEEPlJSF_EEE10hipError_tPvRmT3_T4_T5_T6_T7_T9_mT8_P12ihipStream_tbDpT10_ENKUlT_T0_E_clISt17integral_constantIbLb0EES1A_EEDaS15_S16_EUlS15_E_NS1_11comp_targetILNS1_3genE3ELNS1_11target_archE908ELNS1_3gpuE7ELNS1_3repE0EEENS1_30default_config_static_selectorELNS0_4arch9wavefront6targetE0EEEvT1_
		.amdhsa_group_segment_fixed_size 0
		.amdhsa_private_segment_fixed_size 0
		.amdhsa_kernarg_size 112
		.amdhsa_user_sgpr_count 2
		.amdhsa_user_sgpr_dispatch_ptr 0
		.amdhsa_user_sgpr_queue_ptr 0
		.amdhsa_user_sgpr_kernarg_segment_ptr 1
		.amdhsa_user_sgpr_dispatch_id 0
		.amdhsa_user_sgpr_kernarg_preload_length 0
		.amdhsa_user_sgpr_kernarg_preload_offset 0
		.amdhsa_user_sgpr_private_segment_size 0
		.amdhsa_wavefront_size32 1
		.amdhsa_uses_dynamic_stack 0
		.amdhsa_enable_private_segment 0
		.amdhsa_system_sgpr_workgroup_id_x 1
		.amdhsa_system_sgpr_workgroup_id_y 0
		.amdhsa_system_sgpr_workgroup_id_z 0
		.amdhsa_system_sgpr_workgroup_info 0
		.amdhsa_system_vgpr_workitem_id 0
		.amdhsa_next_free_vgpr 1
		.amdhsa_next_free_sgpr 1
		.amdhsa_named_barrier_count 0
		.amdhsa_reserve_vcc 0
		.amdhsa_float_round_mode_32 0
		.amdhsa_float_round_mode_16_64 0
		.amdhsa_float_denorm_mode_32 3
		.amdhsa_float_denorm_mode_16_64 3
		.amdhsa_fp16_overflow 0
		.amdhsa_memory_ordered 1
		.amdhsa_forward_progress 1
		.amdhsa_inst_pref_size 0
		.amdhsa_round_robin_scheduling 0
		.amdhsa_exception_fp_ieee_invalid_op 0
		.amdhsa_exception_fp_denorm_src 0
		.amdhsa_exception_fp_ieee_div_zero 0
		.amdhsa_exception_fp_ieee_overflow 0
		.amdhsa_exception_fp_ieee_underflow 0
		.amdhsa_exception_fp_ieee_inexact 0
		.amdhsa_exception_int_div_zero 0
	.end_amdhsa_kernel
	.section	.text._ZN7rocprim17ROCPRIM_400000_NS6detail17trampoline_kernelINS0_14default_configENS1_25partition_config_selectorILNS1_17partition_subalgoE9EiibEEZZNS1_14partition_implILS5_9ELb0ES3_jPKiN6thrust23THRUST_200600_302600_NS17counting_iteratorIiNSB_11use_defaultESD_SD_EEPNS0_10empty_typeENS0_5tupleIJPiSF_EEENSH_IJSI_SG_EEENS0_18inequality_wrapperIN6hipcub16HIPCUB_304000_NS8EqualityEEEPlJSF_EEE10hipError_tPvRmT3_T4_T5_T6_T7_T9_mT8_P12ihipStream_tbDpT10_ENKUlT_T0_E_clISt17integral_constantIbLb0EES1A_EEDaS15_S16_EUlS15_E_NS1_11comp_targetILNS1_3genE3ELNS1_11target_archE908ELNS1_3gpuE7ELNS1_3repE0EEENS1_30default_config_static_selectorELNS0_4arch9wavefront6targetE0EEEvT1_,"axG",@progbits,_ZN7rocprim17ROCPRIM_400000_NS6detail17trampoline_kernelINS0_14default_configENS1_25partition_config_selectorILNS1_17partition_subalgoE9EiibEEZZNS1_14partition_implILS5_9ELb0ES3_jPKiN6thrust23THRUST_200600_302600_NS17counting_iteratorIiNSB_11use_defaultESD_SD_EEPNS0_10empty_typeENS0_5tupleIJPiSF_EEENSH_IJSI_SG_EEENS0_18inequality_wrapperIN6hipcub16HIPCUB_304000_NS8EqualityEEEPlJSF_EEE10hipError_tPvRmT3_T4_T5_T6_T7_T9_mT8_P12ihipStream_tbDpT10_ENKUlT_T0_E_clISt17integral_constantIbLb0EES1A_EEDaS15_S16_EUlS15_E_NS1_11comp_targetILNS1_3genE3ELNS1_11target_archE908ELNS1_3gpuE7ELNS1_3repE0EEENS1_30default_config_static_selectorELNS0_4arch9wavefront6targetE0EEEvT1_,comdat
.Lfunc_end4:
	.size	_ZN7rocprim17ROCPRIM_400000_NS6detail17trampoline_kernelINS0_14default_configENS1_25partition_config_selectorILNS1_17partition_subalgoE9EiibEEZZNS1_14partition_implILS5_9ELb0ES3_jPKiN6thrust23THRUST_200600_302600_NS17counting_iteratorIiNSB_11use_defaultESD_SD_EEPNS0_10empty_typeENS0_5tupleIJPiSF_EEENSH_IJSI_SG_EEENS0_18inequality_wrapperIN6hipcub16HIPCUB_304000_NS8EqualityEEEPlJSF_EEE10hipError_tPvRmT3_T4_T5_T6_T7_T9_mT8_P12ihipStream_tbDpT10_ENKUlT_T0_E_clISt17integral_constantIbLb0EES1A_EEDaS15_S16_EUlS15_E_NS1_11comp_targetILNS1_3genE3ELNS1_11target_archE908ELNS1_3gpuE7ELNS1_3repE0EEENS1_30default_config_static_selectorELNS0_4arch9wavefront6targetE0EEEvT1_, .Lfunc_end4-_ZN7rocprim17ROCPRIM_400000_NS6detail17trampoline_kernelINS0_14default_configENS1_25partition_config_selectorILNS1_17partition_subalgoE9EiibEEZZNS1_14partition_implILS5_9ELb0ES3_jPKiN6thrust23THRUST_200600_302600_NS17counting_iteratorIiNSB_11use_defaultESD_SD_EEPNS0_10empty_typeENS0_5tupleIJPiSF_EEENSH_IJSI_SG_EEENS0_18inequality_wrapperIN6hipcub16HIPCUB_304000_NS8EqualityEEEPlJSF_EEE10hipError_tPvRmT3_T4_T5_T6_T7_T9_mT8_P12ihipStream_tbDpT10_ENKUlT_T0_E_clISt17integral_constantIbLb0EES1A_EEDaS15_S16_EUlS15_E_NS1_11comp_targetILNS1_3genE3ELNS1_11target_archE908ELNS1_3gpuE7ELNS1_3repE0EEENS1_30default_config_static_selectorELNS0_4arch9wavefront6targetE0EEEvT1_
                                        ; -- End function
	.set _ZN7rocprim17ROCPRIM_400000_NS6detail17trampoline_kernelINS0_14default_configENS1_25partition_config_selectorILNS1_17partition_subalgoE9EiibEEZZNS1_14partition_implILS5_9ELb0ES3_jPKiN6thrust23THRUST_200600_302600_NS17counting_iteratorIiNSB_11use_defaultESD_SD_EEPNS0_10empty_typeENS0_5tupleIJPiSF_EEENSH_IJSI_SG_EEENS0_18inequality_wrapperIN6hipcub16HIPCUB_304000_NS8EqualityEEEPlJSF_EEE10hipError_tPvRmT3_T4_T5_T6_T7_T9_mT8_P12ihipStream_tbDpT10_ENKUlT_T0_E_clISt17integral_constantIbLb0EES1A_EEDaS15_S16_EUlS15_E_NS1_11comp_targetILNS1_3genE3ELNS1_11target_archE908ELNS1_3gpuE7ELNS1_3repE0EEENS1_30default_config_static_selectorELNS0_4arch9wavefront6targetE0EEEvT1_.num_vgpr, 0
	.set _ZN7rocprim17ROCPRIM_400000_NS6detail17trampoline_kernelINS0_14default_configENS1_25partition_config_selectorILNS1_17partition_subalgoE9EiibEEZZNS1_14partition_implILS5_9ELb0ES3_jPKiN6thrust23THRUST_200600_302600_NS17counting_iteratorIiNSB_11use_defaultESD_SD_EEPNS0_10empty_typeENS0_5tupleIJPiSF_EEENSH_IJSI_SG_EEENS0_18inequality_wrapperIN6hipcub16HIPCUB_304000_NS8EqualityEEEPlJSF_EEE10hipError_tPvRmT3_T4_T5_T6_T7_T9_mT8_P12ihipStream_tbDpT10_ENKUlT_T0_E_clISt17integral_constantIbLb0EES1A_EEDaS15_S16_EUlS15_E_NS1_11comp_targetILNS1_3genE3ELNS1_11target_archE908ELNS1_3gpuE7ELNS1_3repE0EEENS1_30default_config_static_selectorELNS0_4arch9wavefront6targetE0EEEvT1_.num_agpr, 0
	.set _ZN7rocprim17ROCPRIM_400000_NS6detail17trampoline_kernelINS0_14default_configENS1_25partition_config_selectorILNS1_17partition_subalgoE9EiibEEZZNS1_14partition_implILS5_9ELb0ES3_jPKiN6thrust23THRUST_200600_302600_NS17counting_iteratorIiNSB_11use_defaultESD_SD_EEPNS0_10empty_typeENS0_5tupleIJPiSF_EEENSH_IJSI_SG_EEENS0_18inequality_wrapperIN6hipcub16HIPCUB_304000_NS8EqualityEEEPlJSF_EEE10hipError_tPvRmT3_T4_T5_T6_T7_T9_mT8_P12ihipStream_tbDpT10_ENKUlT_T0_E_clISt17integral_constantIbLb0EES1A_EEDaS15_S16_EUlS15_E_NS1_11comp_targetILNS1_3genE3ELNS1_11target_archE908ELNS1_3gpuE7ELNS1_3repE0EEENS1_30default_config_static_selectorELNS0_4arch9wavefront6targetE0EEEvT1_.numbered_sgpr, 0
	.set _ZN7rocprim17ROCPRIM_400000_NS6detail17trampoline_kernelINS0_14default_configENS1_25partition_config_selectorILNS1_17partition_subalgoE9EiibEEZZNS1_14partition_implILS5_9ELb0ES3_jPKiN6thrust23THRUST_200600_302600_NS17counting_iteratorIiNSB_11use_defaultESD_SD_EEPNS0_10empty_typeENS0_5tupleIJPiSF_EEENSH_IJSI_SG_EEENS0_18inequality_wrapperIN6hipcub16HIPCUB_304000_NS8EqualityEEEPlJSF_EEE10hipError_tPvRmT3_T4_T5_T6_T7_T9_mT8_P12ihipStream_tbDpT10_ENKUlT_T0_E_clISt17integral_constantIbLb0EES1A_EEDaS15_S16_EUlS15_E_NS1_11comp_targetILNS1_3genE3ELNS1_11target_archE908ELNS1_3gpuE7ELNS1_3repE0EEENS1_30default_config_static_selectorELNS0_4arch9wavefront6targetE0EEEvT1_.num_named_barrier, 0
	.set _ZN7rocprim17ROCPRIM_400000_NS6detail17trampoline_kernelINS0_14default_configENS1_25partition_config_selectorILNS1_17partition_subalgoE9EiibEEZZNS1_14partition_implILS5_9ELb0ES3_jPKiN6thrust23THRUST_200600_302600_NS17counting_iteratorIiNSB_11use_defaultESD_SD_EEPNS0_10empty_typeENS0_5tupleIJPiSF_EEENSH_IJSI_SG_EEENS0_18inequality_wrapperIN6hipcub16HIPCUB_304000_NS8EqualityEEEPlJSF_EEE10hipError_tPvRmT3_T4_T5_T6_T7_T9_mT8_P12ihipStream_tbDpT10_ENKUlT_T0_E_clISt17integral_constantIbLb0EES1A_EEDaS15_S16_EUlS15_E_NS1_11comp_targetILNS1_3genE3ELNS1_11target_archE908ELNS1_3gpuE7ELNS1_3repE0EEENS1_30default_config_static_selectorELNS0_4arch9wavefront6targetE0EEEvT1_.private_seg_size, 0
	.set _ZN7rocprim17ROCPRIM_400000_NS6detail17trampoline_kernelINS0_14default_configENS1_25partition_config_selectorILNS1_17partition_subalgoE9EiibEEZZNS1_14partition_implILS5_9ELb0ES3_jPKiN6thrust23THRUST_200600_302600_NS17counting_iteratorIiNSB_11use_defaultESD_SD_EEPNS0_10empty_typeENS0_5tupleIJPiSF_EEENSH_IJSI_SG_EEENS0_18inequality_wrapperIN6hipcub16HIPCUB_304000_NS8EqualityEEEPlJSF_EEE10hipError_tPvRmT3_T4_T5_T6_T7_T9_mT8_P12ihipStream_tbDpT10_ENKUlT_T0_E_clISt17integral_constantIbLb0EES1A_EEDaS15_S16_EUlS15_E_NS1_11comp_targetILNS1_3genE3ELNS1_11target_archE908ELNS1_3gpuE7ELNS1_3repE0EEENS1_30default_config_static_selectorELNS0_4arch9wavefront6targetE0EEEvT1_.uses_vcc, 0
	.set _ZN7rocprim17ROCPRIM_400000_NS6detail17trampoline_kernelINS0_14default_configENS1_25partition_config_selectorILNS1_17partition_subalgoE9EiibEEZZNS1_14partition_implILS5_9ELb0ES3_jPKiN6thrust23THRUST_200600_302600_NS17counting_iteratorIiNSB_11use_defaultESD_SD_EEPNS0_10empty_typeENS0_5tupleIJPiSF_EEENSH_IJSI_SG_EEENS0_18inequality_wrapperIN6hipcub16HIPCUB_304000_NS8EqualityEEEPlJSF_EEE10hipError_tPvRmT3_T4_T5_T6_T7_T9_mT8_P12ihipStream_tbDpT10_ENKUlT_T0_E_clISt17integral_constantIbLb0EES1A_EEDaS15_S16_EUlS15_E_NS1_11comp_targetILNS1_3genE3ELNS1_11target_archE908ELNS1_3gpuE7ELNS1_3repE0EEENS1_30default_config_static_selectorELNS0_4arch9wavefront6targetE0EEEvT1_.uses_flat_scratch, 0
	.set _ZN7rocprim17ROCPRIM_400000_NS6detail17trampoline_kernelINS0_14default_configENS1_25partition_config_selectorILNS1_17partition_subalgoE9EiibEEZZNS1_14partition_implILS5_9ELb0ES3_jPKiN6thrust23THRUST_200600_302600_NS17counting_iteratorIiNSB_11use_defaultESD_SD_EEPNS0_10empty_typeENS0_5tupleIJPiSF_EEENSH_IJSI_SG_EEENS0_18inequality_wrapperIN6hipcub16HIPCUB_304000_NS8EqualityEEEPlJSF_EEE10hipError_tPvRmT3_T4_T5_T6_T7_T9_mT8_P12ihipStream_tbDpT10_ENKUlT_T0_E_clISt17integral_constantIbLb0EES1A_EEDaS15_S16_EUlS15_E_NS1_11comp_targetILNS1_3genE3ELNS1_11target_archE908ELNS1_3gpuE7ELNS1_3repE0EEENS1_30default_config_static_selectorELNS0_4arch9wavefront6targetE0EEEvT1_.has_dyn_sized_stack, 0
	.set _ZN7rocprim17ROCPRIM_400000_NS6detail17trampoline_kernelINS0_14default_configENS1_25partition_config_selectorILNS1_17partition_subalgoE9EiibEEZZNS1_14partition_implILS5_9ELb0ES3_jPKiN6thrust23THRUST_200600_302600_NS17counting_iteratorIiNSB_11use_defaultESD_SD_EEPNS0_10empty_typeENS0_5tupleIJPiSF_EEENSH_IJSI_SG_EEENS0_18inequality_wrapperIN6hipcub16HIPCUB_304000_NS8EqualityEEEPlJSF_EEE10hipError_tPvRmT3_T4_T5_T6_T7_T9_mT8_P12ihipStream_tbDpT10_ENKUlT_T0_E_clISt17integral_constantIbLb0EES1A_EEDaS15_S16_EUlS15_E_NS1_11comp_targetILNS1_3genE3ELNS1_11target_archE908ELNS1_3gpuE7ELNS1_3repE0EEENS1_30default_config_static_selectorELNS0_4arch9wavefront6targetE0EEEvT1_.has_recursion, 0
	.set _ZN7rocprim17ROCPRIM_400000_NS6detail17trampoline_kernelINS0_14default_configENS1_25partition_config_selectorILNS1_17partition_subalgoE9EiibEEZZNS1_14partition_implILS5_9ELb0ES3_jPKiN6thrust23THRUST_200600_302600_NS17counting_iteratorIiNSB_11use_defaultESD_SD_EEPNS0_10empty_typeENS0_5tupleIJPiSF_EEENSH_IJSI_SG_EEENS0_18inequality_wrapperIN6hipcub16HIPCUB_304000_NS8EqualityEEEPlJSF_EEE10hipError_tPvRmT3_T4_T5_T6_T7_T9_mT8_P12ihipStream_tbDpT10_ENKUlT_T0_E_clISt17integral_constantIbLb0EES1A_EEDaS15_S16_EUlS15_E_NS1_11comp_targetILNS1_3genE3ELNS1_11target_archE908ELNS1_3gpuE7ELNS1_3repE0EEENS1_30default_config_static_selectorELNS0_4arch9wavefront6targetE0EEEvT1_.has_indirect_call, 0
	.section	.AMDGPU.csdata,"",@progbits
; Kernel info:
; codeLenInByte = 0
; TotalNumSgprs: 0
; NumVgprs: 0
; ScratchSize: 0
; MemoryBound: 0
; FloatMode: 240
; IeeeMode: 1
; LDSByteSize: 0 bytes/workgroup (compile time only)
; SGPRBlocks: 0
; VGPRBlocks: 0
; NumSGPRsForWavesPerEU: 1
; NumVGPRsForWavesPerEU: 1
; NamedBarCnt: 0
; Occupancy: 16
; WaveLimiterHint : 0
; COMPUTE_PGM_RSRC2:SCRATCH_EN: 0
; COMPUTE_PGM_RSRC2:USER_SGPR: 2
; COMPUTE_PGM_RSRC2:TRAP_HANDLER: 0
; COMPUTE_PGM_RSRC2:TGID_X_EN: 1
; COMPUTE_PGM_RSRC2:TGID_Y_EN: 0
; COMPUTE_PGM_RSRC2:TGID_Z_EN: 0
; COMPUTE_PGM_RSRC2:TIDIG_COMP_CNT: 0
	.section	.text._ZN7rocprim17ROCPRIM_400000_NS6detail17trampoline_kernelINS0_14default_configENS1_25partition_config_selectorILNS1_17partition_subalgoE9EiibEEZZNS1_14partition_implILS5_9ELb0ES3_jPKiN6thrust23THRUST_200600_302600_NS17counting_iteratorIiNSB_11use_defaultESD_SD_EEPNS0_10empty_typeENS0_5tupleIJPiSF_EEENSH_IJSI_SG_EEENS0_18inequality_wrapperIN6hipcub16HIPCUB_304000_NS8EqualityEEEPlJSF_EEE10hipError_tPvRmT3_T4_T5_T6_T7_T9_mT8_P12ihipStream_tbDpT10_ENKUlT_T0_E_clISt17integral_constantIbLb0EES1A_EEDaS15_S16_EUlS15_E_NS1_11comp_targetILNS1_3genE2ELNS1_11target_archE906ELNS1_3gpuE6ELNS1_3repE0EEENS1_30default_config_static_selectorELNS0_4arch9wavefront6targetE0EEEvT1_,"axG",@progbits,_ZN7rocprim17ROCPRIM_400000_NS6detail17trampoline_kernelINS0_14default_configENS1_25partition_config_selectorILNS1_17partition_subalgoE9EiibEEZZNS1_14partition_implILS5_9ELb0ES3_jPKiN6thrust23THRUST_200600_302600_NS17counting_iteratorIiNSB_11use_defaultESD_SD_EEPNS0_10empty_typeENS0_5tupleIJPiSF_EEENSH_IJSI_SG_EEENS0_18inequality_wrapperIN6hipcub16HIPCUB_304000_NS8EqualityEEEPlJSF_EEE10hipError_tPvRmT3_T4_T5_T6_T7_T9_mT8_P12ihipStream_tbDpT10_ENKUlT_T0_E_clISt17integral_constantIbLb0EES1A_EEDaS15_S16_EUlS15_E_NS1_11comp_targetILNS1_3genE2ELNS1_11target_archE906ELNS1_3gpuE6ELNS1_3repE0EEENS1_30default_config_static_selectorELNS0_4arch9wavefront6targetE0EEEvT1_,comdat
	.protected	_ZN7rocprim17ROCPRIM_400000_NS6detail17trampoline_kernelINS0_14default_configENS1_25partition_config_selectorILNS1_17partition_subalgoE9EiibEEZZNS1_14partition_implILS5_9ELb0ES3_jPKiN6thrust23THRUST_200600_302600_NS17counting_iteratorIiNSB_11use_defaultESD_SD_EEPNS0_10empty_typeENS0_5tupleIJPiSF_EEENSH_IJSI_SG_EEENS0_18inequality_wrapperIN6hipcub16HIPCUB_304000_NS8EqualityEEEPlJSF_EEE10hipError_tPvRmT3_T4_T5_T6_T7_T9_mT8_P12ihipStream_tbDpT10_ENKUlT_T0_E_clISt17integral_constantIbLb0EES1A_EEDaS15_S16_EUlS15_E_NS1_11comp_targetILNS1_3genE2ELNS1_11target_archE906ELNS1_3gpuE6ELNS1_3repE0EEENS1_30default_config_static_selectorELNS0_4arch9wavefront6targetE0EEEvT1_ ; -- Begin function _ZN7rocprim17ROCPRIM_400000_NS6detail17trampoline_kernelINS0_14default_configENS1_25partition_config_selectorILNS1_17partition_subalgoE9EiibEEZZNS1_14partition_implILS5_9ELb0ES3_jPKiN6thrust23THRUST_200600_302600_NS17counting_iteratorIiNSB_11use_defaultESD_SD_EEPNS0_10empty_typeENS0_5tupleIJPiSF_EEENSH_IJSI_SG_EEENS0_18inequality_wrapperIN6hipcub16HIPCUB_304000_NS8EqualityEEEPlJSF_EEE10hipError_tPvRmT3_T4_T5_T6_T7_T9_mT8_P12ihipStream_tbDpT10_ENKUlT_T0_E_clISt17integral_constantIbLb0EES1A_EEDaS15_S16_EUlS15_E_NS1_11comp_targetILNS1_3genE2ELNS1_11target_archE906ELNS1_3gpuE6ELNS1_3repE0EEENS1_30default_config_static_selectorELNS0_4arch9wavefront6targetE0EEEvT1_
	.globl	_ZN7rocprim17ROCPRIM_400000_NS6detail17trampoline_kernelINS0_14default_configENS1_25partition_config_selectorILNS1_17partition_subalgoE9EiibEEZZNS1_14partition_implILS5_9ELb0ES3_jPKiN6thrust23THRUST_200600_302600_NS17counting_iteratorIiNSB_11use_defaultESD_SD_EEPNS0_10empty_typeENS0_5tupleIJPiSF_EEENSH_IJSI_SG_EEENS0_18inequality_wrapperIN6hipcub16HIPCUB_304000_NS8EqualityEEEPlJSF_EEE10hipError_tPvRmT3_T4_T5_T6_T7_T9_mT8_P12ihipStream_tbDpT10_ENKUlT_T0_E_clISt17integral_constantIbLb0EES1A_EEDaS15_S16_EUlS15_E_NS1_11comp_targetILNS1_3genE2ELNS1_11target_archE906ELNS1_3gpuE6ELNS1_3repE0EEENS1_30default_config_static_selectorELNS0_4arch9wavefront6targetE0EEEvT1_
	.p2align	8
	.type	_ZN7rocprim17ROCPRIM_400000_NS6detail17trampoline_kernelINS0_14default_configENS1_25partition_config_selectorILNS1_17partition_subalgoE9EiibEEZZNS1_14partition_implILS5_9ELb0ES3_jPKiN6thrust23THRUST_200600_302600_NS17counting_iteratorIiNSB_11use_defaultESD_SD_EEPNS0_10empty_typeENS0_5tupleIJPiSF_EEENSH_IJSI_SG_EEENS0_18inequality_wrapperIN6hipcub16HIPCUB_304000_NS8EqualityEEEPlJSF_EEE10hipError_tPvRmT3_T4_T5_T6_T7_T9_mT8_P12ihipStream_tbDpT10_ENKUlT_T0_E_clISt17integral_constantIbLb0EES1A_EEDaS15_S16_EUlS15_E_NS1_11comp_targetILNS1_3genE2ELNS1_11target_archE906ELNS1_3gpuE6ELNS1_3repE0EEENS1_30default_config_static_selectorELNS0_4arch9wavefront6targetE0EEEvT1_,@function
_ZN7rocprim17ROCPRIM_400000_NS6detail17trampoline_kernelINS0_14default_configENS1_25partition_config_selectorILNS1_17partition_subalgoE9EiibEEZZNS1_14partition_implILS5_9ELb0ES3_jPKiN6thrust23THRUST_200600_302600_NS17counting_iteratorIiNSB_11use_defaultESD_SD_EEPNS0_10empty_typeENS0_5tupleIJPiSF_EEENSH_IJSI_SG_EEENS0_18inequality_wrapperIN6hipcub16HIPCUB_304000_NS8EqualityEEEPlJSF_EEE10hipError_tPvRmT3_T4_T5_T6_T7_T9_mT8_P12ihipStream_tbDpT10_ENKUlT_T0_E_clISt17integral_constantIbLb0EES1A_EEDaS15_S16_EUlS15_E_NS1_11comp_targetILNS1_3genE2ELNS1_11target_archE906ELNS1_3gpuE6ELNS1_3repE0EEENS1_30default_config_static_selectorELNS0_4arch9wavefront6targetE0EEEvT1_: ; @_ZN7rocprim17ROCPRIM_400000_NS6detail17trampoline_kernelINS0_14default_configENS1_25partition_config_selectorILNS1_17partition_subalgoE9EiibEEZZNS1_14partition_implILS5_9ELb0ES3_jPKiN6thrust23THRUST_200600_302600_NS17counting_iteratorIiNSB_11use_defaultESD_SD_EEPNS0_10empty_typeENS0_5tupleIJPiSF_EEENSH_IJSI_SG_EEENS0_18inequality_wrapperIN6hipcub16HIPCUB_304000_NS8EqualityEEEPlJSF_EEE10hipError_tPvRmT3_T4_T5_T6_T7_T9_mT8_P12ihipStream_tbDpT10_ENKUlT_T0_E_clISt17integral_constantIbLb0EES1A_EEDaS15_S16_EUlS15_E_NS1_11comp_targetILNS1_3genE2ELNS1_11target_archE906ELNS1_3gpuE6ELNS1_3repE0EEENS1_30default_config_static_selectorELNS0_4arch9wavefront6targetE0EEEvT1_
; %bb.0:
	.section	.rodata,"a",@progbits
	.p2align	6, 0x0
	.amdhsa_kernel _ZN7rocprim17ROCPRIM_400000_NS6detail17trampoline_kernelINS0_14default_configENS1_25partition_config_selectorILNS1_17partition_subalgoE9EiibEEZZNS1_14partition_implILS5_9ELb0ES3_jPKiN6thrust23THRUST_200600_302600_NS17counting_iteratorIiNSB_11use_defaultESD_SD_EEPNS0_10empty_typeENS0_5tupleIJPiSF_EEENSH_IJSI_SG_EEENS0_18inequality_wrapperIN6hipcub16HIPCUB_304000_NS8EqualityEEEPlJSF_EEE10hipError_tPvRmT3_T4_T5_T6_T7_T9_mT8_P12ihipStream_tbDpT10_ENKUlT_T0_E_clISt17integral_constantIbLb0EES1A_EEDaS15_S16_EUlS15_E_NS1_11comp_targetILNS1_3genE2ELNS1_11target_archE906ELNS1_3gpuE6ELNS1_3repE0EEENS1_30default_config_static_selectorELNS0_4arch9wavefront6targetE0EEEvT1_
		.amdhsa_group_segment_fixed_size 0
		.amdhsa_private_segment_fixed_size 0
		.amdhsa_kernarg_size 112
		.amdhsa_user_sgpr_count 2
		.amdhsa_user_sgpr_dispatch_ptr 0
		.amdhsa_user_sgpr_queue_ptr 0
		.amdhsa_user_sgpr_kernarg_segment_ptr 1
		.amdhsa_user_sgpr_dispatch_id 0
		.amdhsa_user_sgpr_kernarg_preload_length 0
		.amdhsa_user_sgpr_kernarg_preload_offset 0
		.amdhsa_user_sgpr_private_segment_size 0
		.amdhsa_wavefront_size32 1
		.amdhsa_uses_dynamic_stack 0
		.amdhsa_enable_private_segment 0
		.amdhsa_system_sgpr_workgroup_id_x 1
		.amdhsa_system_sgpr_workgroup_id_y 0
		.amdhsa_system_sgpr_workgroup_id_z 0
		.amdhsa_system_sgpr_workgroup_info 0
		.amdhsa_system_vgpr_workitem_id 0
		.amdhsa_next_free_vgpr 1
		.amdhsa_next_free_sgpr 1
		.amdhsa_named_barrier_count 0
		.amdhsa_reserve_vcc 0
		.amdhsa_float_round_mode_32 0
		.amdhsa_float_round_mode_16_64 0
		.amdhsa_float_denorm_mode_32 3
		.amdhsa_float_denorm_mode_16_64 3
		.amdhsa_fp16_overflow 0
		.amdhsa_memory_ordered 1
		.amdhsa_forward_progress 1
		.amdhsa_inst_pref_size 0
		.amdhsa_round_robin_scheduling 0
		.amdhsa_exception_fp_ieee_invalid_op 0
		.amdhsa_exception_fp_denorm_src 0
		.amdhsa_exception_fp_ieee_div_zero 0
		.amdhsa_exception_fp_ieee_overflow 0
		.amdhsa_exception_fp_ieee_underflow 0
		.amdhsa_exception_fp_ieee_inexact 0
		.amdhsa_exception_int_div_zero 0
	.end_amdhsa_kernel
	.section	.text._ZN7rocprim17ROCPRIM_400000_NS6detail17trampoline_kernelINS0_14default_configENS1_25partition_config_selectorILNS1_17partition_subalgoE9EiibEEZZNS1_14partition_implILS5_9ELb0ES3_jPKiN6thrust23THRUST_200600_302600_NS17counting_iteratorIiNSB_11use_defaultESD_SD_EEPNS0_10empty_typeENS0_5tupleIJPiSF_EEENSH_IJSI_SG_EEENS0_18inequality_wrapperIN6hipcub16HIPCUB_304000_NS8EqualityEEEPlJSF_EEE10hipError_tPvRmT3_T4_T5_T6_T7_T9_mT8_P12ihipStream_tbDpT10_ENKUlT_T0_E_clISt17integral_constantIbLb0EES1A_EEDaS15_S16_EUlS15_E_NS1_11comp_targetILNS1_3genE2ELNS1_11target_archE906ELNS1_3gpuE6ELNS1_3repE0EEENS1_30default_config_static_selectorELNS0_4arch9wavefront6targetE0EEEvT1_,"axG",@progbits,_ZN7rocprim17ROCPRIM_400000_NS6detail17trampoline_kernelINS0_14default_configENS1_25partition_config_selectorILNS1_17partition_subalgoE9EiibEEZZNS1_14partition_implILS5_9ELb0ES3_jPKiN6thrust23THRUST_200600_302600_NS17counting_iteratorIiNSB_11use_defaultESD_SD_EEPNS0_10empty_typeENS0_5tupleIJPiSF_EEENSH_IJSI_SG_EEENS0_18inequality_wrapperIN6hipcub16HIPCUB_304000_NS8EqualityEEEPlJSF_EEE10hipError_tPvRmT3_T4_T5_T6_T7_T9_mT8_P12ihipStream_tbDpT10_ENKUlT_T0_E_clISt17integral_constantIbLb0EES1A_EEDaS15_S16_EUlS15_E_NS1_11comp_targetILNS1_3genE2ELNS1_11target_archE906ELNS1_3gpuE6ELNS1_3repE0EEENS1_30default_config_static_selectorELNS0_4arch9wavefront6targetE0EEEvT1_,comdat
.Lfunc_end5:
	.size	_ZN7rocprim17ROCPRIM_400000_NS6detail17trampoline_kernelINS0_14default_configENS1_25partition_config_selectorILNS1_17partition_subalgoE9EiibEEZZNS1_14partition_implILS5_9ELb0ES3_jPKiN6thrust23THRUST_200600_302600_NS17counting_iteratorIiNSB_11use_defaultESD_SD_EEPNS0_10empty_typeENS0_5tupleIJPiSF_EEENSH_IJSI_SG_EEENS0_18inequality_wrapperIN6hipcub16HIPCUB_304000_NS8EqualityEEEPlJSF_EEE10hipError_tPvRmT3_T4_T5_T6_T7_T9_mT8_P12ihipStream_tbDpT10_ENKUlT_T0_E_clISt17integral_constantIbLb0EES1A_EEDaS15_S16_EUlS15_E_NS1_11comp_targetILNS1_3genE2ELNS1_11target_archE906ELNS1_3gpuE6ELNS1_3repE0EEENS1_30default_config_static_selectorELNS0_4arch9wavefront6targetE0EEEvT1_, .Lfunc_end5-_ZN7rocprim17ROCPRIM_400000_NS6detail17trampoline_kernelINS0_14default_configENS1_25partition_config_selectorILNS1_17partition_subalgoE9EiibEEZZNS1_14partition_implILS5_9ELb0ES3_jPKiN6thrust23THRUST_200600_302600_NS17counting_iteratorIiNSB_11use_defaultESD_SD_EEPNS0_10empty_typeENS0_5tupleIJPiSF_EEENSH_IJSI_SG_EEENS0_18inequality_wrapperIN6hipcub16HIPCUB_304000_NS8EqualityEEEPlJSF_EEE10hipError_tPvRmT3_T4_T5_T6_T7_T9_mT8_P12ihipStream_tbDpT10_ENKUlT_T0_E_clISt17integral_constantIbLb0EES1A_EEDaS15_S16_EUlS15_E_NS1_11comp_targetILNS1_3genE2ELNS1_11target_archE906ELNS1_3gpuE6ELNS1_3repE0EEENS1_30default_config_static_selectorELNS0_4arch9wavefront6targetE0EEEvT1_
                                        ; -- End function
	.set _ZN7rocprim17ROCPRIM_400000_NS6detail17trampoline_kernelINS0_14default_configENS1_25partition_config_selectorILNS1_17partition_subalgoE9EiibEEZZNS1_14partition_implILS5_9ELb0ES3_jPKiN6thrust23THRUST_200600_302600_NS17counting_iteratorIiNSB_11use_defaultESD_SD_EEPNS0_10empty_typeENS0_5tupleIJPiSF_EEENSH_IJSI_SG_EEENS0_18inequality_wrapperIN6hipcub16HIPCUB_304000_NS8EqualityEEEPlJSF_EEE10hipError_tPvRmT3_T4_T5_T6_T7_T9_mT8_P12ihipStream_tbDpT10_ENKUlT_T0_E_clISt17integral_constantIbLb0EES1A_EEDaS15_S16_EUlS15_E_NS1_11comp_targetILNS1_3genE2ELNS1_11target_archE906ELNS1_3gpuE6ELNS1_3repE0EEENS1_30default_config_static_selectorELNS0_4arch9wavefront6targetE0EEEvT1_.num_vgpr, 0
	.set _ZN7rocprim17ROCPRIM_400000_NS6detail17trampoline_kernelINS0_14default_configENS1_25partition_config_selectorILNS1_17partition_subalgoE9EiibEEZZNS1_14partition_implILS5_9ELb0ES3_jPKiN6thrust23THRUST_200600_302600_NS17counting_iteratorIiNSB_11use_defaultESD_SD_EEPNS0_10empty_typeENS0_5tupleIJPiSF_EEENSH_IJSI_SG_EEENS0_18inequality_wrapperIN6hipcub16HIPCUB_304000_NS8EqualityEEEPlJSF_EEE10hipError_tPvRmT3_T4_T5_T6_T7_T9_mT8_P12ihipStream_tbDpT10_ENKUlT_T0_E_clISt17integral_constantIbLb0EES1A_EEDaS15_S16_EUlS15_E_NS1_11comp_targetILNS1_3genE2ELNS1_11target_archE906ELNS1_3gpuE6ELNS1_3repE0EEENS1_30default_config_static_selectorELNS0_4arch9wavefront6targetE0EEEvT1_.num_agpr, 0
	.set _ZN7rocprim17ROCPRIM_400000_NS6detail17trampoline_kernelINS0_14default_configENS1_25partition_config_selectorILNS1_17partition_subalgoE9EiibEEZZNS1_14partition_implILS5_9ELb0ES3_jPKiN6thrust23THRUST_200600_302600_NS17counting_iteratorIiNSB_11use_defaultESD_SD_EEPNS0_10empty_typeENS0_5tupleIJPiSF_EEENSH_IJSI_SG_EEENS0_18inequality_wrapperIN6hipcub16HIPCUB_304000_NS8EqualityEEEPlJSF_EEE10hipError_tPvRmT3_T4_T5_T6_T7_T9_mT8_P12ihipStream_tbDpT10_ENKUlT_T0_E_clISt17integral_constantIbLb0EES1A_EEDaS15_S16_EUlS15_E_NS1_11comp_targetILNS1_3genE2ELNS1_11target_archE906ELNS1_3gpuE6ELNS1_3repE0EEENS1_30default_config_static_selectorELNS0_4arch9wavefront6targetE0EEEvT1_.numbered_sgpr, 0
	.set _ZN7rocprim17ROCPRIM_400000_NS6detail17trampoline_kernelINS0_14default_configENS1_25partition_config_selectorILNS1_17partition_subalgoE9EiibEEZZNS1_14partition_implILS5_9ELb0ES3_jPKiN6thrust23THRUST_200600_302600_NS17counting_iteratorIiNSB_11use_defaultESD_SD_EEPNS0_10empty_typeENS0_5tupleIJPiSF_EEENSH_IJSI_SG_EEENS0_18inequality_wrapperIN6hipcub16HIPCUB_304000_NS8EqualityEEEPlJSF_EEE10hipError_tPvRmT3_T4_T5_T6_T7_T9_mT8_P12ihipStream_tbDpT10_ENKUlT_T0_E_clISt17integral_constantIbLb0EES1A_EEDaS15_S16_EUlS15_E_NS1_11comp_targetILNS1_3genE2ELNS1_11target_archE906ELNS1_3gpuE6ELNS1_3repE0EEENS1_30default_config_static_selectorELNS0_4arch9wavefront6targetE0EEEvT1_.num_named_barrier, 0
	.set _ZN7rocprim17ROCPRIM_400000_NS6detail17trampoline_kernelINS0_14default_configENS1_25partition_config_selectorILNS1_17partition_subalgoE9EiibEEZZNS1_14partition_implILS5_9ELb0ES3_jPKiN6thrust23THRUST_200600_302600_NS17counting_iteratorIiNSB_11use_defaultESD_SD_EEPNS0_10empty_typeENS0_5tupleIJPiSF_EEENSH_IJSI_SG_EEENS0_18inequality_wrapperIN6hipcub16HIPCUB_304000_NS8EqualityEEEPlJSF_EEE10hipError_tPvRmT3_T4_T5_T6_T7_T9_mT8_P12ihipStream_tbDpT10_ENKUlT_T0_E_clISt17integral_constantIbLb0EES1A_EEDaS15_S16_EUlS15_E_NS1_11comp_targetILNS1_3genE2ELNS1_11target_archE906ELNS1_3gpuE6ELNS1_3repE0EEENS1_30default_config_static_selectorELNS0_4arch9wavefront6targetE0EEEvT1_.private_seg_size, 0
	.set _ZN7rocprim17ROCPRIM_400000_NS6detail17trampoline_kernelINS0_14default_configENS1_25partition_config_selectorILNS1_17partition_subalgoE9EiibEEZZNS1_14partition_implILS5_9ELb0ES3_jPKiN6thrust23THRUST_200600_302600_NS17counting_iteratorIiNSB_11use_defaultESD_SD_EEPNS0_10empty_typeENS0_5tupleIJPiSF_EEENSH_IJSI_SG_EEENS0_18inequality_wrapperIN6hipcub16HIPCUB_304000_NS8EqualityEEEPlJSF_EEE10hipError_tPvRmT3_T4_T5_T6_T7_T9_mT8_P12ihipStream_tbDpT10_ENKUlT_T0_E_clISt17integral_constantIbLb0EES1A_EEDaS15_S16_EUlS15_E_NS1_11comp_targetILNS1_3genE2ELNS1_11target_archE906ELNS1_3gpuE6ELNS1_3repE0EEENS1_30default_config_static_selectorELNS0_4arch9wavefront6targetE0EEEvT1_.uses_vcc, 0
	.set _ZN7rocprim17ROCPRIM_400000_NS6detail17trampoline_kernelINS0_14default_configENS1_25partition_config_selectorILNS1_17partition_subalgoE9EiibEEZZNS1_14partition_implILS5_9ELb0ES3_jPKiN6thrust23THRUST_200600_302600_NS17counting_iteratorIiNSB_11use_defaultESD_SD_EEPNS0_10empty_typeENS0_5tupleIJPiSF_EEENSH_IJSI_SG_EEENS0_18inequality_wrapperIN6hipcub16HIPCUB_304000_NS8EqualityEEEPlJSF_EEE10hipError_tPvRmT3_T4_T5_T6_T7_T9_mT8_P12ihipStream_tbDpT10_ENKUlT_T0_E_clISt17integral_constantIbLb0EES1A_EEDaS15_S16_EUlS15_E_NS1_11comp_targetILNS1_3genE2ELNS1_11target_archE906ELNS1_3gpuE6ELNS1_3repE0EEENS1_30default_config_static_selectorELNS0_4arch9wavefront6targetE0EEEvT1_.uses_flat_scratch, 0
	.set _ZN7rocprim17ROCPRIM_400000_NS6detail17trampoline_kernelINS0_14default_configENS1_25partition_config_selectorILNS1_17partition_subalgoE9EiibEEZZNS1_14partition_implILS5_9ELb0ES3_jPKiN6thrust23THRUST_200600_302600_NS17counting_iteratorIiNSB_11use_defaultESD_SD_EEPNS0_10empty_typeENS0_5tupleIJPiSF_EEENSH_IJSI_SG_EEENS0_18inequality_wrapperIN6hipcub16HIPCUB_304000_NS8EqualityEEEPlJSF_EEE10hipError_tPvRmT3_T4_T5_T6_T7_T9_mT8_P12ihipStream_tbDpT10_ENKUlT_T0_E_clISt17integral_constantIbLb0EES1A_EEDaS15_S16_EUlS15_E_NS1_11comp_targetILNS1_3genE2ELNS1_11target_archE906ELNS1_3gpuE6ELNS1_3repE0EEENS1_30default_config_static_selectorELNS0_4arch9wavefront6targetE0EEEvT1_.has_dyn_sized_stack, 0
	.set _ZN7rocprim17ROCPRIM_400000_NS6detail17trampoline_kernelINS0_14default_configENS1_25partition_config_selectorILNS1_17partition_subalgoE9EiibEEZZNS1_14partition_implILS5_9ELb0ES3_jPKiN6thrust23THRUST_200600_302600_NS17counting_iteratorIiNSB_11use_defaultESD_SD_EEPNS0_10empty_typeENS0_5tupleIJPiSF_EEENSH_IJSI_SG_EEENS0_18inequality_wrapperIN6hipcub16HIPCUB_304000_NS8EqualityEEEPlJSF_EEE10hipError_tPvRmT3_T4_T5_T6_T7_T9_mT8_P12ihipStream_tbDpT10_ENKUlT_T0_E_clISt17integral_constantIbLb0EES1A_EEDaS15_S16_EUlS15_E_NS1_11comp_targetILNS1_3genE2ELNS1_11target_archE906ELNS1_3gpuE6ELNS1_3repE0EEENS1_30default_config_static_selectorELNS0_4arch9wavefront6targetE0EEEvT1_.has_recursion, 0
	.set _ZN7rocprim17ROCPRIM_400000_NS6detail17trampoline_kernelINS0_14default_configENS1_25partition_config_selectorILNS1_17partition_subalgoE9EiibEEZZNS1_14partition_implILS5_9ELb0ES3_jPKiN6thrust23THRUST_200600_302600_NS17counting_iteratorIiNSB_11use_defaultESD_SD_EEPNS0_10empty_typeENS0_5tupleIJPiSF_EEENSH_IJSI_SG_EEENS0_18inequality_wrapperIN6hipcub16HIPCUB_304000_NS8EqualityEEEPlJSF_EEE10hipError_tPvRmT3_T4_T5_T6_T7_T9_mT8_P12ihipStream_tbDpT10_ENKUlT_T0_E_clISt17integral_constantIbLb0EES1A_EEDaS15_S16_EUlS15_E_NS1_11comp_targetILNS1_3genE2ELNS1_11target_archE906ELNS1_3gpuE6ELNS1_3repE0EEENS1_30default_config_static_selectorELNS0_4arch9wavefront6targetE0EEEvT1_.has_indirect_call, 0
	.section	.AMDGPU.csdata,"",@progbits
; Kernel info:
; codeLenInByte = 0
; TotalNumSgprs: 0
; NumVgprs: 0
; ScratchSize: 0
; MemoryBound: 0
; FloatMode: 240
; IeeeMode: 1
; LDSByteSize: 0 bytes/workgroup (compile time only)
; SGPRBlocks: 0
; VGPRBlocks: 0
; NumSGPRsForWavesPerEU: 1
; NumVGPRsForWavesPerEU: 1
; NamedBarCnt: 0
; Occupancy: 16
; WaveLimiterHint : 0
; COMPUTE_PGM_RSRC2:SCRATCH_EN: 0
; COMPUTE_PGM_RSRC2:USER_SGPR: 2
; COMPUTE_PGM_RSRC2:TRAP_HANDLER: 0
; COMPUTE_PGM_RSRC2:TGID_X_EN: 1
; COMPUTE_PGM_RSRC2:TGID_Y_EN: 0
; COMPUTE_PGM_RSRC2:TGID_Z_EN: 0
; COMPUTE_PGM_RSRC2:TIDIG_COMP_CNT: 0
	.section	.text._ZN7rocprim17ROCPRIM_400000_NS6detail17trampoline_kernelINS0_14default_configENS1_25partition_config_selectorILNS1_17partition_subalgoE9EiibEEZZNS1_14partition_implILS5_9ELb0ES3_jPKiN6thrust23THRUST_200600_302600_NS17counting_iteratorIiNSB_11use_defaultESD_SD_EEPNS0_10empty_typeENS0_5tupleIJPiSF_EEENSH_IJSI_SG_EEENS0_18inequality_wrapperIN6hipcub16HIPCUB_304000_NS8EqualityEEEPlJSF_EEE10hipError_tPvRmT3_T4_T5_T6_T7_T9_mT8_P12ihipStream_tbDpT10_ENKUlT_T0_E_clISt17integral_constantIbLb0EES1A_EEDaS15_S16_EUlS15_E_NS1_11comp_targetILNS1_3genE10ELNS1_11target_archE1200ELNS1_3gpuE4ELNS1_3repE0EEENS1_30default_config_static_selectorELNS0_4arch9wavefront6targetE0EEEvT1_,"axG",@progbits,_ZN7rocprim17ROCPRIM_400000_NS6detail17trampoline_kernelINS0_14default_configENS1_25partition_config_selectorILNS1_17partition_subalgoE9EiibEEZZNS1_14partition_implILS5_9ELb0ES3_jPKiN6thrust23THRUST_200600_302600_NS17counting_iteratorIiNSB_11use_defaultESD_SD_EEPNS0_10empty_typeENS0_5tupleIJPiSF_EEENSH_IJSI_SG_EEENS0_18inequality_wrapperIN6hipcub16HIPCUB_304000_NS8EqualityEEEPlJSF_EEE10hipError_tPvRmT3_T4_T5_T6_T7_T9_mT8_P12ihipStream_tbDpT10_ENKUlT_T0_E_clISt17integral_constantIbLb0EES1A_EEDaS15_S16_EUlS15_E_NS1_11comp_targetILNS1_3genE10ELNS1_11target_archE1200ELNS1_3gpuE4ELNS1_3repE0EEENS1_30default_config_static_selectorELNS0_4arch9wavefront6targetE0EEEvT1_,comdat
	.protected	_ZN7rocprim17ROCPRIM_400000_NS6detail17trampoline_kernelINS0_14default_configENS1_25partition_config_selectorILNS1_17partition_subalgoE9EiibEEZZNS1_14partition_implILS5_9ELb0ES3_jPKiN6thrust23THRUST_200600_302600_NS17counting_iteratorIiNSB_11use_defaultESD_SD_EEPNS0_10empty_typeENS0_5tupleIJPiSF_EEENSH_IJSI_SG_EEENS0_18inequality_wrapperIN6hipcub16HIPCUB_304000_NS8EqualityEEEPlJSF_EEE10hipError_tPvRmT3_T4_T5_T6_T7_T9_mT8_P12ihipStream_tbDpT10_ENKUlT_T0_E_clISt17integral_constantIbLb0EES1A_EEDaS15_S16_EUlS15_E_NS1_11comp_targetILNS1_3genE10ELNS1_11target_archE1200ELNS1_3gpuE4ELNS1_3repE0EEENS1_30default_config_static_selectorELNS0_4arch9wavefront6targetE0EEEvT1_ ; -- Begin function _ZN7rocprim17ROCPRIM_400000_NS6detail17trampoline_kernelINS0_14default_configENS1_25partition_config_selectorILNS1_17partition_subalgoE9EiibEEZZNS1_14partition_implILS5_9ELb0ES3_jPKiN6thrust23THRUST_200600_302600_NS17counting_iteratorIiNSB_11use_defaultESD_SD_EEPNS0_10empty_typeENS0_5tupleIJPiSF_EEENSH_IJSI_SG_EEENS0_18inequality_wrapperIN6hipcub16HIPCUB_304000_NS8EqualityEEEPlJSF_EEE10hipError_tPvRmT3_T4_T5_T6_T7_T9_mT8_P12ihipStream_tbDpT10_ENKUlT_T0_E_clISt17integral_constantIbLb0EES1A_EEDaS15_S16_EUlS15_E_NS1_11comp_targetILNS1_3genE10ELNS1_11target_archE1200ELNS1_3gpuE4ELNS1_3repE0EEENS1_30default_config_static_selectorELNS0_4arch9wavefront6targetE0EEEvT1_
	.globl	_ZN7rocprim17ROCPRIM_400000_NS6detail17trampoline_kernelINS0_14default_configENS1_25partition_config_selectorILNS1_17partition_subalgoE9EiibEEZZNS1_14partition_implILS5_9ELb0ES3_jPKiN6thrust23THRUST_200600_302600_NS17counting_iteratorIiNSB_11use_defaultESD_SD_EEPNS0_10empty_typeENS0_5tupleIJPiSF_EEENSH_IJSI_SG_EEENS0_18inequality_wrapperIN6hipcub16HIPCUB_304000_NS8EqualityEEEPlJSF_EEE10hipError_tPvRmT3_T4_T5_T6_T7_T9_mT8_P12ihipStream_tbDpT10_ENKUlT_T0_E_clISt17integral_constantIbLb0EES1A_EEDaS15_S16_EUlS15_E_NS1_11comp_targetILNS1_3genE10ELNS1_11target_archE1200ELNS1_3gpuE4ELNS1_3repE0EEENS1_30default_config_static_selectorELNS0_4arch9wavefront6targetE0EEEvT1_
	.p2align	8
	.type	_ZN7rocprim17ROCPRIM_400000_NS6detail17trampoline_kernelINS0_14default_configENS1_25partition_config_selectorILNS1_17partition_subalgoE9EiibEEZZNS1_14partition_implILS5_9ELb0ES3_jPKiN6thrust23THRUST_200600_302600_NS17counting_iteratorIiNSB_11use_defaultESD_SD_EEPNS0_10empty_typeENS0_5tupleIJPiSF_EEENSH_IJSI_SG_EEENS0_18inequality_wrapperIN6hipcub16HIPCUB_304000_NS8EqualityEEEPlJSF_EEE10hipError_tPvRmT3_T4_T5_T6_T7_T9_mT8_P12ihipStream_tbDpT10_ENKUlT_T0_E_clISt17integral_constantIbLb0EES1A_EEDaS15_S16_EUlS15_E_NS1_11comp_targetILNS1_3genE10ELNS1_11target_archE1200ELNS1_3gpuE4ELNS1_3repE0EEENS1_30default_config_static_selectorELNS0_4arch9wavefront6targetE0EEEvT1_,@function
_ZN7rocprim17ROCPRIM_400000_NS6detail17trampoline_kernelINS0_14default_configENS1_25partition_config_selectorILNS1_17partition_subalgoE9EiibEEZZNS1_14partition_implILS5_9ELb0ES3_jPKiN6thrust23THRUST_200600_302600_NS17counting_iteratorIiNSB_11use_defaultESD_SD_EEPNS0_10empty_typeENS0_5tupleIJPiSF_EEENSH_IJSI_SG_EEENS0_18inequality_wrapperIN6hipcub16HIPCUB_304000_NS8EqualityEEEPlJSF_EEE10hipError_tPvRmT3_T4_T5_T6_T7_T9_mT8_P12ihipStream_tbDpT10_ENKUlT_T0_E_clISt17integral_constantIbLb0EES1A_EEDaS15_S16_EUlS15_E_NS1_11comp_targetILNS1_3genE10ELNS1_11target_archE1200ELNS1_3gpuE4ELNS1_3repE0EEENS1_30default_config_static_selectorELNS0_4arch9wavefront6targetE0EEEvT1_: ; @_ZN7rocprim17ROCPRIM_400000_NS6detail17trampoline_kernelINS0_14default_configENS1_25partition_config_selectorILNS1_17partition_subalgoE9EiibEEZZNS1_14partition_implILS5_9ELb0ES3_jPKiN6thrust23THRUST_200600_302600_NS17counting_iteratorIiNSB_11use_defaultESD_SD_EEPNS0_10empty_typeENS0_5tupleIJPiSF_EEENSH_IJSI_SG_EEENS0_18inequality_wrapperIN6hipcub16HIPCUB_304000_NS8EqualityEEEPlJSF_EEE10hipError_tPvRmT3_T4_T5_T6_T7_T9_mT8_P12ihipStream_tbDpT10_ENKUlT_T0_E_clISt17integral_constantIbLb0EES1A_EEDaS15_S16_EUlS15_E_NS1_11comp_targetILNS1_3genE10ELNS1_11target_archE1200ELNS1_3gpuE4ELNS1_3repE0EEENS1_30default_config_static_selectorELNS0_4arch9wavefront6targetE0EEEvT1_
; %bb.0:
	.section	.rodata,"a",@progbits
	.p2align	6, 0x0
	.amdhsa_kernel _ZN7rocprim17ROCPRIM_400000_NS6detail17trampoline_kernelINS0_14default_configENS1_25partition_config_selectorILNS1_17partition_subalgoE9EiibEEZZNS1_14partition_implILS5_9ELb0ES3_jPKiN6thrust23THRUST_200600_302600_NS17counting_iteratorIiNSB_11use_defaultESD_SD_EEPNS0_10empty_typeENS0_5tupleIJPiSF_EEENSH_IJSI_SG_EEENS0_18inequality_wrapperIN6hipcub16HIPCUB_304000_NS8EqualityEEEPlJSF_EEE10hipError_tPvRmT3_T4_T5_T6_T7_T9_mT8_P12ihipStream_tbDpT10_ENKUlT_T0_E_clISt17integral_constantIbLb0EES1A_EEDaS15_S16_EUlS15_E_NS1_11comp_targetILNS1_3genE10ELNS1_11target_archE1200ELNS1_3gpuE4ELNS1_3repE0EEENS1_30default_config_static_selectorELNS0_4arch9wavefront6targetE0EEEvT1_
		.amdhsa_group_segment_fixed_size 0
		.amdhsa_private_segment_fixed_size 0
		.amdhsa_kernarg_size 112
		.amdhsa_user_sgpr_count 2
		.amdhsa_user_sgpr_dispatch_ptr 0
		.amdhsa_user_sgpr_queue_ptr 0
		.amdhsa_user_sgpr_kernarg_segment_ptr 1
		.amdhsa_user_sgpr_dispatch_id 0
		.amdhsa_user_sgpr_kernarg_preload_length 0
		.amdhsa_user_sgpr_kernarg_preload_offset 0
		.amdhsa_user_sgpr_private_segment_size 0
		.amdhsa_wavefront_size32 1
		.amdhsa_uses_dynamic_stack 0
		.amdhsa_enable_private_segment 0
		.amdhsa_system_sgpr_workgroup_id_x 1
		.amdhsa_system_sgpr_workgroup_id_y 0
		.amdhsa_system_sgpr_workgroup_id_z 0
		.amdhsa_system_sgpr_workgroup_info 0
		.amdhsa_system_vgpr_workitem_id 0
		.amdhsa_next_free_vgpr 1
		.amdhsa_next_free_sgpr 1
		.amdhsa_named_barrier_count 0
		.amdhsa_reserve_vcc 0
		.amdhsa_float_round_mode_32 0
		.amdhsa_float_round_mode_16_64 0
		.amdhsa_float_denorm_mode_32 3
		.amdhsa_float_denorm_mode_16_64 3
		.amdhsa_fp16_overflow 0
		.amdhsa_memory_ordered 1
		.amdhsa_forward_progress 1
		.amdhsa_inst_pref_size 0
		.amdhsa_round_robin_scheduling 0
		.amdhsa_exception_fp_ieee_invalid_op 0
		.amdhsa_exception_fp_denorm_src 0
		.amdhsa_exception_fp_ieee_div_zero 0
		.amdhsa_exception_fp_ieee_overflow 0
		.amdhsa_exception_fp_ieee_underflow 0
		.amdhsa_exception_fp_ieee_inexact 0
		.amdhsa_exception_int_div_zero 0
	.end_amdhsa_kernel
	.section	.text._ZN7rocprim17ROCPRIM_400000_NS6detail17trampoline_kernelINS0_14default_configENS1_25partition_config_selectorILNS1_17partition_subalgoE9EiibEEZZNS1_14partition_implILS5_9ELb0ES3_jPKiN6thrust23THRUST_200600_302600_NS17counting_iteratorIiNSB_11use_defaultESD_SD_EEPNS0_10empty_typeENS0_5tupleIJPiSF_EEENSH_IJSI_SG_EEENS0_18inequality_wrapperIN6hipcub16HIPCUB_304000_NS8EqualityEEEPlJSF_EEE10hipError_tPvRmT3_T4_T5_T6_T7_T9_mT8_P12ihipStream_tbDpT10_ENKUlT_T0_E_clISt17integral_constantIbLb0EES1A_EEDaS15_S16_EUlS15_E_NS1_11comp_targetILNS1_3genE10ELNS1_11target_archE1200ELNS1_3gpuE4ELNS1_3repE0EEENS1_30default_config_static_selectorELNS0_4arch9wavefront6targetE0EEEvT1_,"axG",@progbits,_ZN7rocprim17ROCPRIM_400000_NS6detail17trampoline_kernelINS0_14default_configENS1_25partition_config_selectorILNS1_17partition_subalgoE9EiibEEZZNS1_14partition_implILS5_9ELb0ES3_jPKiN6thrust23THRUST_200600_302600_NS17counting_iteratorIiNSB_11use_defaultESD_SD_EEPNS0_10empty_typeENS0_5tupleIJPiSF_EEENSH_IJSI_SG_EEENS0_18inequality_wrapperIN6hipcub16HIPCUB_304000_NS8EqualityEEEPlJSF_EEE10hipError_tPvRmT3_T4_T5_T6_T7_T9_mT8_P12ihipStream_tbDpT10_ENKUlT_T0_E_clISt17integral_constantIbLb0EES1A_EEDaS15_S16_EUlS15_E_NS1_11comp_targetILNS1_3genE10ELNS1_11target_archE1200ELNS1_3gpuE4ELNS1_3repE0EEENS1_30default_config_static_selectorELNS0_4arch9wavefront6targetE0EEEvT1_,comdat
.Lfunc_end6:
	.size	_ZN7rocprim17ROCPRIM_400000_NS6detail17trampoline_kernelINS0_14default_configENS1_25partition_config_selectorILNS1_17partition_subalgoE9EiibEEZZNS1_14partition_implILS5_9ELb0ES3_jPKiN6thrust23THRUST_200600_302600_NS17counting_iteratorIiNSB_11use_defaultESD_SD_EEPNS0_10empty_typeENS0_5tupleIJPiSF_EEENSH_IJSI_SG_EEENS0_18inequality_wrapperIN6hipcub16HIPCUB_304000_NS8EqualityEEEPlJSF_EEE10hipError_tPvRmT3_T4_T5_T6_T7_T9_mT8_P12ihipStream_tbDpT10_ENKUlT_T0_E_clISt17integral_constantIbLb0EES1A_EEDaS15_S16_EUlS15_E_NS1_11comp_targetILNS1_3genE10ELNS1_11target_archE1200ELNS1_3gpuE4ELNS1_3repE0EEENS1_30default_config_static_selectorELNS0_4arch9wavefront6targetE0EEEvT1_, .Lfunc_end6-_ZN7rocprim17ROCPRIM_400000_NS6detail17trampoline_kernelINS0_14default_configENS1_25partition_config_selectorILNS1_17partition_subalgoE9EiibEEZZNS1_14partition_implILS5_9ELb0ES3_jPKiN6thrust23THRUST_200600_302600_NS17counting_iteratorIiNSB_11use_defaultESD_SD_EEPNS0_10empty_typeENS0_5tupleIJPiSF_EEENSH_IJSI_SG_EEENS0_18inequality_wrapperIN6hipcub16HIPCUB_304000_NS8EqualityEEEPlJSF_EEE10hipError_tPvRmT3_T4_T5_T6_T7_T9_mT8_P12ihipStream_tbDpT10_ENKUlT_T0_E_clISt17integral_constantIbLb0EES1A_EEDaS15_S16_EUlS15_E_NS1_11comp_targetILNS1_3genE10ELNS1_11target_archE1200ELNS1_3gpuE4ELNS1_3repE0EEENS1_30default_config_static_selectorELNS0_4arch9wavefront6targetE0EEEvT1_
                                        ; -- End function
	.set _ZN7rocprim17ROCPRIM_400000_NS6detail17trampoline_kernelINS0_14default_configENS1_25partition_config_selectorILNS1_17partition_subalgoE9EiibEEZZNS1_14partition_implILS5_9ELb0ES3_jPKiN6thrust23THRUST_200600_302600_NS17counting_iteratorIiNSB_11use_defaultESD_SD_EEPNS0_10empty_typeENS0_5tupleIJPiSF_EEENSH_IJSI_SG_EEENS0_18inequality_wrapperIN6hipcub16HIPCUB_304000_NS8EqualityEEEPlJSF_EEE10hipError_tPvRmT3_T4_T5_T6_T7_T9_mT8_P12ihipStream_tbDpT10_ENKUlT_T0_E_clISt17integral_constantIbLb0EES1A_EEDaS15_S16_EUlS15_E_NS1_11comp_targetILNS1_3genE10ELNS1_11target_archE1200ELNS1_3gpuE4ELNS1_3repE0EEENS1_30default_config_static_selectorELNS0_4arch9wavefront6targetE0EEEvT1_.num_vgpr, 0
	.set _ZN7rocprim17ROCPRIM_400000_NS6detail17trampoline_kernelINS0_14default_configENS1_25partition_config_selectorILNS1_17partition_subalgoE9EiibEEZZNS1_14partition_implILS5_9ELb0ES3_jPKiN6thrust23THRUST_200600_302600_NS17counting_iteratorIiNSB_11use_defaultESD_SD_EEPNS0_10empty_typeENS0_5tupleIJPiSF_EEENSH_IJSI_SG_EEENS0_18inequality_wrapperIN6hipcub16HIPCUB_304000_NS8EqualityEEEPlJSF_EEE10hipError_tPvRmT3_T4_T5_T6_T7_T9_mT8_P12ihipStream_tbDpT10_ENKUlT_T0_E_clISt17integral_constantIbLb0EES1A_EEDaS15_S16_EUlS15_E_NS1_11comp_targetILNS1_3genE10ELNS1_11target_archE1200ELNS1_3gpuE4ELNS1_3repE0EEENS1_30default_config_static_selectorELNS0_4arch9wavefront6targetE0EEEvT1_.num_agpr, 0
	.set _ZN7rocprim17ROCPRIM_400000_NS6detail17trampoline_kernelINS0_14default_configENS1_25partition_config_selectorILNS1_17partition_subalgoE9EiibEEZZNS1_14partition_implILS5_9ELb0ES3_jPKiN6thrust23THRUST_200600_302600_NS17counting_iteratorIiNSB_11use_defaultESD_SD_EEPNS0_10empty_typeENS0_5tupleIJPiSF_EEENSH_IJSI_SG_EEENS0_18inequality_wrapperIN6hipcub16HIPCUB_304000_NS8EqualityEEEPlJSF_EEE10hipError_tPvRmT3_T4_T5_T6_T7_T9_mT8_P12ihipStream_tbDpT10_ENKUlT_T0_E_clISt17integral_constantIbLb0EES1A_EEDaS15_S16_EUlS15_E_NS1_11comp_targetILNS1_3genE10ELNS1_11target_archE1200ELNS1_3gpuE4ELNS1_3repE0EEENS1_30default_config_static_selectorELNS0_4arch9wavefront6targetE0EEEvT1_.numbered_sgpr, 0
	.set _ZN7rocprim17ROCPRIM_400000_NS6detail17trampoline_kernelINS0_14default_configENS1_25partition_config_selectorILNS1_17partition_subalgoE9EiibEEZZNS1_14partition_implILS5_9ELb0ES3_jPKiN6thrust23THRUST_200600_302600_NS17counting_iteratorIiNSB_11use_defaultESD_SD_EEPNS0_10empty_typeENS0_5tupleIJPiSF_EEENSH_IJSI_SG_EEENS0_18inequality_wrapperIN6hipcub16HIPCUB_304000_NS8EqualityEEEPlJSF_EEE10hipError_tPvRmT3_T4_T5_T6_T7_T9_mT8_P12ihipStream_tbDpT10_ENKUlT_T0_E_clISt17integral_constantIbLb0EES1A_EEDaS15_S16_EUlS15_E_NS1_11comp_targetILNS1_3genE10ELNS1_11target_archE1200ELNS1_3gpuE4ELNS1_3repE0EEENS1_30default_config_static_selectorELNS0_4arch9wavefront6targetE0EEEvT1_.num_named_barrier, 0
	.set _ZN7rocprim17ROCPRIM_400000_NS6detail17trampoline_kernelINS0_14default_configENS1_25partition_config_selectorILNS1_17partition_subalgoE9EiibEEZZNS1_14partition_implILS5_9ELb0ES3_jPKiN6thrust23THRUST_200600_302600_NS17counting_iteratorIiNSB_11use_defaultESD_SD_EEPNS0_10empty_typeENS0_5tupleIJPiSF_EEENSH_IJSI_SG_EEENS0_18inequality_wrapperIN6hipcub16HIPCUB_304000_NS8EqualityEEEPlJSF_EEE10hipError_tPvRmT3_T4_T5_T6_T7_T9_mT8_P12ihipStream_tbDpT10_ENKUlT_T0_E_clISt17integral_constantIbLb0EES1A_EEDaS15_S16_EUlS15_E_NS1_11comp_targetILNS1_3genE10ELNS1_11target_archE1200ELNS1_3gpuE4ELNS1_3repE0EEENS1_30default_config_static_selectorELNS0_4arch9wavefront6targetE0EEEvT1_.private_seg_size, 0
	.set _ZN7rocprim17ROCPRIM_400000_NS6detail17trampoline_kernelINS0_14default_configENS1_25partition_config_selectorILNS1_17partition_subalgoE9EiibEEZZNS1_14partition_implILS5_9ELb0ES3_jPKiN6thrust23THRUST_200600_302600_NS17counting_iteratorIiNSB_11use_defaultESD_SD_EEPNS0_10empty_typeENS0_5tupleIJPiSF_EEENSH_IJSI_SG_EEENS0_18inequality_wrapperIN6hipcub16HIPCUB_304000_NS8EqualityEEEPlJSF_EEE10hipError_tPvRmT3_T4_T5_T6_T7_T9_mT8_P12ihipStream_tbDpT10_ENKUlT_T0_E_clISt17integral_constantIbLb0EES1A_EEDaS15_S16_EUlS15_E_NS1_11comp_targetILNS1_3genE10ELNS1_11target_archE1200ELNS1_3gpuE4ELNS1_3repE0EEENS1_30default_config_static_selectorELNS0_4arch9wavefront6targetE0EEEvT1_.uses_vcc, 0
	.set _ZN7rocprim17ROCPRIM_400000_NS6detail17trampoline_kernelINS0_14default_configENS1_25partition_config_selectorILNS1_17partition_subalgoE9EiibEEZZNS1_14partition_implILS5_9ELb0ES3_jPKiN6thrust23THRUST_200600_302600_NS17counting_iteratorIiNSB_11use_defaultESD_SD_EEPNS0_10empty_typeENS0_5tupleIJPiSF_EEENSH_IJSI_SG_EEENS0_18inequality_wrapperIN6hipcub16HIPCUB_304000_NS8EqualityEEEPlJSF_EEE10hipError_tPvRmT3_T4_T5_T6_T7_T9_mT8_P12ihipStream_tbDpT10_ENKUlT_T0_E_clISt17integral_constantIbLb0EES1A_EEDaS15_S16_EUlS15_E_NS1_11comp_targetILNS1_3genE10ELNS1_11target_archE1200ELNS1_3gpuE4ELNS1_3repE0EEENS1_30default_config_static_selectorELNS0_4arch9wavefront6targetE0EEEvT1_.uses_flat_scratch, 0
	.set _ZN7rocprim17ROCPRIM_400000_NS6detail17trampoline_kernelINS0_14default_configENS1_25partition_config_selectorILNS1_17partition_subalgoE9EiibEEZZNS1_14partition_implILS5_9ELb0ES3_jPKiN6thrust23THRUST_200600_302600_NS17counting_iteratorIiNSB_11use_defaultESD_SD_EEPNS0_10empty_typeENS0_5tupleIJPiSF_EEENSH_IJSI_SG_EEENS0_18inequality_wrapperIN6hipcub16HIPCUB_304000_NS8EqualityEEEPlJSF_EEE10hipError_tPvRmT3_T4_T5_T6_T7_T9_mT8_P12ihipStream_tbDpT10_ENKUlT_T0_E_clISt17integral_constantIbLb0EES1A_EEDaS15_S16_EUlS15_E_NS1_11comp_targetILNS1_3genE10ELNS1_11target_archE1200ELNS1_3gpuE4ELNS1_3repE0EEENS1_30default_config_static_selectorELNS0_4arch9wavefront6targetE0EEEvT1_.has_dyn_sized_stack, 0
	.set _ZN7rocprim17ROCPRIM_400000_NS6detail17trampoline_kernelINS0_14default_configENS1_25partition_config_selectorILNS1_17partition_subalgoE9EiibEEZZNS1_14partition_implILS5_9ELb0ES3_jPKiN6thrust23THRUST_200600_302600_NS17counting_iteratorIiNSB_11use_defaultESD_SD_EEPNS0_10empty_typeENS0_5tupleIJPiSF_EEENSH_IJSI_SG_EEENS0_18inequality_wrapperIN6hipcub16HIPCUB_304000_NS8EqualityEEEPlJSF_EEE10hipError_tPvRmT3_T4_T5_T6_T7_T9_mT8_P12ihipStream_tbDpT10_ENKUlT_T0_E_clISt17integral_constantIbLb0EES1A_EEDaS15_S16_EUlS15_E_NS1_11comp_targetILNS1_3genE10ELNS1_11target_archE1200ELNS1_3gpuE4ELNS1_3repE0EEENS1_30default_config_static_selectorELNS0_4arch9wavefront6targetE0EEEvT1_.has_recursion, 0
	.set _ZN7rocprim17ROCPRIM_400000_NS6detail17trampoline_kernelINS0_14default_configENS1_25partition_config_selectorILNS1_17partition_subalgoE9EiibEEZZNS1_14partition_implILS5_9ELb0ES3_jPKiN6thrust23THRUST_200600_302600_NS17counting_iteratorIiNSB_11use_defaultESD_SD_EEPNS0_10empty_typeENS0_5tupleIJPiSF_EEENSH_IJSI_SG_EEENS0_18inequality_wrapperIN6hipcub16HIPCUB_304000_NS8EqualityEEEPlJSF_EEE10hipError_tPvRmT3_T4_T5_T6_T7_T9_mT8_P12ihipStream_tbDpT10_ENKUlT_T0_E_clISt17integral_constantIbLb0EES1A_EEDaS15_S16_EUlS15_E_NS1_11comp_targetILNS1_3genE10ELNS1_11target_archE1200ELNS1_3gpuE4ELNS1_3repE0EEENS1_30default_config_static_selectorELNS0_4arch9wavefront6targetE0EEEvT1_.has_indirect_call, 0
	.section	.AMDGPU.csdata,"",@progbits
; Kernel info:
; codeLenInByte = 0
; TotalNumSgprs: 0
; NumVgprs: 0
; ScratchSize: 0
; MemoryBound: 0
; FloatMode: 240
; IeeeMode: 1
; LDSByteSize: 0 bytes/workgroup (compile time only)
; SGPRBlocks: 0
; VGPRBlocks: 0
; NumSGPRsForWavesPerEU: 1
; NumVGPRsForWavesPerEU: 1
; NamedBarCnt: 0
; Occupancy: 16
; WaveLimiterHint : 0
; COMPUTE_PGM_RSRC2:SCRATCH_EN: 0
; COMPUTE_PGM_RSRC2:USER_SGPR: 2
; COMPUTE_PGM_RSRC2:TRAP_HANDLER: 0
; COMPUTE_PGM_RSRC2:TGID_X_EN: 1
; COMPUTE_PGM_RSRC2:TGID_Y_EN: 0
; COMPUTE_PGM_RSRC2:TGID_Z_EN: 0
; COMPUTE_PGM_RSRC2:TIDIG_COMP_CNT: 0
	.section	.text._ZN7rocprim17ROCPRIM_400000_NS6detail17trampoline_kernelINS0_14default_configENS1_25partition_config_selectorILNS1_17partition_subalgoE9EiibEEZZNS1_14partition_implILS5_9ELb0ES3_jPKiN6thrust23THRUST_200600_302600_NS17counting_iteratorIiNSB_11use_defaultESD_SD_EEPNS0_10empty_typeENS0_5tupleIJPiSF_EEENSH_IJSI_SG_EEENS0_18inequality_wrapperIN6hipcub16HIPCUB_304000_NS8EqualityEEEPlJSF_EEE10hipError_tPvRmT3_T4_T5_T6_T7_T9_mT8_P12ihipStream_tbDpT10_ENKUlT_T0_E_clISt17integral_constantIbLb0EES1A_EEDaS15_S16_EUlS15_E_NS1_11comp_targetILNS1_3genE9ELNS1_11target_archE1100ELNS1_3gpuE3ELNS1_3repE0EEENS1_30default_config_static_selectorELNS0_4arch9wavefront6targetE0EEEvT1_,"axG",@progbits,_ZN7rocprim17ROCPRIM_400000_NS6detail17trampoline_kernelINS0_14default_configENS1_25partition_config_selectorILNS1_17partition_subalgoE9EiibEEZZNS1_14partition_implILS5_9ELb0ES3_jPKiN6thrust23THRUST_200600_302600_NS17counting_iteratorIiNSB_11use_defaultESD_SD_EEPNS0_10empty_typeENS0_5tupleIJPiSF_EEENSH_IJSI_SG_EEENS0_18inequality_wrapperIN6hipcub16HIPCUB_304000_NS8EqualityEEEPlJSF_EEE10hipError_tPvRmT3_T4_T5_T6_T7_T9_mT8_P12ihipStream_tbDpT10_ENKUlT_T0_E_clISt17integral_constantIbLb0EES1A_EEDaS15_S16_EUlS15_E_NS1_11comp_targetILNS1_3genE9ELNS1_11target_archE1100ELNS1_3gpuE3ELNS1_3repE0EEENS1_30default_config_static_selectorELNS0_4arch9wavefront6targetE0EEEvT1_,comdat
	.protected	_ZN7rocprim17ROCPRIM_400000_NS6detail17trampoline_kernelINS0_14default_configENS1_25partition_config_selectorILNS1_17partition_subalgoE9EiibEEZZNS1_14partition_implILS5_9ELb0ES3_jPKiN6thrust23THRUST_200600_302600_NS17counting_iteratorIiNSB_11use_defaultESD_SD_EEPNS0_10empty_typeENS0_5tupleIJPiSF_EEENSH_IJSI_SG_EEENS0_18inequality_wrapperIN6hipcub16HIPCUB_304000_NS8EqualityEEEPlJSF_EEE10hipError_tPvRmT3_T4_T5_T6_T7_T9_mT8_P12ihipStream_tbDpT10_ENKUlT_T0_E_clISt17integral_constantIbLb0EES1A_EEDaS15_S16_EUlS15_E_NS1_11comp_targetILNS1_3genE9ELNS1_11target_archE1100ELNS1_3gpuE3ELNS1_3repE0EEENS1_30default_config_static_selectorELNS0_4arch9wavefront6targetE0EEEvT1_ ; -- Begin function _ZN7rocprim17ROCPRIM_400000_NS6detail17trampoline_kernelINS0_14default_configENS1_25partition_config_selectorILNS1_17partition_subalgoE9EiibEEZZNS1_14partition_implILS5_9ELb0ES3_jPKiN6thrust23THRUST_200600_302600_NS17counting_iteratorIiNSB_11use_defaultESD_SD_EEPNS0_10empty_typeENS0_5tupleIJPiSF_EEENSH_IJSI_SG_EEENS0_18inequality_wrapperIN6hipcub16HIPCUB_304000_NS8EqualityEEEPlJSF_EEE10hipError_tPvRmT3_T4_T5_T6_T7_T9_mT8_P12ihipStream_tbDpT10_ENKUlT_T0_E_clISt17integral_constantIbLb0EES1A_EEDaS15_S16_EUlS15_E_NS1_11comp_targetILNS1_3genE9ELNS1_11target_archE1100ELNS1_3gpuE3ELNS1_3repE0EEENS1_30default_config_static_selectorELNS0_4arch9wavefront6targetE0EEEvT1_
	.globl	_ZN7rocprim17ROCPRIM_400000_NS6detail17trampoline_kernelINS0_14default_configENS1_25partition_config_selectorILNS1_17partition_subalgoE9EiibEEZZNS1_14partition_implILS5_9ELb0ES3_jPKiN6thrust23THRUST_200600_302600_NS17counting_iteratorIiNSB_11use_defaultESD_SD_EEPNS0_10empty_typeENS0_5tupleIJPiSF_EEENSH_IJSI_SG_EEENS0_18inequality_wrapperIN6hipcub16HIPCUB_304000_NS8EqualityEEEPlJSF_EEE10hipError_tPvRmT3_T4_T5_T6_T7_T9_mT8_P12ihipStream_tbDpT10_ENKUlT_T0_E_clISt17integral_constantIbLb0EES1A_EEDaS15_S16_EUlS15_E_NS1_11comp_targetILNS1_3genE9ELNS1_11target_archE1100ELNS1_3gpuE3ELNS1_3repE0EEENS1_30default_config_static_selectorELNS0_4arch9wavefront6targetE0EEEvT1_
	.p2align	8
	.type	_ZN7rocprim17ROCPRIM_400000_NS6detail17trampoline_kernelINS0_14default_configENS1_25partition_config_selectorILNS1_17partition_subalgoE9EiibEEZZNS1_14partition_implILS5_9ELb0ES3_jPKiN6thrust23THRUST_200600_302600_NS17counting_iteratorIiNSB_11use_defaultESD_SD_EEPNS0_10empty_typeENS0_5tupleIJPiSF_EEENSH_IJSI_SG_EEENS0_18inequality_wrapperIN6hipcub16HIPCUB_304000_NS8EqualityEEEPlJSF_EEE10hipError_tPvRmT3_T4_T5_T6_T7_T9_mT8_P12ihipStream_tbDpT10_ENKUlT_T0_E_clISt17integral_constantIbLb0EES1A_EEDaS15_S16_EUlS15_E_NS1_11comp_targetILNS1_3genE9ELNS1_11target_archE1100ELNS1_3gpuE3ELNS1_3repE0EEENS1_30default_config_static_selectorELNS0_4arch9wavefront6targetE0EEEvT1_,@function
_ZN7rocprim17ROCPRIM_400000_NS6detail17trampoline_kernelINS0_14default_configENS1_25partition_config_selectorILNS1_17partition_subalgoE9EiibEEZZNS1_14partition_implILS5_9ELb0ES3_jPKiN6thrust23THRUST_200600_302600_NS17counting_iteratorIiNSB_11use_defaultESD_SD_EEPNS0_10empty_typeENS0_5tupleIJPiSF_EEENSH_IJSI_SG_EEENS0_18inequality_wrapperIN6hipcub16HIPCUB_304000_NS8EqualityEEEPlJSF_EEE10hipError_tPvRmT3_T4_T5_T6_T7_T9_mT8_P12ihipStream_tbDpT10_ENKUlT_T0_E_clISt17integral_constantIbLb0EES1A_EEDaS15_S16_EUlS15_E_NS1_11comp_targetILNS1_3genE9ELNS1_11target_archE1100ELNS1_3gpuE3ELNS1_3repE0EEENS1_30default_config_static_selectorELNS0_4arch9wavefront6targetE0EEEvT1_: ; @_ZN7rocprim17ROCPRIM_400000_NS6detail17trampoline_kernelINS0_14default_configENS1_25partition_config_selectorILNS1_17partition_subalgoE9EiibEEZZNS1_14partition_implILS5_9ELb0ES3_jPKiN6thrust23THRUST_200600_302600_NS17counting_iteratorIiNSB_11use_defaultESD_SD_EEPNS0_10empty_typeENS0_5tupleIJPiSF_EEENSH_IJSI_SG_EEENS0_18inequality_wrapperIN6hipcub16HIPCUB_304000_NS8EqualityEEEPlJSF_EEE10hipError_tPvRmT3_T4_T5_T6_T7_T9_mT8_P12ihipStream_tbDpT10_ENKUlT_T0_E_clISt17integral_constantIbLb0EES1A_EEDaS15_S16_EUlS15_E_NS1_11comp_targetILNS1_3genE9ELNS1_11target_archE1100ELNS1_3gpuE3ELNS1_3repE0EEENS1_30default_config_static_selectorELNS0_4arch9wavefront6targetE0EEEvT1_
; %bb.0:
	.section	.rodata,"a",@progbits
	.p2align	6, 0x0
	.amdhsa_kernel _ZN7rocprim17ROCPRIM_400000_NS6detail17trampoline_kernelINS0_14default_configENS1_25partition_config_selectorILNS1_17partition_subalgoE9EiibEEZZNS1_14partition_implILS5_9ELb0ES3_jPKiN6thrust23THRUST_200600_302600_NS17counting_iteratorIiNSB_11use_defaultESD_SD_EEPNS0_10empty_typeENS0_5tupleIJPiSF_EEENSH_IJSI_SG_EEENS0_18inequality_wrapperIN6hipcub16HIPCUB_304000_NS8EqualityEEEPlJSF_EEE10hipError_tPvRmT3_T4_T5_T6_T7_T9_mT8_P12ihipStream_tbDpT10_ENKUlT_T0_E_clISt17integral_constantIbLb0EES1A_EEDaS15_S16_EUlS15_E_NS1_11comp_targetILNS1_3genE9ELNS1_11target_archE1100ELNS1_3gpuE3ELNS1_3repE0EEENS1_30default_config_static_selectorELNS0_4arch9wavefront6targetE0EEEvT1_
		.amdhsa_group_segment_fixed_size 0
		.amdhsa_private_segment_fixed_size 0
		.amdhsa_kernarg_size 112
		.amdhsa_user_sgpr_count 2
		.amdhsa_user_sgpr_dispatch_ptr 0
		.amdhsa_user_sgpr_queue_ptr 0
		.amdhsa_user_sgpr_kernarg_segment_ptr 1
		.amdhsa_user_sgpr_dispatch_id 0
		.amdhsa_user_sgpr_kernarg_preload_length 0
		.amdhsa_user_sgpr_kernarg_preload_offset 0
		.amdhsa_user_sgpr_private_segment_size 0
		.amdhsa_wavefront_size32 1
		.amdhsa_uses_dynamic_stack 0
		.amdhsa_enable_private_segment 0
		.amdhsa_system_sgpr_workgroup_id_x 1
		.amdhsa_system_sgpr_workgroup_id_y 0
		.amdhsa_system_sgpr_workgroup_id_z 0
		.amdhsa_system_sgpr_workgroup_info 0
		.amdhsa_system_vgpr_workitem_id 0
		.amdhsa_next_free_vgpr 1
		.amdhsa_next_free_sgpr 1
		.amdhsa_named_barrier_count 0
		.amdhsa_reserve_vcc 0
		.amdhsa_float_round_mode_32 0
		.amdhsa_float_round_mode_16_64 0
		.amdhsa_float_denorm_mode_32 3
		.amdhsa_float_denorm_mode_16_64 3
		.amdhsa_fp16_overflow 0
		.amdhsa_memory_ordered 1
		.amdhsa_forward_progress 1
		.amdhsa_inst_pref_size 0
		.amdhsa_round_robin_scheduling 0
		.amdhsa_exception_fp_ieee_invalid_op 0
		.amdhsa_exception_fp_denorm_src 0
		.amdhsa_exception_fp_ieee_div_zero 0
		.amdhsa_exception_fp_ieee_overflow 0
		.amdhsa_exception_fp_ieee_underflow 0
		.amdhsa_exception_fp_ieee_inexact 0
		.amdhsa_exception_int_div_zero 0
	.end_amdhsa_kernel
	.section	.text._ZN7rocprim17ROCPRIM_400000_NS6detail17trampoline_kernelINS0_14default_configENS1_25partition_config_selectorILNS1_17partition_subalgoE9EiibEEZZNS1_14partition_implILS5_9ELb0ES3_jPKiN6thrust23THRUST_200600_302600_NS17counting_iteratorIiNSB_11use_defaultESD_SD_EEPNS0_10empty_typeENS0_5tupleIJPiSF_EEENSH_IJSI_SG_EEENS0_18inequality_wrapperIN6hipcub16HIPCUB_304000_NS8EqualityEEEPlJSF_EEE10hipError_tPvRmT3_T4_T5_T6_T7_T9_mT8_P12ihipStream_tbDpT10_ENKUlT_T0_E_clISt17integral_constantIbLb0EES1A_EEDaS15_S16_EUlS15_E_NS1_11comp_targetILNS1_3genE9ELNS1_11target_archE1100ELNS1_3gpuE3ELNS1_3repE0EEENS1_30default_config_static_selectorELNS0_4arch9wavefront6targetE0EEEvT1_,"axG",@progbits,_ZN7rocprim17ROCPRIM_400000_NS6detail17trampoline_kernelINS0_14default_configENS1_25partition_config_selectorILNS1_17partition_subalgoE9EiibEEZZNS1_14partition_implILS5_9ELb0ES3_jPKiN6thrust23THRUST_200600_302600_NS17counting_iteratorIiNSB_11use_defaultESD_SD_EEPNS0_10empty_typeENS0_5tupleIJPiSF_EEENSH_IJSI_SG_EEENS0_18inequality_wrapperIN6hipcub16HIPCUB_304000_NS8EqualityEEEPlJSF_EEE10hipError_tPvRmT3_T4_T5_T6_T7_T9_mT8_P12ihipStream_tbDpT10_ENKUlT_T0_E_clISt17integral_constantIbLb0EES1A_EEDaS15_S16_EUlS15_E_NS1_11comp_targetILNS1_3genE9ELNS1_11target_archE1100ELNS1_3gpuE3ELNS1_3repE0EEENS1_30default_config_static_selectorELNS0_4arch9wavefront6targetE0EEEvT1_,comdat
.Lfunc_end7:
	.size	_ZN7rocprim17ROCPRIM_400000_NS6detail17trampoline_kernelINS0_14default_configENS1_25partition_config_selectorILNS1_17partition_subalgoE9EiibEEZZNS1_14partition_implILS5_9ELb0ES3_jPKiN6thrust23THRUST_200600_302600_NS17counting_iteratorIiNSB_11use_defaultESD_SD_EEPNS0_10empty_typeENS0_5tupleIJPiSF_EEENSH_IJSI_SG_EEENS0_18inequality_wrapperIN6hipcub16HIPCUB_304000_NS8EqualityEEEPlJSF_EEE10hipError_tPvRmT3_T4_T5_T6_T7_T9_mT8_P12ihipStream_tbDpT10_ENKUlT_T0_E_clISt17integral_constantIbLb0EES1A_EEDaS15_S16_EUlS15_E_NS1_11comp_targetILNS1_3genE9ELNS1_11target_archE1100ELNS1_3gpuE3ELNS1_3repE0EEENS1_30default_config_static_selectorELNS0_4arch9wavefront6targetE0EEEvT1_, .Lfunc_end7-_ZN7rocprim17ROCPRIM_400000_NS6detail17trampoline_kernelINS0_14default_configENS1_25partition_config_selectorILNS1_17partition_subalgoE9EiibEEZZNS1_14partition_implILS5_9ELb0ES3_jPKiN6thrust23THRUST_200600_302600_NS17counting_iteratorIiNSB_11use_defaultESD_SD_EEPNS0_10empty_typeENS0_5tupleIJPiSF_EEENSH_IJSI_SG_EEENS0_18inequality_wrapperIN6hipcub16HIPCUB_304000_NS8EqualityEEEPlJSF_EEE10hipError_tPvRmT3_T4_T5_T6_T7_T9_mT8_P12ihipStream_tbDpT10_ENKUlT_T0_E_clISt17integral_constantIbLb0EES1A_EEDaS15_S16_EUlS15_E_NS1_11comp_targetILNS1_3genE9ELNS1_11target_archE1100ELNS1_3gpuE3ELNS1_3repE0EEENS1_30default_config_static_selectorELNS0_4arch9wavefront6targetE0EEEvT1_
                                        ; -- End function
	.set _ZN7rocprim17ROCPRIM_400000_NS6detail17trampoline_kernelINS0_14default_configENS1_25partition_config_selectorILNS1_17partition_subalgoE9EiibEEZZNS1_14partition_implILS5_9ELb0ES3_jPKiN6thrust23THRUST_200600_302600_NS17counting_iteratorIiNSB_11use_defaultESD_SD_EEPNS0_10empty_typeENS0_5tupleIJPiSF_EEENSH_IJSI_SG_EEENS0_18inequality_wrapperIN6hipcub16HIPCUB_304000_NS8EqualityEEEPlJSF_EEE10hipError_tPvRmT3_T4_T5_T6_T7_T9_mT8_P12ihipStream_tbDpT10_ENKUlT_T0_E_clISt17integral_constantIbLb0EES1A_EEDaS15_S16_EUlS15_E_NS1_11comp_targetILNS1_3genE9ELNS1_11target_archE1100ELNS1_3gpuE3ELNS1_3repE0EEENS1_30default_config_static_selectorELNS0_4arch9wavefront6targetE0EEEvT1_.num_vgpr, 0
	.set _ZN7rocprim17ROCPRIM_400000_NS6detail17trampoline_kernelINS0_14default_configENS1_25partition_config_selectorILNS1_17partition_subalgoE9EiibEEZZNS1_14partition_implILS5_9ELb0ES3_jPKiN6thrust23THRUST_200600_302600_NS17counting_iteratorIiNSB_11use_defaultESD_SD_EEPNS0_10empty_typeENS0_5tupleIJPiSF_EEENSH_IJSI_SG_EEENS0_18inequality_wrapperIN6hipcub16HIPCUB_304000_NS8EqualityEEEPlJSF_EEE10hipError_tPvRmT3_T4_T5_T6_T7_T9_mT8_P12ihipStream_tbDpT10_ENKUlT_T0_E_clISt17integral_constantIbLb0EES1A_EEDaS15_S16_EUlS15_E_NS1_11comp_targetILNS1_3genE9ELNS1_11target_archE1100ELNS1_3gpuE3ELNS1_3repE0EEENS1_30default_config_static_selectorELNS0_4arch9wavefront6targetE0EEEvT1_.num_agpr, 0
	.set _ZN7rocprim17ROCPRIM_400000_NS6detail17trampoline_kernelINS0_14default_configENS1_25partition_config_selectorILNS1_17partition_subalgoE9EiibEEZZNS1_14partition_implILS5_9ELb0ES3_jPKiN6thrust23THRUST_200600_302600_NS17counting_iteratorIiNSB_11use_defaultESD_SD_EEPNS0_10empty_typeENS0_5tupleIJPiSF_EEENSH_IJSI_SG_EEENS0_18inequality_wrapperIN6hipcub16HIPCUB_304000_NS8EqualityEEEPlJSF_EEE10hipError_tPvRmT3_T4_T5_T6_T7_T9_mT8_P12ihipStream_tbDpT10_ENKUlT_T0_E_clISt17integral_constantIbLb0EES1A_EEDaS15_S16_EUlS15_E_NS1_11comp_targetILNS1_3genE9ELNS1_11target_archE1100ELNS1_3gpuE3ELNS1_3repE0EEENS1_30default_config_static_selectorELNS0_4arch9wavefront6targetE0EEEvT1_.numbered_sgpr, 0
	.set _ZN7rocprim17ROCPRIM_400000_NS6detail17trampoline_kernelINS0_14default_configENS1_25partition_config_selectorILNS1_17partition_subalgoE9EiibEEZZNS1_14partition_implILS5_9ELb0ES3_jPKiN6thrust23THRUST_200600_302600_NS17counting_iteratorIiNSB_11use_defaultESD_SD_EEPNS0_10empty_typeENS0_5tupleIJPiSF_EEENSH_IJSI_SG_EEENS0_18inequality_wrapperIN6hipcub16HIPCUB_304000_NS8EqualityEEEPlJSF_EEE10hipError_tPvRmT3_T4_T5_T6_T7_T9_mT8_P12ihipStream_tbDpT10_ENKUlT_T0_E_clISt17integral_constantIbLb0EES1A_EEDaS15_S16_EUlS15_E_NS1_11comp_targetILNS1_3genE9ELNS1_11target_archE1100ELNS1_3gpuE3ELNS1_3repE0EEENS1_30default_config_static_selectorELNS0_4arch9wavefront6targetE0EEEvT1_.num_named_barrier, 0
	.set _ZN7rocprim17ROCPRIM_400000_NS6detail17trampoline_kernelINS0_14default_configENS1_25partition_config_selectorILNS1_17partition_subalgoE9EiibEEZZNS1_14partition_implILS5_9ELb0ES3_jPKiN6thrust23THRUST_200600_302600_NS17counting_iteratorIiNSB_11use_defaultESD_SD_EEPNS0_10empty_typeENS0_5tupleIJPiSF_EEENSH_IJSI_SG_EEENS0_18inequality_wrapperIN6hipcub16HIPCUB_304000_NS8EqualityEEEPlJSF_EEE10hipError_tPvRmT3_T4_T5_T6_T7_T9_mT8_P12ihipStream_tbDpT10_ENKUlT_T0_E_clISt17integral_constantIbLb0EES1A_EEDaS15_S16_EUlS15_E_NS1_11comp_targetILNS1_3genE9ELNS1_11target_archE1100ELNS1_3gpuE3ELNS1_3repE0EEENS1_30default_config_static_selectorELNS0_4arch9wavefront6targetE0EEEvT1_.private_seg_size, 0
	.set _ZN7rocprim17ROCPRIM_400000_NS6detail17trampoline_kernelINS0_14default_configENS1_25partition_config_selectorILNS1_17partition_subalgoE9EiibEEZZNS1_14partition_implILS5_9ELb0ES3_jPKiN6thrust23THRUST_200600_302600_NS17counting_iteratorIiNSB_11use_defaultESD_SD_EEPNS0_10empty_typeENS0_5tupleIJPiSF_EEENSH_IJSI_SG_EEENS0_18inequality_wrapperIN6hipcub16HIPCUB_304000_NS8EqualityEEEPlJSF_EEE10hipError_tPvRmT3_T4_T5_T6_T7_T9_mT8_P12ihipStream_tbDpT10_ENKUlT_T0_E_clISt17integral_constantIbLb0EES1A_EEDaS15_S16_EUlS15_E_NS1_11comp_targetILNS1_3genE9ELNS1_11target_archE1100ELNS1_3gpuE3ELNS1_3repE0EEENS1_30default_config_static_selectorELNS0_4arch9wavefront6targetE0EEEvT1_.uses_vcc, 0
	.set _ZN7rocprim17ROCPRIM_400000_NS6detail17trampoline_kernelINS0_14default_configENS1_25partition_config_selectorILNS1_17partition_subalgoE9EiibEEZZNS1_14partition_implILS5_9ELb0ES3_jPKiN6thrust23THRUST_200600_302600_NS17counting_iteratorIiNSB_11use_defaultESD_SD_EEPNS0_10empty_typeENS0_5tupleIJPiSF_EEENSH_IJSI_SG_EEENS0_18inequality_wrapperIN6hipcub16HIPCUB_304000_NS8EqualityEEEPlJSF_EEE10hipError_tPvRmT3_T4_T5_T6_T7_T9_mT8_P12ihipStream_tbDpT10_ENKUlT_T0_E_clISt17integral_constantIbLb0EES1A_EEDaS15_S16_EUlS15_E_NS1_11comp_targetILNS1_3genE9ELNS1_11target_archE1100ELNS1_3gpuE3ELNS1_3repE0EEENS1_30default_config_static_selectorELNS0_4arch9wavefront6targetE0EEEvT1_.uses_flat_scratch, 0
	.set _ZN7rocprim17ROCPRIM_400000_NS6detail17trampoline_kernelINS0_14default_configENS1_25partition_config_selectorILNS1_17partition_subalgoE9EiibEEZZNS1_14partition_implILS5_9ELb0ES3_jPKiN6thrust23THRUST_200600_302600_NS17counting_iteratorIiNSB_11use_defaultESD_SD_EEPNS0_10empty_typeENS0_5tupleIJPiSF_EEENSH_IJSI_SG_EEENS0_18inequality_wrapperIN6hipcub16HIPCUB_304000_NS8EqualityEEEPlJSF_EEE10hipError_tPvRmT3_T4_T5_T6_T7_T9_mT8_P12ihipStream_tbDpT10_ENKUlT_T0_E_clISt17integral_constantIbLb0EES1A_EEDaS15_S16_EUlS15_E_NS1_11comp_targetILNS1_3genE9ELNS1_11target_archE1100ELNS1_3gpuE3ELNS1_3repE0EEENS1_30default_config_static_selectorELNS0_4arch9wavefront6targetE0EEEvT1_.has_dyn_sized_stack, 0
	.set _ZN7rocprim17ROCPRIM_400000_NS6detail17trampoline_kernelINS0_14default_configENS1_25partition_config_selectorILNS1_17partition_subalgoE9EiibEEZZNS1_14partition_implILS5_9ELb0ES3_jPKiN6thrust23THRUST_200600_302600_NS17counting_iteratorIiNSB_11use_defaultESD_SD_EEPNS0_10empty_typeENS0_5tupleIJPiSF_EEENSH_IJSI_SG_EEENS0_18inequality_wrapperIN6hipcub16HIPCUB_304000_NS8EqualityEEEPlJSF_EEE10hipError_tPvRmT3_T4_T5_T6_T7_T9_mT8_P12ihipStream_tbDpT10_ENKUlT_T0_E_clISt17integral_constantIbLb0EES1A_EEDaS15_S16_EUlS15_E_NS1_11comp_targetILNS1_3genE9ELNS1_11target_archE1100ELNS1_3gpuE3ELNS1_3repE0EEENS1_30default_config_static_selectorELNS0_4arch9wavefront6targetE0EEEvT1_.has_recursion, 0
	.set _ZN7rocprim17ROCPRIM_400000_NS6detail17trampoline_kernelINS0_14default_configENS1_25partition_config_selectorILNS1_17partition_subalgoE9EiibEEZZNS1_14partition_implILS5_9ELb0ES3_jPKiN6thrust23THRUST_200600_302600_NS17counting_iteratorIiNSB_11use_defaultESD_SD_EEPNS0_10empty_typeENS0_5tupleIJPiSF_EEENSH_IJSI_SG_EEENS0_18inequality_wrapperIN6hipcub16HIPCUB_304000_NS8EqualityEEEPlJSF_EEE10hipError_tPvRmT3_T4_T5_T6_T7_T9_mT8_P12ihipStream_tbDpT10_ENKUlT_T0_E_clISt17integral_constantIbLb0EES1A_EEDaS15_S16_EUlS15_E_NS1_11comp_targetILNS1_3genE9ELNS1_11target_archE1100ELNS1_3gpuE3ELNS1_3repE0EEENS1_30default_config_static_selectorELNS0_4arch9wavefront6targetE0EEEvT1_.has_indirect_call, 0
	.section	.AMDGPU.csdata,"",@progbits
; Kernel info:
; codeLenInByte = 0
; TotalNumSgprs: 0
; NumVgprs: 0
; ScratchSize: 0
; MemoryBound: 0
; FloatMode: 240
; IeeeMode: 1
; LDSByteSize: 0 bytes/workgroup (compile time only)
; SGPRBlocks: 0
; VGPRBlocks: 0
; NumSGPRsForWavesPerEU: 1
; NumVGPRsForWavesPerEU: 1
; NamedBarCnt: 0
; Occupancy: 16
; WaveLimiterHint : 0
; COMPUTE_PGM_RSRC2:SCRATCH_EN: 0
; COMPUTE_PGM_RSRC2:USER_SGPR: 2
; COMPUTE_PGM_RSRC2:TRAP_HANDLER: 0
; COMPUTE_PGM_RSRC2:TGID_X_EN: 1
; COMPUTE_PGM_RSRC2:TGID_Y_EN: 0
; COMPUTE_PGM_RSRC2:TGID_Z_EN: 0
; COMPUTE_PGM_RSRC2:TIDIG_COMP_CNT: 0
	.section	.text._ZN7rocprim17ROCPRIM_400000_NS6detail17trampoline_kernelINS0_14default_configENS1_25partition_config_selectorILNS1_17partition_subalgoE9EiibEEZZNS1_14partition_implILS5_9ELb0ES3_jPKiN6thrust23THRUST_200600_302600_NS17counting_iteratorIiNSB_11use_defaultESD_SD_EEPNS0_10empty_typeENS0_5tupleIJPiSF_EEENSH_IJSI_SG_EEENS0_18inequality_wrapperIN6hipcub16HIPCUB_304000_NS8EqualityEEEPlJSF_EEE10hipError_tPvRmT3_T4_T5_T6_T7_T9_mT8_P12ihipStream_tbDpT10_ENKUlT_T0_E_clISt17integral_constantIbLb0EES1A_EEDaS15_S16_EUlS15_E_NS1_11comp_targetILNS1_3genE8ELNS1_11target_archE1030ELNS1_3gpuE2ELNS1_3repE0EEENS1_30default_config_static_selectorELNS0_4arch9wavefront6targetE0EEEvT1_,"axG",@progbits,_ZN7rocprim17ROCPRIM_400000_NS6detail17trampoline_kernelINS0_14default_configENS1_25partition_config_selectorILNS1_17partition_subalgoE9EiibEEZZNS1_14partition_implILS5_9ELb0ES3_jPKiN6thrust23THRUST_200600_302600_NS17counting_iteratorIiNSB_11use_defaultESD_SD_EEPNS0_10empty_typeENS0_5tupleIJPiSF_EEENSH_IJSI_SG_EEENS0_18inequality_wrapperIN6hipcub16HIPCUB_304000_NS8EqualityEEEPlJSF_EEE10hipError_tPvRmT3_T4_T5_T6_T7_T9_mT8_P12ihipStream_tbDpT10_ENKUlT_T0_E_clISt17integral_constantIbLb0EES1A_EEDaS15_S16_EUlS15_E_NS1_11comp_targetILNS1_3genE8ELNS1_11target_archE1030ELNS1_3gpuE2ELNS1_3repE0EEENS1_30default_config_static_selectorELNS0_4arch9wavefront6targetE0EEEvT1_,comdat
	.protected	_ZN7rocprim17ROCPRIM_400000_NS6detail17trampoline_kernelINS0_14default_configENS1_25partition_config_selectorILNS1_17partition_subalgoE9EiibEEZZNS1_14partition_implILS5_9ELb0ES3_jPKiN6thrust23THRUST_200600_302600_NS17counting_iteratorIiNSB_11use_defaultESD_SD_EEPNS0_10empty_typeENS0_5tupleIJPiSF_EEENSH_IJSI_SG_EEENS0_18inequality_wrapperIN6hipcub16HIPCUB_304000_NS8EqualityEEEPlJSF_EEE10hipError_tPvRmT3_T4_T5_T6_T7_T9_mT8_P12ihipStream_tbDpT10_ENKUlT_T0_E_clISt17integral_constantIbLb0EES1A_EEDaS15_S16_EUlS15_E_NS1_11comp_targetILNS1_3genE8ELNS1_11target_archE1030ELNS1_3gpuE2ELNS1_3repE0EEENS1_30default_config_static_selectorELNS0_4arch9wavefront6targetE0EEEvT1_ ; -- Begin function _ZN7rocprim17ROCPRIM_400000_NS6detail17trampoline_kernelINS0_14default_configENS1_25partition_config_selectorILNS1_17partition_subalgoE9EiibEEZZNS1_14partition_implILS5_9ELb0ES3_jPKiN6thrust23THRUST_200600_302600_NS17counting_iteratorIiNSB_11use_defaultESD_SD_EEPNS0_10empty_typeENS0_5tupleIJPiSF_EEENSH_IJSI_SG_EEENS0_18inequality_wrapperIN6hipcub16HIPCUB_304000_NS8EqualityEEEPlJSF_EEE10hipError_tPvRmT3_T4_T5_T6_T7_T9_mT8_P12ihipStream_tbDpT10_ENKUlT_T0_E_clISt17integral_constantIbLb0EES1A_EEDaS15_S16_EUlS15_E_NS1_11comp_targetILNS1_3genE8ELNS1_11target_archE1030ELNS1_3gpuE2ELNS1_3repE0EEENS1_30default_config_static_selectorELNS0_4arch9wavefront6targetE0EEEvT1_
	.globl	_ZN7rocprim17ROCPRIM_400000_NS6detail17trampoline_kernelINS0_14default_configENS1_25partition_config_selectorILNS1_17partition_subalgoE9EiibEEZZNS1_14partition_implILS5_9ELb0ES3_jPKiN6thrust23THRUST_200600_302600_NS17counting_iteratorIiNSB_11use_defaultESD_SD_EEPNS0_10empty_typeENS0_5tupleIJPiSF_EEENSH_IJSI_SG_EEENS0_18inequality_wrapperIN6hipcub16HIPCUB_304000_NS8EqualityEEEPlJSF_EEE10hipError_tPvRmT3_T4_T5_T6_T7_T9_mT8_P12ihipStream_tbDpT10_ENKUlT_T0_E_clISt17integral_constantIbLb0EES1A_EEDaS15_S16_EUlS15_E_NS1_11comp_targetILNS1_3genE8ELNS1_11target_archE1030ELNS1_3gpuE2ELNS1_3repE0EEENS1_30default_config_static_selectorELNS0_4arch9wavefront6targetE0EEEvT1_
	.p2align	8
	.type	_ZN7rocprim17ROCPRIM_400000_NS6detail17trampoline_kernelINS0_14default_configENS1_25partition_config_selectorILNS1_17partition_subalgoE9EiibEEZZNS1_14partition_implILS5_9ELb0ES3_jPKiN6thrust23THRUST_200600_302600_NS17counting_iteratorIiNSB_11use_defaultESD_SD_EEPNS0_10empty_typeENS0_5tupleIJPiSF_EEENSH_IJSI_SG_EEENS0_18inequality_wrapperIN6hipcub16HIPCUB_304000_NS8EqualityEEEPlJSF_EEE10hipError_tPvRmT3_T4_T5_T6_T7_T9_mT8_P12ihipStream_tbDpT10_ENKUlT_T0_E_clISt17integral_constantIbLb0EES1A_EEDaS15_S16_EUlS15_E_NS1_11comp_targetILNS1_3genE8ELNS1_11target_archE1030ELNS1_3gpuE2ELNS1_3repE0EEENS1_30default_config_static_selectorELNS0_4arch9wavefront6targetE0EEEvT1_,@function
_ZN7rocprim17ROCPRIM_400000_NS6detail17trampoline_kernelINS0_14default_configENS1_25partition_config_selectorILNS1_17partition_subalgoE9EiibEEZZNS1_14partition_implILS5_9ELb0ES3_jPKiN6thrust23THRUST_200600_302600_NS17counting_iteratorIiNSB_11use_defaultESD_SD_EEPNS0_10empty_typeENS0_5tupleIJPiSF_EEENSH_IJSI_SG_EEENS0_18inequality_wrapperIN6hipcub16HIPCUB_304000_NS8EqualityEEEPlJSF_EEE10hipError_tPvRmT3_T4_T5_T6_T7_T9_mT8_P12ihipStream_tbDpT10_ENKUlT_T0_E_clISt17integral_constantIbLb0EES1A_EEDaS15_S16_EUlS15_E_NS1_11comp_targetILNS1_3genE8ELNS1_11target_archE1030ELNS1_3gpuE2ELNS1_3repE0EEENS1_30default_config_static_selectorELNS0_4arch9wavefront6targetE0EEEvT1_: ; @_ZN7rocprim17ROCPRIM_400000_NS6detail17trampoline_kernelINS0_14default_configENS1_25partition_config_selectorILNS1_17partition_subalgoE9EiibEEZZNS1_14partition_implILS5_9ELb0ES3_jPKiN6thrust23THRUST_200600_302600_NS17counting_iteratorIiNSB_11use_defaultESD_SD_EEPNS0_10empty_typeENS0_5tupleIJPiSF_EEENSH_IJSI_SG_EEENS0_18inequality_wrapperIN6hipcub16HIPCUB_304000_NS8EqualityEEEPlJSF_EEE10hipError_tPvRmT3_T4_T5_T6_T7_T9_mT8_P12ihipStream_tbDpT10_ENKUlT_T0_E_clISt17integral_constantIbLb0EES1A_EEDaS15_S16_EUlS15_E_NS1_11comp_targetILNS1_3genE8ELNS1_11target_archE1030ELNS1_3gpuE2ELNS1_3repE0EEENS1_30default_config_static_selectorELNS0_4arch9wavefront6targetE0EEEvT1_
; %bb.0:
	.section	.rodata,"a",@progbits
	.p2align	6, 0x0
	.amdhsa_kernel _ZN7rocprim17ROCPRIM_400000_NS6detail17trampoline_kernelINS0_14default_configENS1_25partition_config_selectorILNS1_17partition_subalgoE9EiibEEZZNS1_14partition_implILS5_9ELb0ES3_jPKiN6thrust23THRUST_200600_302600_NS17counting_iteratorIiNSB_11use_defaultESD_SD_EEPNS0_10empty_typeENS0_5tupleIJPiSF_EEENSH_IJSI_SG_EEENS0_18inequality_wrapperIN6hipcub16HIPCUB_304000_NS8EqualityEEEPlJSF_EEE10hipError_tPvRmT3_T4_T5_T6_T7_T9_mT8_P12ihipStream_tbDpT10_ENKUlT_T0_E_clISt17integral_constantIbLb0EES1A_EEDaS15_S16_EUlS15_E_NS1_11comp_targetILNS1_3genE8ELNS1_11target_archE1030ELNS1_3gpuE2ELNS1_3repE0EEENS1_30default_config_static_selectorELNS0_4arch9wavefront6targetE0EEEvT1_
		.amdhsa_group_segment_fixed_size 0
		.amdhsa_private_segment_fixed_size 0
		.amdhsa_kernarg_size 112
		.amdhsa_user_sgpr_count 2
		.amdhsa_user_sgpr_dispatch_ptr 0
		.amdhsa_user_sgpr_queue_ptr 0
		.amdhsa_user_sgpr_kernarg_segment_ptr 1
		.amdhsa_user_sgpr_dispatch_id 0
		.amdhsa_user_sgpr_kernarg_preload_length 0
		.amdhsa_user_sgpr_kernarg_preload_offset 0
		.amdhsa_user_sgpr_private_segment_size 0
		.amdhsa_wavefront_size32 1
		.amdhsa_uses_dynamic_stack 0
		.amdhsa_enable_private_segment 0
		.amdhsa_system_sgpr_workgroup_id_x 1
		.amdhsa_system_sgpr_workgroup_id_y 0
		.amdhsa_system_sgpr_workgroup_id_z 0
		.amdhsa_system_sgpr_workgroup_info 0
		.amdhsa_system_vgpr_workitem_id 0
		.amdhsa_next_free_vgpr 1
		.amdhsa_next_free_sgpr 1
		.amdhsa_named_barrier_count 0
		.amdhsa_reserve_vcc 0
		.amdhsa_float_round_mode_32 0
		.amdhsa_float_round_mode_16_64 0
		.amdhsa_float_denorm_mode_32 3
		.amdhsa_float_denorm_mode_16_64 3
		.amdhsa_fp16_overflow 0
		.amdhsa_memory_ordered 1
		.amdhsa_forward_progress 1
		.amdhsa_inst_pref_size 0
		.amdhsa_round_robin_scheduling 0
		.amdhsa_exception_fp_ieee_invalid_op 0
		.amdhsa_exception_fp_denorm_src 0
		.amdhsa_exception_fp_ieee_div_zero 0
		.amdhsa_exception_fp_ieee_overflow 0
		.amdhsa_exception_fp_ieee_underflow 0
		.amdhsa_exception_fp_ieee_inexact 0
		.amdhsa_exception_int_div_zero 0
	.end_amdhsa_kernel
	.section	.text._ZN7rocprim17ROCPRIM_400000_NS6detail17trampoline_kernelINS0_14default_configENS1_25partition_config_selectorILNS1_17partition_subalgoE9EiibEEZZNS1_14partition_implILS5_9ELb0ES3_jPKiN6thrust23THRUST_200600_302600_NS17counting_iteratorIiNSB_11use_defaultESD_SD_EEPNS0_10empty_typeENS0_5tupleIJPiSF_EEENSH_IJSI_SG_EEENS0_18inequality_wrapperIN6hipcub16HIPCUB_304000_NS8EqualityEEEPlJSF_EEE10hipError_tPvRmT3_T4_T5_T6_T7_T9_mT8_P12ihipStream_tbDpT10_ENKUlT_T0_E_clISt17integral_constantIbLb0EES1A_EEDaS15_S16_EUlS15_E_NS1_11comp_targetILNS1_3genE8ELNS1_11target_archE1030ELNS1_3gpuE2ELNS1_3repE0EEENS1_30default_config_static_selectorELNS0_4arch9wavefront6targetE0EEEvT1_,"axG",@progbits,_ZN7rocprim17ROCPRIM_400000_NS6detail17trampoline_kernelINS0_14default_configENS1_25partition_config_selectorILNS1_17partition_subalgoE9EiibEEZZNS1_14partition_implILS5_9ELb0ES3_jPKiN6thrust23THRUST_200600_302600_NS17counting_iteratorIiNSB_11use_defaultESD_SD_EEPNS0_10empty_typeENS0_5tupleIJPiSF_EEENSH_IJSI_SG_EEENS0_18inequality_wrapperIN6hipcub16HIPCUB_304000_NS8EqualityEEEPlJSF_EEE10hipError_tPvRmT3_T4_T5_T6_T7_T9_mT8_P12ihipStream_tbDpT10_ENKUlT_T0_E_clISt17integral_constantIbLb0EES1A_EEDaS15_S16_EUlS15_E_NS1_11comp_targetILNS1_3genE8ELNS1_11target_archE1030ELNS1_3gpuE2ELNS1_3repE0EEENS1_30default_config_static_selectorELNS0_4arch9wavefront6targetE0EEEvT1_,comdat
.Lfunc_end8:
	.size	_ZN7rocprim17ROCPRIM_400000_NS6detail17trampoline_kernelINS0_14default_configENS1_25partition_config_selectorILNS1_17partition_subalgoE9EiibEEZZNS1_14partition_implILS5_9ELb0ES3_jPKiN6thrust23THRUST_200600_302600_NS17counting_iteratorIiNSB_11use_defaultESD_SD_EEPNS0_10empty_typeENS0_5tupleIJPiSF_EEENSH_IJSI_SG_EEENS0_18inequality_wrapperIN6hipcub16HIPCUB_304000_NS8EqualityEEEPlJSF_EEE10hipError_tPvRmT3_T4_T5_T6_T7_T9_mT8_P12ihipStream_tbDpT10_ENKUlT_T0_E_clISt17integral_constantIbLb0EES1A_EEDaS15_S16_EUlS15_E_NS1_11comp_targetILNS1_3genE8ELNS1_11target_archE1030ELNS1_3gpuE2ELNS1_3repE0EEENS1_30default_config_static_selectorELNS0_4arch9wavefront6targetE0EEEvT1_, .Lfunc_end8-_ZN7rocprim17ROCPRIM_400000_NS6detail17trampoline_kernelINS0_14default_configENS1_25partition_config_selectorILNS1_17partition_subalgoE9EiibEEZZNS1_14partition_implILS5_9ELb0ES3_jPKiN6thrust23THRUST_200600_302600_NS17counting_iteratorIiNSB_11use_defaultESD_SD_EEPNS0_10empty_typeENS0_5tupleIJPiSF_EEENSH_IJSI_SG_EEENS0_18inequality_wrapperIN6hipcub16HIPCUB_304000_NS8EqualityEEEPlJSF_EEE10hipError_tPvRmT3_T4_T5_T6_T7_T9_mT8_P12ihipStream_tbDpT10_ENKUlT_T0_E_clISt17integral_constantIbLb0EES1A_EEDaS15_S16_EUlS15_E_NS1_11comp_targetILNS1_3genE8ELNS1_11target_archE1030ELNS1_3gpuE2ELNS1_3repE0EEENS1_30default_config_static_selectorELNS0_4arch9wavefront6targetE0EEEvT1_
                                        ; -- End function
	.set _ZN7rocprim17ROCPRIM_400000_NS6detail17trampoline_kernelINS0_14default_configENS1_25partition_config_selectorILNS1_17partition_subalgoE9EiibEEZZNS1_14partition_implILS5_9ELb0ES3_jPKiN6thrust23THRUST_200600_302600_NS17counting_iteratorIiNSB_11use_defaultESD_SD_EEPNS0_10empty_typeENS0_5tupleIJPiSF_EEENSH_IJSI_SG_EEENS0_18inequality_wrapperIN6hipcub16HIPCUB_304000_NS8EqualityEEEPlJSF_EEE10hipError_tPvRmT3_T4_T5_T6_T7_T9_mT8_P12ihipStream_tbDpT10_ENKUlT_T0_E_clISt17integral_constantIbLb0EES1A_EEDaS15_S16_EUlS15_E_NS1_11comp_targetILNS1_3genE8ELNS1_11target_archE1030ELNS1_3gpuE2ELNS1_3repE0EEENS1_30default_config_static_selectorELNS0_4arch9wavefront6targetE0EEEvT1_.num_vgpr, 0
	.set _ZN7rocprim17ROCPRIM_400000_NS6detail17trampoline_kernelINS0_14default_configENS1_25partition_config_selectorILNS1_17partition_subalgoE9EiibEEZZNS1_14partition_implILS5_9ELb0ES3_jPKiN6thrust23THRUST_200600_302600_NS17counting_iteratorIiNSB_11use_defaultESD_SD_EEPNS0_10empty_typeENS0_5tupleIJPiSF_EEENSH_IJSI_SG_EEENS0_18inequality_wrapperIN6hipcub16HIPCUB_304000_NS8EqualityEEEPlJSF_EEE10hipError_tPvRmT3_T4_T5_T6_T7_T9_mT8_P12ihipStream_tbDpT10_ENKUlT_T0_E_clISt17integral_constantIbLb0EES1A_EEDaS15_S16_EUlS15_E_NS1_11comp_targetILNS1_3genE8ELNS1_11target_archE1030ELNS1_3gpuE2ELNS1_3repE0EEENS1_30default_config_static_selectorELNS0_4arch9wavefront6targetE0EEEvT1_.num_agpr, 0
	.set _ZN7rocprim17ROCPRIM_400000_NS6detail17trampoline_kernelINS0_14default_configENS1_25partition_config_selectorILNS1_17partition_subalgoE9EiibEEZZNS1_14partition_implILS5_9ELb0ES3_jPKiN6thrust23THRUST_200600_302600_NS17counting_iteratorIiNSB_11use_defaultESD_SD_EEPNS0_10empty_typeENS0_5tupleIJPiSF_EEENSH_IJSI_SG_EEENS0_18inequality_wrapperIN6hipcub16HIPCUB_304000_NS8EqualityEEEPlJSF_EEE10hipError_tPvRmT3_T4_T5_T6_T7_T9_mT8_P12ihipStream_tbDpT10_ENKUlT_T0_E_clISt17integral_constantIbLb0EES1A_EEDaS15_S16_EUlS15_E_NS1_11comp_targetILNS1_3genE8ELNS1_11target_archE1030ELNS1_3gpuE2ELNS1_3repE0EEENS1_30default_config_static_selectorELNS0_4arch9wavefront6targetE0EEEvT1_.numbered_sgpr, 0
	.set _ZN7rocprim17ROCPRIM_400000_NS6detail17trampoline_kernelINS0_14default_configENS1_25partition_config_selectorILNS1_17partition_subalgoE9EiibEEZZNS1_14partition_implILS5_9ELb0ES3_jPKiN6thrust23THRUST_200600_302600_NS17counting_iteratorIiNSB_11use_defaultESD_SD_EEPNS0_10empty_typeENS0_5tupleIJPiSF_EEENSH_IJSI_SG_EEENS0_18inequality_wrapperIN6hipcub16HIPCUB_304000_NS8EqualityEEEPlJSF_EEE10hipError_tPvRmT3_T4_T5_T6_T7_T9_mT8_P12ihipStream_tbDpT10_ENKUlT_T0_E_clISt17integral_constantIbLb0EES1A_EEDaS15_S16_EUlS15_E_NS1_11comp_targetILNS1_3genE8ELNS1_11target_archE1030ELNS1_3gpuE2ELNS1_3repE0EEENS1_30default_config_static_selectorELNS0_4arch9wavefront6targetE0EEEvT1_.num_named_barrier, 0
	.set _ZN7rocprim17ROCPRIM_400000_NS6detail17trampoline_kernelINS0_14default_configENS1_25partition_config_selectorILNS1_17partition_subalgoE9EiibEEZZNS1_14partition_implILS5_9ELb0ES3_jPKiN6thrust23THRUST_200600_302600_NS17counting_iteratorIiNSB_11use_defaultESD_SD_EEPNS0_10empty_typeENS0_5tupleIJPiSF_EEENSH_IJSI_SG_EEENS0_18inequality_wrapperIN6hipcub16HIPCUB_304000_NS8EqualityEEEPlJSF_EEE10hipError_tPvRmT3_T4_T5_T6_T7_T9_mT8_P12ihipStream_tbDpT10_ENKUlT_T0_E_clISt17integral_constantIbLb0EES1A_EEDaS15_S16_EUlS15_E_NS1_11comp_targetILNS1_3genE8ELNS1_11target_archE1030ELNS1_3gpuE2ELNS1_3repE0EEENS1_30default_config_static_selectorELNS0_4arch9wavefront6targetE0EEEvT1_.private_seg_size, 0
	.set _ZN7rocprim17ROCPRIM_400000_NS6detail17trampoline_kernelINS0_14default_configENS1_25partition_config_selectorILNS1_17partition_subalgoE9EiibEEZZNS1_14partition_implILS5_9ELb0ES3_jPKiN6thrust23THRUST_200600_302600_NS17counting_iteratorIiNSB_11use_defaultESD_SD_EEPNS0_10empty_typeENS0_5tupleIJPiSF_EEENSH_IJSI_SG_EEENS0_18inequality_wrapperIN6hipcub16HIPCUB_304000_NS8EqualityEEEPlJSF_EEE10hipError_tPvRmT3_T4_T5_T6_T7_T9_mT8_P12ihipStream_tbDpT10_ENKUlT_T0_E_clISt17integral_constantIbLb0EES1A_EEDaS15_S16_EUlS15_E_NS1_11comp_targetILNS1_3genE8ELNS1_11target_archE1030ELNS1_3gpuE2ELNS1_3repE0EEENS1_30default_config_static_selectorELNS0_4arch9wavefront6targetE0EEEvT1_.uses_vcc, 0
	.set _ZN7rocprim17ROCPRIM_400000_NS6detail17trampoline_kernelINS0_14default_configENS1_25partition_config_selectorILNS1_17partition_subalgoE9EiibEEZZNS1_14partition_implILS5_9ELb0ES3_jPKiN6thrust23THRUST_200600_302600_NS17counting_iteratorIiNSB_11use_defaultESD_SD_EEPNS0_10empty_typeENS0_5tupleIJPiSF_EEENSH_IJSI_SG_EEENS0_18inequality_wrapperIN6hipcub16HIPCUB_304000_NS8EqualityEEEPlJSF_EEE10hipError_tPvRmT3_T4_T5_T6_T7_T9_mT8_P12ihipStream_tbDpT10_ENKUlT_T0_E_clISt17integral_constantIbLb0EES1A_EEDaS15_S16_EUlS15_E_NS1_11comp_targetILNS1_3genE8ELNS1_11target_archE1030ELNS1_3gpuE2ELNS1_3repE0EEENS1_30default_config_static_selectorELNS0_4arch9wavefront6targetE0EEEvT1_.uses_flat_scratch, 0
	.set _ZN7rocprim17ROCPRIM_400000_NS6detail17trampoline_kernelINS0_14default_configENS1_25partition_config_selectorILNS1_17partition_subalgoE9EiibEEZZNS1_14partition_implILS5_9ELb0ES3_jPKiN6thrust23THRUST_200600_302600_NS17counting_iteratorIiNSB_11use_defaultESD_SD_EEPNS0_10empty_typeENS0_5tupleIJPiSF_EEENSH_IJSI_SG_EEENS0_18inequality_wrapperIN6hipcub16HIPCUB_304000_NS8EqualityEEEPlJSF_EEE10hipError_tPvRmT3_T4_T5_T6_T7_T9_mT8_P12ihipStream_tbDpT10_ENKUlT_T0_E_clISt17integral_constantIbLb0EES1A_EEDaS15_S16_EUlS15_E_NS1_11comp_targetILNS1_3genE8ELNS1_11target_archE1030ELNS1_3gpuE2ELNS1_3repE0EEENS1_30default_config_static_selectorELNS0_4arch9wavefront6targetE0EEEvT1_.has_dyn_sized_stack, 0
	.set _ZN7rocprim17ROCPRIM_400000_NS6detail17trampoline_kernelINS0_14default_configENS1_25partition_config_selectorILNS1_17partition_subalgoE9EiibEEZZNS1_14partition_implILS5_9ELb0ES3_jPKiN6thrust23THRUST_200600_302600_NS17counting_iteratorIiNSB_11use_defaultESD_SD_EEPNS0_10empty_typeENS0_5tupleIJPiSF_EEENSH_IJSI_SG_EEENS0_18inequality_wrapperIN6hipcub16HIPCUB_304000_NS8EqualityEEEPlJSF_EEE10hipError_tPvRmT3_T4_T5_T6_T7_T9_mT8_P12ihipStream_tbDpT10_ENKUlT_T0_E_clISt17integral_constantIbLb0EES1A_EEDaS15_S16_EUlS15_E_NS1_11comp_targetILNS1_3genE8ELNS1_11target_archE1030ELNS1_3gpuE2ELNS1_3repE0EEENS1_30default_config_static_selectorELNS0_4arch9wavefront6targetE0EEEvT1_.has_recursion, 0
	.set _ZN7rocprim17ROCPRIM_400000_NS6detail17trampoline_kernelINS0_14default_configENS1_25partition_config_selectorILNS1_17partition_subalgoE9EiibEEZZNS1_14partition_implILS5_9ELb0ES3_jPKiN6thrust23THRUST_200600_302600_NS17counting_iteratorIiNSB_11use_defaultESD_SD_EEPNS0_10empty_typeENS0_5tupleIJPiSF_EEENSH_IJSI_SG_EEENS0_18inequality_wrapperIN6hipcub16HIPCUB_304000_NS8EqualityEEEPlJSF_EEE10hipError_tPvRmT3_T4_T5_T6_T7_T9_mT8_P12ihipStream_tbDpT10_ENKUlT_T0_E_clISt17integral_constantIbLb0EES1A_EEDaS15_S16_EUlS15_E_NS1_11comp_targetILNS1_3genE8ELNS1_11target_archE1030ELNS1_3gpuE2ELNS1_3repE0EEENS1_30default_config_static_selectorELNS0_4arch9wavefront6targetE0EEEvT1_.has_indirect_call, 0
	.section	.AMDGPU.csdata,"",@progbits
; Kernel info:
; codeLenInByte = 0
; TotalNumSgprs: 0
; NumVgprs: 0
; ScratchSize: 0
; MemoryBound: 0
; FloatMode: 240
; IeeeMode: 1
; LDSByteSize: 0 bytes/workgroup (compile time only)
; SGPRBlocks: 0
; VGPRBlocks: 0
; NumSGPRsForWavesPerEU: 1
; NumVGPRsForWavesPerEU: 1
; NamedBarCnt: 0
; Occupancy: 16
; WaveLimiterHint : 0
; COMPUTE_PGM_RSRC2:SCRATCH_EN: 0
; COMPUTE_PGM_RSRC2:USER_SGPR: 2
; COMPUTE_PGM_RSRC2:TRAP_HANDLER: 0
; COMPUTE_PGM_RSRC2:TGID_X_EN: 1
; COMPUTE_PGM_RSRC2:TGID_Y_EN: 0
; COMPUTE_PGM_RSRC2:TGID_Z_EN: 0
; COMPUTE_PGM_RSRC2:TIDIG_COMP_CNT: 0
	.section	.text._ZN7rocprim17ROCPRIM_400000_NS6detail17trampoline_kernelINS0_14default_configENS1_25transform_config_selectorImLb1EEEZNS1_14transform_implILb1ES3_S5_PmPlNS0_8identityIvEEEE10hipError_tT2_T3_mT4_P12ihipStream_tbEUlT_E_NS1_11comp_targetILNS1_3genE0ELNS1_11target_archE4294967295ELNS1_3gpuE0ELNS1_3repE0EEENS1_30default_config_static_selectorELNS0_4arch9wavefront6targetE0EEEvT1_,"axG",@progbits,_ZN7rocprim17ROCPRIM_400000_NS6detail17trampoline_kernelINS0_14default_configENS1_25transform_config_selectorImLb1EEEZNS1_14transform_implILb1ES3_S5_PmPlNS0_8identityIvEEEE10hipError_tT2_T3_mT4_P12ihipStream_tbEUlT_E_NS1_11comp_targetILNS1_3genE0ELNS1_11target_archE4294967295ELNS1_3gpuE0ELNS1_3repE0EEENS1_30default_config_static_selectorELNS0_4arch9wavefront6targetE0EEEvT1_,comdat
	.protected	_ZN7rocprim17ROCPRIM_400000_NS6detail17trampoline_kernelINS0_14default_configENS1_25transform_config_selectorImLb1EEEZNS1_14transform_implILb1ES3_S5_PmPlNS0_8identityIvEEEE10hipError_tT2_T3_mT4_P12ihipStream_tbEUlT_E_NS1_11comp_targetILNS1_3genE0ELNS1_11target_archE4294967295ELNS1_3gpuE0ELNS1_3repE0EEENS1_30default_config_static_selectorELNS0_4arch9wavefront6targetE0EEEvT1_ ; -- Begin function _ZN7rocprim17ROCPRIM_400000_NS6detail17trampoline_kernelINS0_14default_configENS1_25transform_config_selectorImLb1EEEZNS1_14transform_implILb1ES3_S5_PmPlNS0_8identityIvEEEE10hipError_tT2_T3_mT4_P12ihipStream_tbEUlT_E_NS1_11comp_targetILNS1_3genE0ELNS1_11target_archE4294967295ELNS1_3gpuE0ELNS1_3repE0EEENS1_30default_config_static_selectorELNS0_4arch9wavefront6targetE0EEEvT1_
	.globl	_ZN7rocprim17ROCPRIM_400000_NS6detail17trampoline_kernelINS0_14default_configENS1_25transform_config_selectorImLb1EEEZNS1_14transform_implILb1ES3_S5_PmPlNS0_8identityIvEEEE10hipError_tT2_T3_mT4_P12ihipStream_tbEUlT_E_NS1_11comp_targetILNS1_3genE0ELNS1_11target_archE4294967295ELNS1_3gpuE0ELNS1_3repE0EEENS1_30default_config_static_selectorELNS0_4arch9wavefront6targetE0EEEvT1_
	.p2align	8
	.type	_ZN7rocprim17ROCPRIM_400000_NS6detail17trampoline_kernelINS0_14default_configENS1_25transform_config_selectorImLb1EEEZNS1_14transform_implILb1ES3_S5_PmPlNS0_8identityIvEEEE10hipError_tT2_T3_mT4_P12ihipStream_tbEUlT_E_NS1_11comp_targetILNS1_3genE0ELNS1_11target_archE4294967295ELNS1_3gpuE0ELNS1_3repE0EEENS1_30default_config_static_selectorELNS0_4arch9wavefront6targetE0EEEvT1_,@function
_ZN7rocprim17ROCPRIM_400000_NS6detail17trampoline_kernelINS0_14default_configENS1_25transform_config_selectorImLb1EEEZNS1_14transform_implILb1ES3_S5_PmPlNS0_8identityIvEEEE10hipError_tT2_T3_mT4_P12ihipStream_tbEUlT_E_NS1_11comp_targetILNS1_3genE0ELNS1_11target_archE4294967295ELNS1_3gpuE0ELNS1_3repE0EEENS1_30default_config_static_selectorELNS0_4arch9wavefront6targetE0EEEvT1_: ; @_ZN7rocprim17ROCPRIM_400000_NS6detail17trampoline_kernelINS0_14default_configENS1_25transform_config_selectorImLb1EEEZNS1_14transform_implILb1ES3_S5_PmPlNS0_8identityIvEEEE10hipError_tT2_T3_mT4_P12ihipStream_tbEUlT_E_NS1_11comp_targetILNS1_3genE0ELNS1_11target_archE4294967295ELNS1_3gpuE0ELNS1_3repE0EEENS1_30default_config_static_selectorELNS0_4arch9wavefront6targetE0EEEvT1_
; %bb.0:
	s_clause 0x1
	s_load_b32 s2, s[0:1], 0x28
	s_load_b32 s3, s[0:1], 0x10
	s_bfe_u32 s4, ttmp6, 0x4000c
	s_and_b32 s5, ttmp6, 15
	s_add_co_i32 s4, s4, 1
	s_getreg_b32 s6, hwreg(HW_REG_IB_STS2, 6, 4)
	s_mul_i32 s4, ttmp9, s4
	s_delay_alu instid0(SALU_CYCLE_1)
	s_add_co_i32 s5, s5, s4
	s_cmp_eq_u32 s6, 0
	s_cselect_b32 s4, ttmp9, s5
	s_wait_kmcnt 0x0
	s_add_co_i32 s5, s2, -1
	s_lshl_b32 s2, s4, 7
	s_cmp_lg_u32 s4, s5
	s_cselect_b32 s4, -1, 0
	s_sub_co_i32 s3, s3, s2
	s_delay_alu instid0(SALU_CYCLE_1) | instskip(SKIP_2) | instid1(SALU_CYCLE_1)
	v_cmp_gt_u32_e32 vcc_lo, s3, v0
	s_mov_b32 s3, 0
	s_or_b32 s4, vcc_lo, s4
	s_and_saveexec_b32 s5, s4
	s_cbranch_execz .LBB9_2
; %bb.1:
	s_clause 0x1
	s_load_b128 s[4:7], s[0:1], 0x0
	s_load_b64 s[8:9], s[0:1], 0x18
	s_lshl_b64 s[2:3], s[2:3], 3
	s_wait_kmcnt 0x0
	s_lshl_b64 s[0:1], s[6:7], 3
	s_delay_alu instid0(SALU_CYCLE_1)
	s_add_nc_u64 s[4:5], s[4:5], s[0:1]
	s_add_nc_u64 s[0:1], s[8:9], s[0:1]
	;; [unrolled: 1-line block ×4, first 2 shown]
	global_load_b64 v[2:3], v0, s[4:5] scale_offset
	s_wait_loadcnt 0x0
	global_store_b64 v0, v[2:3], s[0:1] scale_offset
.LBB9_2:
	s_endpgm
	.section	.rodata,"a",@progbits
	.p2align	6, 0x0
	.amdhsa_kernel _ZN7rocprim17ROCPRIM_400000_NS6detail17trampoline_kernelINS0_14default_configENS1_25transform_config_selectorImLb1EEEZNS1_14transform_implILb1ES3_S5_PmPlNS0_8identityIvEEEE10hipError_tT2_T3_mT4_P12ihipStream_tbEUlT_E_NS1_11comp_targetILNS1_3genE0ELNS1_11target_archE4294967295ELNS1_3gpuE0ELNS1_3repE0EEENS1_30default_config_static_selectorELNS0_4arch9wavefront6targetE0EEEvT1_
		.amdhsa_group_segment_fixed_size 0
		.amdhsa_private_segment_fixed_size 0
		.amdhsa_kernarg_size 296
		.amdhsa_user_sgpr_count 2
		.amdhsa_user_sgpr_dispatch_ptr 0
		.amdhsa_user_sgpr_queue_ptr 0
		.amdhsa_user_sgpr_kernarg_segment_ptr 1
		.amdhsa_user_sgpr_dispatch_id 0
		.amdhsa_user_sgpr_kernarg_preload_length 0
		.amdhsa_user_sgpr_kernarg_preload_offset 0
		.amdhsa_user_sgpr_private_segment_size 0
		.amdhsa_wavefront_size32 1
		.amdhsa_uses_dynamic_stack 0
		.amdhsa_enable_private_segment 0
		.amdhsa_system_sgpr_workgroup_id_x 1
		.amdhsa_system_sgpr_workgroup_id_y 0
		.amdhsa_system_sgpr_workgroup_id_z 0
		.amdhsa_system_sgpr_workgroup_info 0
		.amdhsa_system_vgpr_workitem_id 0
		.amdhsa_next_free_vgpr 4
		.amdhsa_next_free_sgpr 10
		.amdhsa_named_barrier_count 0
		.amdhsa_reserve_vcc 1
		.amdhsa_float_round_mode_32 0
		.amdhsa_float_round_mode_16_64 0
		.amdhsa_float_denorm_mode_32 3
		.amdhsa_float_denorm_mode_16_64 3
		.amdhsa_fp16_overflow 0
		.amdhsa_memory_ordered 1
		.amdhsa_forward_progress 1
		.amdhsa_inst_pref_size 2
		.amdhsa_round_robin_scheduling 0
		.amdhsa_exception_fp_ieee_invalid_op 0
		.amdhsa_exception_fp_denorm_src 0
		.amdhsa_exception_fp_ieee_div_zero 0
		.amdhsa_exception_fp_ieee_overflow 0
		.amdhsa_exception_fp_ieee_underflow 0
		.amdhsa_exception_fp_ieee_inexact 0
		.amdhsa_exception_int_div_zero 0
	.end_amdhsa_kernel
	.section	.text._ZN7rocprim17ROCPRIM_400000_NS6detail17trampoline_kernelINS0_14default_configENS1_25transform_config_selectorImLb1EEEZNS1_14transform_implILb1ES3_S5_PmPlNS0_8identityIvEEEE10hipError_tT2_T3_mT4_P12ihipStream_tbEUlT_E_NS1_11comp_targetILNS1_3genE0ELNS1_11target_archE4294967295ELNS1_3gpuE0ELNS1_3repE0EEENS1_30default_config_static_selectorELNS0_4arch9wavefront6targetE0EEEvT1_,"axG",@progbits,_ZN7rocprim17ROCPRIM_400000_NS6detail17trampoline_kernelINS0_14default_configENS1_25transform_config_selectorImLb1EEEZNS1_14transform_implILb1ES3_S5_PmPlNS0_8identityIvEEEE10hipError_tT2_T3_mT4_P12ihipStream_tbEUlT_E_NS1_11comp_targetILNS1_3genE0ELNS1_11target_archE4294967295ELNS1_3gpuE0ELNS1_3repE0EEENS1_30default_config_static_selectorELNS0_4arch9wavefront6targetE0EEEvT1_,comdat
.Lfunc_end9:
	.size	_ZN7rocprim17ROCPRIM_400000_NS6detail17trampoline_kernelINS0_14default_configENS1_25transform_config_selectorImLb1EEEZNS1_14transform_implILb1ES3_S5_PmPlNS0_8identityIvEEEE10hipError_tT2_T3_mT4_P12ihipStream_tbEUlT_E_NS1_11comp_targetILNS1_3genE0ELNS1_11target_archE4294967295ELNS1_3gpuE0ELNS1_3repE0EEENS1_30default_config_static_selectorELNS0_4arch9wavefront6targetE0EEEvT1_, .Lfunc_end9-_ZN7rocprim17ROCPRIM_400000_NS6detail17trampoline_kernelINS0_14default_configENS1_25transform_config_selectorImLb1EEEZNS1_14transform_implILb1ES3_S5_PmPlNS0_8identityIvEEEE10hipError_tT2_T3_mT4_P12ihipStream_tbEUlT_E_NS1_11comp_targetILNS1_3genE0ELNS1_11target_archE4294967295ELNS1_3gpuE0ELNS1_3repE0EEENS1_30default_config_static_selectorELNS0_4arch9wavefront6targetE0EEEvT1_
                                        ; -- End function
	.set _ZN7rocprim17ROCPRIM_400000_NS6detail17trampoline_kernelINS0_14default_configENS1_25transform_config_selectorImLb1EEEZNS1_14transform_implILb1ES3_S5_PmPlNS0_8identityIvEEEE10hipError_tT2_T3_mT4_P12ihipStream_tbEUlT_E_NS1_11comp_targetILNS1_3genE0ELNS1_11target_archE4294967295ELNS1_3gpuE0ELNS1_3repE0EEENS1_30default_config_static_selectorELNS0_4arch9wavefront6targetE0EEEvT1_.num_vgpr, 4
	.set _ZN7rocprim17ROCPRIM_400000_NS6detail17trampoline_kernelINS0_14default_configENS1_25transform_config_selectorImLb1EEEZNS1_14transform_implILb1ES3_S5_PmPlNS0_8identityIvEEEE10hipError_tT2_T3_mT4_P12ihipStream_tbEUlT_E_NS1_11comp_targetILNS1_3genE0ELNS1_11target_archE4294967295ELNS1_3gpuE0ELNS1_3repE0EEENS1_30default_config_static_selectorELNS0_4arch9wavefront6targetE0EEEvT1_.num_agpr, 0
	.set _ZN7rocprim17ROCPRIM_400000_NS6detail17trampoline_kernelINS0_14default_configENS1_25transform_config_selectorImLb1EEEZNS1_14transform_implILb1ES3_S5_PmPlNS0_8identityIvEEEE10hipError_tT2_T3_mT4_P12ihipStream_tbEUlT_E_NS1_11comp_targetILNS1_3genE0ELNS1_11target_archE4294967295ELNS1_3gpuE0ELNS1_3repE0EEENS1_30default_config_static_selectorELNS0_4arch9wavefront6targetE0EEEvT1_.numbered_sgpr, 10
	.set _ZN7rocprim17ROCPRIM_400000_NS6detail17trampoline_kernelINS0_14default_configENS1_25transform_config_selectorImLb1EEEZNS1_14transform_implILb1ES3_S5_PmPlNS0_8identityIvEEEE10hipError_tT2_T3_mT4_P12ihipStream_tbEUlT_E_NS1_11comp_targetILNS1_3genE0ELNS1_11target_archE4294967295ELNS1_3gpuE0ELNS1_3repE0EEENS1_30default_config_static_selectorELNS0_4arch9wavefront6targetE0EEEvT1_.num_named_barrier, 0
	.set _ZN7rocprim17ROCPRIM_400000_NS6detail17trampoline_kernelINS0_14default_configENS1_25transform_config_selectorImLb1EEEZNS1_14transform_implILb1ES3_S5_PmPlNS0_8identityIvEEEE10hipError_tT2_T3_mT4_P12ihipStream_tbEUlT_E_NS1_11comp_targetILNS1_3genE0ELNS1_11target_archE4294967295ELNS1_3gpuE0ELNS1_3repE0EEENS1_30default_config_static_selectorELNS0_4arch9wavefront6targetE0EEEvT1_.private_seg_size, 0
	.set _ZN7rocprim17ROCPRIM_400000_NS6detail17trampoline_kernelINS0_14default_configENS1_25transform_config_selectorImLb1EEEZNS1_14transform_implILb1ES3_S5_PmPlNS0_8identityIvEEEE10hipError_tT2_T3_mT4_P12ihipStream_tbEUlT_E_NS1_11comp_targetILNS1_3genE0ELNS1_11target_archE4294967295ELNS1_3gpuE0ELNS1_3repE0EEENS1_30default_config_static_selectorELNS0_4arch9wavefront6targetE0EEEvT1_.uses_vcc, 1
	.set _ZN7rocprim17ROCPRIM_400000_NS6detail17trampoline_kernelINS0_14default_configENS1_25transform_config_selectorImLb1EEEZNS1_14transform_implILb1ES3_S5_PmPlNS0_8identityIvEEEE10hipError_tT2_T3_mT4_P12ihipStream_tbEUlT_E_NS1_11comp_targetILNS1_3genE0ELNS1_11target_archE4294967295ELNS1_3gpuE0ELNS1_3repE0EEENS1_30default_config_static_selectorELNS0_4arch9wavefront6targetE0EEEvT1_.uses_flat_scratch, 0
	.set _ZN7rocprim17ROCPRIM_400000_NS6detail17trampoline_kernelINS0_14default_configENS1_25transform_config_selectorImLb1EEEZNS1_14transform_implILb1ES3_S5_PmPlNS0_8identityIvEEEE10hipError_tT2_T3_mT4_P12ihipStream_tbEUlT_E_NS1_11comp_targetILNS1_3genE0ELNS1_11target_archE4294967295ELNS1_3gpuE0ELNS1_3repE0EEENS1_30default_config_static_selectorELNS0_4arch9wavefront6targetE0EEEvT1_.has_dyn_sized_stack, 0
	.set _ZN7rocprim17ROCPRIM_400000_NS6detail17trampoline_kernelINS0_14default_configENS1_25transform_config_selectorImLb1EEEZNS1_14transform_implILb1ES3_S5_PmPlNS0_8identityIvEEEE10hipError_tT2_T3_mT4_P12ihipStream_tbEUlT_E_NS1_11comp_targetILNS1_3genE0ELNS1_11target_archE4294967295ELNS1_3gpuE0ELNS1_3repE0EEENS1_30default_config_static_selectorELNS0_4arch9wavefront6targetE0EEEvT1_.has_recursion, 0
	.set _ZN7rocprim17ROCPRIM_400000_NS6detail17trampoline_kernelINS0_14default_configENS1_25transform_config_selectorImLb1EEEZNS1_14transform_implILb1ES3_S5_PmPlNS0_8identityIvEEEE10hipError_tT2_T3_mT4_P12ihipStream_tbEUlT_E_NS1_11comp_targetILNS1_3genE0ELNS1_11target_archE4294967295ELNS1_3gpuE0ELNS1_3repE0EEENS1_30default_config_static_selectorELNS0_4arch9wavefront6targetE0EEEvT1_.has_indirect_call, 0
	.section	.AMDGPU.csdata,"",@progbits
; Kernel info:
; codeLenInByte = 192
; TotalNumSgprs: 12
; NumVgprs: 4
; ScratchSize: 0
; MemoryBound: 0
; FloatMode: 240
; IeeeMode: 1
; LDSByteSize: 0 bytes/workgroup (compile time only)
; SGPRBlocks: 0
; VGPRBlocks: 0
; NumSGPRsForWavesPerEU: 12
; NumVGPRsForWavesPerEU: 4
; NamedBarCnt: 0
; Occupancy: 16
; WaveLimiterHint : 0
; COMPUTE_PGM_RSRC2:SCRATCH_EN: 0
; COMPUTE_PGM_RSRC2:USER_SGPR: 2
; COMPUTE_PGM_RSRC2:TRAP_HANDLER: 0
; COMPUTE_PGM_RSRC2:TGID_X_EN: 1
; COMPUTE_PGM_RSRC2:TGID_Y_EN: 0
; COMPUTE_PGM_RSRC2:TGID_Z_EN: 0
; COMPUTE_PGM_RSRC2:TIDIG_COMP_CNT: 0
	.section	.text._ZN7rocprim17ROCPRIM_400000_NS6detail17trampoline_kernelINS0_14default_configENS1_25transform_config_selectorImLb1EEEZNS1_14transform_implILb1ES3_S5_PmPlNS0_8identityIvEEEE10hipError_tT2_T3_mT4_P12ihipStream_tbEUlT_E_NS1_11comp_targetILNS1_3genE10ELNS1_11target_archE1201ELNS1_3gpuE5ELNS1_3repE0EEENS1_30default_config_static_selectorELNS0_4arch9wavefront6targetE0EEEvT1_,"axG",@progbits,_ZN7rocprim17ROCPRIM_400000_NS6detail17trampoline_kernelINS0_14default_configENS1_25transform_config_selectorImLb1EEEZNS1_14transform_implILb1ES3_S5_PmPlNS0_8identityIvEEEE10hipError_tT2_T3_mT4_P12ihipStream_tbEUlT_E_NS1_11comp_targetILNS1_3genE10ELNS1_11target_archE1201ELNS1_3gpuE5ELNS1_3repE0EEENS1_30default_config_static_selectorELNS0_4arch9wavefront6targetE0EEEvT1_,comdat
	.protected	_ZN7rocprim17ROCPRIM_400000_NS6detail17trampoline_kernelINS0_14default_configENS1_25transform_config_selectorImLb1EEEZNS1_14transform_implILb1ES3_S5_PmPlNS0_8identityIvEEEE10hipError_tT2_T3_mT4_P12ihipStream_tbEUlT_E_NS1_11comp_targetILNS1_3genE10ELNS1_11target_archE1201ELNS1_3gpuE5ELNS1_3repE0EEENS1_30default_config_static_selectorELNS0_4arch9wavefront6targetE0EEEvT1_ ; -- Begin function _ZN7rocprim17ROCPRIM_400000_NS6detail17trampoline_kernelINS0_14default_configENS1_25transform_config_selectorImLb1EEEZNS1_14transform_implILb1ES3_S5_PmPlNS0_8identityIvEEEE10hipError_tT2_T3_mT4_P12ihipStream_tbEUlT_E_NS1_11comp_targetILNS1_3genE10ELNS1_11target_archE1201ELNS1_3gpuE5ELNS1_3repE0EEENS1_30default_config_static_selectorELNS0_4arch9wavefront6targetE0EEEvT1_
	.globl	_ZN7rocprim17ROCPRIM_400000_NS6detail17trampoline_kernelINS0_14default_configENS1_25transform_config_selectorImLb1EEEZNS1_14transform_implILb1ES3_S5_PmPlNS0_8identityIvEEEE10hipError_tT2_T3_mT4_P12ihipStream_tbEUlT_E_NS1_11comp_targetILNS1_3genE10ELNS1_11target_archE1201ELNS1_3gpuE5ELNS1_3repE0EEENS1_30default_config_static_selectorELNS0_4arch9wavefront6targetE0EEEvT1_
	.p2align	8
	.type	_ZN7rocprim17ROCPRIM_400000_NS6detail17trampoline_kernelINS0_14default_configENS1_25transform_config_selectorImLb1EEEZNS1_14transform_implILb1ES3_S5_PmPlNS0_8identityIvEEEE10hipError_tT2_T3_mT4_P12ihipStream_tbEUlT_E_NS1_11comp_targetILNS1_3genE10ELNS1_11target_archE1201ELNS1_3gpuE5ELNS1_3repE0EEENS1_30default_config_static_selectorELNS0_4arch9wavefront6targetE0EEEvT1_,@function
_ZN7rocprim17ROCPRIM_400000_NS6detail17trampoline_kernelINS0_14default_configENS1_25transform_config_selectorImLb1EEEZNS1_14transform_implILb1ES3_S5_PmPlNS0_8identityIvEEEE10hipError_tT2_T3_mT4_P12ihipStream_tbEUlT_E_NS1_11comp_targetILNS1_3genE10ELNS1_11target_archE1201ELNS1_3gpuE5ELNS1_3repE0EEENS1_30default_config_static_selectorELNS0_4arch9wavefront6targetE0EEEvT1_: ; @_ZN7rocprim17ROCPRIM_400000_NS6detail17trampoline_kernelINS0_14default_configENS1_25transform_config_selectorImLb1EEEZNS1_14transform_implILb1ES3_S5_PmPlNS0_8identityIvEEEE10hipError_tT2_T3_mT4_P12ihipStream_tbEUlT_E_NS1_11comp_targetILNS1_3genE10ELNS1_11target_archE1201ELNS1_3gpuE5ELNS1_3repE0EEENS1_30default_config_static_selectorELNS0_4arch9wavefront6targetE0EEEvT1_
; %bb.0:
	.section	.rodata,"a",@progbits
	.p2align	6, 0x0
	.amdhsa_kernel _ZN7rocprim17ROCPRIM_400000_NS6detail17trampoline_kernelINS0_14default_configENS1_25transform_config_selectorImLb1EEEZNS1_14transform_implILb1ES3_S5_PmPlNS0_8identityIvEEEE10hipError_tT2_T3_mT4_P12ihipStream_tbEUlT_E_NS1_11comp_targetILNS1_3genE10ELNS1_11target_archE1201ELNS1_3gpuE5ELNS1_3repE0EEENS1_30default_config_static_selectorELNS0_4arch9wavefront6targetE0EEEvT1_
		.amdhsa_group_segment_fixed_size 0
		.amdhsa_private_segment_fixed_size 0
		.amdhsa_kernarg_size 40
		.amdhsa_user_sgpr_count 2
		.amdhsa_user_sgpr_dispatch_ptr 0
		.amdhsa_user_sgpr_queue_ptr 0
		.amdhsa_user_sgpr_kernarg_segment_ptr 1
		.amdhsa_user_sgpr_dispatch_id 0
		.amdhsa_user_sgpr_kernarg_preload_length 0
		.amdhsa_user_sgpr_kernarg_preload_offset 0
		.amdhsa_user_sgpr_private_segment_size 0
		.amdhsa_wavefront_size32 1
		.amdhsa_uses_dynamic_stack 0
		.amdhsa_enable_private_segment 0
		.amdhsa_system_sgpr_workgroup_id_x 1
		.amdhsa_system_sgpr_workgroup_id_y 0
		.amdhsa_system_sgpr_workgroup_id_z 0
		.amdhsa_system_sgpr_workgroup_info 0
		.amdhsa_system_vgpr_workitem_id 0
		.amdhsa_next_free_vgpr 1
		.amdhsa_next_free_sgpr 1
		.amdhsa_named_barrier_count 0
		.amdhsa_reserve_vcc 0
		.amdhsa_float_round_mode_32 0
		.amdhsa_float_round_mode_16_64 0
		.amdhsa_float_denorm_mode_32 3
		.amdhsa_float_denorm_mode_16_64 3
		.amdhsa_fp16_overflow 0
		.amdhsa_memory_ordered 1
		.amdhsa_forward_progress 1
		.amdhsa_inst_pref_size 0
		.amdhsa_round_robin_scheduling 0
		.amdhsa_exception_fp_ieee_invalid_op 0
		.amdhsa_exception_fp_denorm_src 0
		.amdhsa_exception_fp_ieee_div_zero 0
		.amdhsa_exception_fp_ieee_overflow 0
		.amdhsa_exception_fp_ieee_underflow 0
		.amdhsa_exception_fp_ieee_inexact 0
		.amdhsa_exception_int_div_zero 0
	.end_amdhsa_kernel
	.section	.text._ZN7rocprim17ROCPRIM_400000_NS6detail17trampoline_kernelINS0_14default_configENS1_25transform_config_selectorImLb1EEEZNS1_14transform_implILb1ES3_S5_PmPlNS0_8identityIvEEEE10hipError_tT2_T3_mT4_P12ihipStream_tbEUlT_E_NS1_11comp_targetILNS1_3genE10ELNS1_11target_archE1201ELNS1_3gpuE5ELNS1_3repE0EEENS1_30default_config_static_selectorELNS0_4arch9wavefront6targetE0EEEvT1_,"axG",@progbits,_ZN7rocprim17ROCPRIM_400000_NS6detail17trampoline_kernelINS0_14default_configENS1_25transform_config_selectorImLb1EEEZNS1_14transform_implILb1ES3_S5_PmPlNS0_8identityIvEEEE10hipError_tT2_T3_mT4_P12ihipStream_tbEUlT_E_NS1_11comp_targetILNS1_3genE10ELNS1_11target_archE1201ELNS1_3gpuE5ELNS1_3repE0EEENS1_30default_config_static_selectorELNS0_4arch9wavefront6targetE0EEEvT1_,comdat
.Lfunc_end10:
	.size	_ZN7rocprim17ROCPRIM_400000_NS6detail17trampoline_kernelINS0_14default_configENS1_25transform_config_selectorImLb1EEEZNS1_14transform_implILb1ES3_S5_PmPlNS0_8identityIvEEEE10hipError_tT2_T3_mT4_P12ihipStream_tbEUlT_E_NS1_11comp_targetILNS1_3genE10ELNS1_11target_archE1201ELNS1_3gpuE5ELNS1_3repE0EEENS1_30default_config_static_selectorELNS0_4arch9wavefront6targetE0EEEvT1_, .Lfunc_end10-_ZN7rocprim17ROCPRIM_400000_NS6detail17trampoline_kernelINS0_14default_configENS1_25transform_config_selectorImLb1EEEZNS1_14transform_implILb1ES3_S5_PmPlNS0_8identityIvEEEE10hipError_tT2_T3_mT4_P12ihipStream_tbEUlT_E_NS1_11comp_targetILNS1_3genE10ELNS1_11target_archE1201ELNS1_3gpuE5ELNS1_3repE0EEENS1_30default_config_static_selectorELNS0_4arch9wavefront6targetE0EEEvT1_
                                        ; -- End function
	.set _ZN7rocprim17ROCPRIM_400000_NS6detail17trampoline_kernelINS0_14default_configENS1_25transform_config_selectorImLb1EEEZNS1_14transform_implILb1ES3_S5_PmPlNS0_8identityIvEEEE10hipError_tT2_T3_mT4_P12ihipStream_tbEUlT_E_NS1_11comp_targetILNS1_3genE10ELNS1_11target_archE1201ELNS1_3gpuE5ELNS1_3repE0EEENS1_30default_config_static_selectorELNS0_4arch9wavefront6targetE0EEEvT1_.num_vgpr, 0
	.set _ZN7rocprim17ROCPRIM_400000_NS6detail17trampoline_kernelINS0_14default_configENS1_25transform_config_selectorImLb1EEEZNS1_14transform_implILb1ES3_S5_PmPlNS0_8identityIvEEEE10hipError_tT2_T3_mT4_P12ihipStream_tbEUlT_E_NS1_11comp_targetILNS1_3genE10ELNS1_11target_archE1201ELNS1_3gpuE5ELNS1_3repE0EEENS1_30default_config_static_selectorELNS0_4arch9wavefront6targetE0EEEvT1_.num_agpr, 0
	.set _ZN7rocprim17ROCPRIM_400000_NS6detail17trampoline_kernelINS0_14default_configENS1_25transform_config_selectorImLb1EEEZNS1_14transform_implILb1ES3_S5_PmPlNS0_8identityIvEEEE10hipError_tT2_T3_mT4_P12ihipStream_tbEUlT_E_NS1_11comp_targetILNS1_3genE10ELNS1_11target_archE1201ELNS1_3gpuE5ELNS1_3repE0EEENS1_30default_config_static_selectorELNS0_4arch9wavefront6targetE0EEEvT1_.numbered_sgpr, 0
	.set _ZN7rocprim17ROCPRIM_400000_NS6detail17trampoline_kernelINS0_14default_configENS1_25transform_config_selectorImLb1EEEZNS1_14transform_implILb1ES3_S5_PmPlNS0_8identityIvEEEE10hipError_tT2_T3_mT4_P12ihipStream_tbEUlT_E_NS1_11comp_targetILNS1_3genE10ELNS1_11target_archE1201ELNS1_3gpuE5ELNS1_3repE0EEENS1_30default_config_static_selectorELNS0_4arch9wavefront6targetE0EEEvT1_.num_named_barrier, 0
	.set _ZN7rocprim17ROCPRIM_400000_NS6detail17trampoline_kernelINS0_14default_configENS1_25transform_config_selectorImLb1EEEZNS1_14transform_implILb1ES3_S5_PmPlNS0_8identityIvEEEE10hipError_tT2_T3_mT4_P12ihipStream_tbEUlT_E_NS1_11comp_targetILNS1_3genE10ELNS1_11target_archE1201ELNS1_3gpuE5ELNS1_3repE0EEENS1_30default_config_static_selectorELNS0_4arch9wavefront6targetE0EEEvT1_.private_seg_size, 0
	.set _ZN7rocprim17ROCPRIM_400000_NS6detail17trampoline_kernelINS0_14default_configENS1_25transform_config_selectorImLb1EEEZNS1_14transform_implILb1ES3_S5_PmPlNS0_8identityIvEEEE10hipError_tT2_T3_mT4_P12ihipStream_tbEUlT_E_NS1_11comp_targetILNS1_3genE10ELNS1_11target_archE1201ELNS1_3gpuE5ELNS1_3repE0EEENS1_30default_config_static_selectorELNS0_4arch9wavefront6targetE0EEEvT1_.uses_vcc, 0
	.set _ZN7rocprim17ROCPRIM_400000_NS6detail17trampoline_kernelINS0_14default_configENS1_25transform_config_selectorImLb1EEEZNS1_14transform_implILb1ES3_S5_PmPlNS0_8identityIvEEEE10hipError_tT2_T3_mT4_P12ihipStream_tbEUlT_E_NS1_11comp_targetILNS1_3genE10ELNS1_11target_archE1201ELNS1_3gpuE5ELNS1_3repE0EEENS1_30default_config_static_selectorELNS0_4arch9wavefront6targetE0EEEvT1_.uses_flat_scratch, 0
	.set _ZN7rocprim17ROCPRIM_400000_NS6detail17trampoline_kernelINS0_14default_configENS1_25transform_config_selectorImLb1EEEZNS1_14transform_implILb1ES3_S5_PmPlNS0_8identityIvEEEE10hipError_tT2_T3_mT4_P12ihipStream_tbEUlT_E_NS1_11comp_targetILNS1_3genE10ELNS1_11target_archE1201ELNS1_3gpuE5ELNS1_3repE0EEENS1_30default_config_static_selectorELNS0_4arch9wavefront6targetE0EEEvT1_.has_dyn_sized_stack, 0
	.set _ZN7rocprim17ROCPRIM_400000_NS6detail17trampoline_kernelINS0_14default_configENS1_25transform_config_selectorImLb1EEEZNS1_14transform_implILb1ES3_S5_PmPlNS0_8identityIvEEEE10hipError_tT2_T3_mT4_P12ihipStream_tbEUlT_E_NS1_11comp_targetILNS1_3genE10ELNS1_11target_archE1201ELNS1_3gpuE5ELNS1_3repE0EEENS1_30default_config_static_selectorELNS0_4arch9wavefront6targetE0EEEvT1_.has_recursion, 0
	.set _ZN7rocprim17ROCPRIM_400000_NS6detail17trampoline_kernelINS0_14default_configENS1_25transform_config_selectorImLb1EEEZNS1_14transform_implILb1ES3_S5_PmPlNS0_8identityIvEEEE10hipError_tT2_T3_mT4_P12ihipStream_tbEUlT_E_NS1_11comp_targetILNS1_3genE10ELNS1_11target_archE1201ELNS1_3gpuE5ELNS1_3repE0EEENS1_30default_config_static_selectorELNS0_4arch9wavefront6targetE0EEEvT1_.has_indirect_call, 0
	.section	.AMDGPU.csdata,"",@progbits
; Kernel info:
; codeLenInByte = 0
; TotalNumSgprs: 0
; NumVgprs: 0
; ScratchSize: 0
; MemoryBound: 0
; FloatMode: 240
; IeeeMode: 1
; LDSByteSize: 0 bytes/workgroup (compile time only)
; SGPRBlocks: 0
; VGPRBlocks: 0
; NumSGPRsForWavesPerEU: 1
; NumVGPRsForWavesPerEU: 1
; NamedBarCnt: 0
; Occupancy: 16
; WaveLimiterHint : 0
; COMPUTE_PGM_RSRC2:SCRATCH_EN: 0
; COMPUTE_PGM_RSRC2:USER_SGPR: 2
; COMPUTE_PGM_RSRC2:TRAP_HANDLER: 0
; COMPUTE_PGM_RSRC2:TGID_X_EN: 1
; COMPUTE_PGM_RSRC2:TGID_Y_EN: 0
; COMPUTE_PGM_RSRC2:TGID_Z_EN: 0
; COMPUTE_PGM_RSRC2:TIDIG_COMP_CNT: 0
	.section	.text._ZN7rocprim17ROCPRIM_400000_NS6detail17trampoline_kernelINS0_14default_configENS1_25transform_config_selectorImLb1EEEZNS1_14transform_implILb1ES3_S5_PmPlNS0_8identityIvEEEE10hipError_tT2_T3_mT4_P12ihipStream_tbEUlT_E_NS1_11comp_targetILNS1_3genE5ELNS1_11target_archE942ELNS1_3gpuE9ELNS1_3repE0EEENS1_30default_config_static_selectorELNS0_4arch9wavefront6targetE0EEEvT1_,"axG",@progbits,_ZN7rocprim17ROCPRIM_400000_NS6detail17trampoline_kernelINS0_14default_configENS1_25transform_config_selectorImLb1EEEZNS1_14transform_implILb1ES3_S5_PmPlNS0_8identityIvEEEE10hipError_tT2_T3_mT4_P12ihipStream_tbEUlT_E_NS1_11comp_targetILNS1_3genE5ELNS1_11target_archE942ELNS1_3gpuE9ELNS1_3repE0EEENS1_30default_config_static_selectorELNS0_4arch9wavefront6targetE0EEEvT1_,comdat
	.protected	_ZN7rocprim17ROCPRIM_400000_NS6detail17trampoline_kernelINS0_14default_configENS1_25transform_config_selectorImLb1EEEZNS1_14transform_implILb1ES3_S5_PmPlNS0_8identityIvEEEE10hipError_tT2_T3_mT4_P12ihipStream_tbEUlT_E_NS1_11comp_targetILNS1_3genE5ELNS1_11target_archE942ELNS1_3gpuE9ELNS1_3repE0EEENS1_30default_config_static_selectorELNS0_4arch9wavefront6targetE0EEEvT1_ ; -- Begin function _ZN7rocprim17ROCPRIM_400000_NS6detail17trampoline_kernelINS0_14default_configENS1_25transform_config_selectorImLb1EEEZNS1_14transform_implILb1ES3_S5_PmPlNS0_8identityIvEEEE10hipError_tT2_T3_mT4_P12ihipStream_tbEUlT_E_NS1_11comp_targetILNS1_3genE5ELNS1_11target_archE942ELNS1_3gpuE9ELNS1_3repE0EEENS1_30default_config_static_selectorELNS0_4arch9wavefront6targetE0EEEvT1_
	.globl	_ZN7rocprim17ROCPRIM_400000_NS6detail17trampoline_kernelINS0_14default_configENS1_25transform_config_selectorImLb1EEEZNS1_14transform_implILb1ES3_S5_PmPlNS0_8identityIvEEEE10hipError_tT2_T3_mT4_P12ihipStream_tbEUlT_E_NS1_11comp_targetILNS1_3genE5ELNS1_11target_archE942ELNS1_3gpuE9ELNS1_3repE0EEENS1_30default_config_static_selectorELNS0_4arch9wavefront6targetE0EEEvT1_
	.p2align	8
	.type	_ZN7rocprim17ROCPRIM_400000_NS6detail17trampoline_kernelINS0_14default_configENS1_25transform_config_selectorImLb1EEEZNS1_14transform_implILb1ES3_S5_PmPlNS0_8identityIvEEEE10hipError_tT2_T3_mT4_P12ihipStream_tbEUlT_E_NS1_11comp_targetILNS1_3genE5ELNS1_11target_archE942ELNS1_3gpuE9ELNS1_3repE0EEENS1_30default_config_static_selectorELNS0_4arch9wavefront6targetE0EEEvT1_,@function
_ZN7rocprim17ROCPRIM_400000_NS6detail17trampoline_kernelINS0_14default_configENS1_25transform_config_selectorImLb1EEEZNS1_14transform_implILb1ES3_S5_PmPlNS0_8identityIvEEEE10hipError_tT2_T3_mT4_P12ihipStream_tbEUlT_E_NS1_11comp_targetILNS1_3genE5ELNS1_11target_archE942ELNS1_3gpuE9ELNS1_3repE0EEENS1_30default_config_static_selectorELNS0_4arch9wavefront6targetE0EEEvT1_: ; @_ZN7rocprim17ROCPRIM_400000_NS6detail17trampoline_kernelINS0_14default_configENS1_25transform_config_selectorImLb1EEEZNS1_14transform_implILb1ES3_S5_PmPlNS0_8identityIvEEEE10hipError_tT2_T3_mT4_P12ihipStream_tbEUlT_E_NS1_11comp_targetILNS1_3genE5ELNS1_11target_archE942ELNS1_3gpuE9ELNS1_3repE0EEENS1_30default_config_static_selectorELNS0_4arch9wavefront6targetE0EEEvT1_
; %bb.0:
	.section	.rodata,"a",@progbits
	.p2align	6, 0x0
	.amdhsa_kernel _ZN7rocprim17ROCPRIM_400000_NS6detail17trampoline_kernelINS0_14default_configENS1_25transform_config_selectorImLb1EEEZNS1_14transform_implILb1ES3_S5_PmPlNS0_8identityIvEEEE10hipError_tT2_T3_mT4_P12ihipStream_tbEUlT_E_NS1_11comp_targetILNS1_3genE5ELNS1_11target_archE942ELNS1_3gpuE9ELNS1_3repE0EEENS1_30default_config_static_selectorELNS0_4arch9wavefront6targetE0EEEvT1_
		.amdhsa_group_segment_fixed_size 0
		.amdhsa_private_segment_fixed_size 0
		.amdhsa_kernarg_size 40
		.amdhsa_user_sgpr_count 2
		.amdhsa_user_sgpr_dispatch_ptr 0
		.amdhsa_user_sgpr_queue_ptr 0
		.amdhsa_user_sgpr_kernarg_segment_ptr 1
		.amdhsa_user_sgpr_dispatch_id 0
		.amdhsa_user_sgpr_kernarg_preload_length 0
		.amdhsa_user_sgpr_kernarg_preload_offset 0
		.amdhsa_user_sgpr_private_segment_size 0
		.amdhsa_wavefront_size32 1
		.amdhsa_uses_dynamic_stack 0
		.amdhsa_enable_private_segment 0
		.amdhsa_system_sgpr_workgroup_id_x 1
		.amdhsa_system_sgpr_workgroup_id_y 0
		.amdhsa_system_sgpr_workgroup_id_z 0
		.amdhsa_system_sgpr_workgroup_info 0
		.amdhsa_system_vgpr_workitem_id 0
		.amdhsa_next_free_vgpr 1
		.amdhsa_next_free_sgpr 1
		.amdhsa_named_barrier_count 0
		.amdhsa_reserve_vcc 0
		.amdhsa_float_round_mode_32 0
		.amdhsa_float_round_mode_16_64 0
		.amdhsa_float_denorm_mode_32 3
		.amdhsa_float_denorm_mode_16_64 3
		.amdhsa_fp16_overflow 0
		.amdhsa_memory_ordered 1
		.amdhsa_forward_progress 1
		.amdhsa_inst_pref_size 0
		.amdhsa_round_robin_scheduling 0
		.amdhsa_exception_fp_ieee_invalid_op 0
		.amdhsa_exception_fp_denorm_src 0
		.amdhsa_exception_fp_ieee_div_zero 0
		.amdhsa_exception_fp_ieee_overflow 0
		.amdhsa_exception_fp_ieee_underflow 0
		.amdhsa_exception_fp_ieee_inexact 0
		.amdhsa_exception_int_div_zero 0
	.end_amdhsa_kernel
	.section	.text._ZN7rocprim17ROCPRIM_400000_NS6detail17trampoline_kernelINS0_14default_configENS1_25transform_config_selectorImLb1EEEZNS1_14transform_implILb1ES3_S5_PmPlNS0_8identityIvEEEE10hipError_tT2_T3_mT4_P12ihipStream_tbEUlT_E_NS1_11comp_targetILNS1_3genE5ELNS1_11target_archE942ELNS1_3gpuE9ELNS1_3repE0EEENS1_30default_config_static_selectorELNS0_4arch9wavefront6targetE0EEEvT1_,"axG",@progbits,_ZN7rocprim17ROCPRIM_400000_NS6detail17trampoline_kernelINS0_14default_configENS1_25transform_config_selectorImLb1EEEZNS1_14transform_implILb1ES3_S5_PmPlNS0_8identityIvEEEE10hipError_tT2_T3_mT4_P12ihipStream_tbEUlT_E_NS1_11comp_targetILNS1_3genE5ELNS1_11target_archE942ELNS1_3gpuE9ELNS1_3repE0EEENS1_30default_config_static_selectorELNS0_4arch9wavefront6targetE0EEEvT1_,comdat
.Lfunc_end11:
	.size	_ZN7rocprim17ROCPRIM_400000_NS6detail17trampoline_kernelINS0_14default_configENS1_25transform_config_selectorImLb1EEEZNS1_14transform_implILb1ES3_S5_PmPlNS0_8identityIvEEEE10hipError_tT2_T3_mT4_P12ihipStream_tbEUlT_E_NS1_11comp_targetILNS1_3genE5ELNS1_11target_archE942ELNS1_3gpuE9ELNS1_3repE0EEENS1_30default_config_static_selectorELNS0_4arch9wavefront6targetE0EEEvT1_, .Lfunc_end11-_ZN7rocprim17ROCPRIM_400000_NS6detail17trampoline_kernelINS0_14default_configENS1_25transform_config_selectorImLb1EEEZNS1_14transform_implILb1ES3_S5_PmPlNS0_8identityIvEEEE10hipError_tT2_T3_mT4_P12ihipStream_tbEUlT_E_NS1_11comp_targetILNS1_3genE5ELNS1_11target_archE942ELNS1_3gpuE9ELNS1_3repE0EEENS1_30default_config_static_selectorELNS0_4arch9wavefront6targetE0EEEvT1_
                                        ; -- End function
	.set _ZN7rocprim17ROCPRIM_400000_NS6detail17trampoline_kernelINS0_14default_configENS1_25transform_config_selectorImLb1EEEZNS1_14transform_implILb1ES3_S5_PmPlNS0_8identityIvEEEE10hipError_tT2_T3_mT4_P12ihipStream_tbEUlT_E_NS1_11comp_targetILNS1_3genE5ELNS1_11target_archE942ELNS1_3gpuE9ELNS1_3repE0EEENS1_30default_config_static_selectorELNS0_4arch9wavefront6targetE0EEEvT1_.num_vgpr, 0
	.set _ZN7rocprim17ROCPRIM_400000_NS6detail17trampoline_kernelINS0_14default_configENS1_25transform_config_selectorImLb1EEEZNS1_14transform_implILb1ES3_S5_PmPlNS0_8identityIvEEEE10hipError_tT2_T3_mT4_P12ihipStream_tbEUlT_E_NS1_11comp_targetILNS1_3genE5ELNS1_11target_archE942ELNS1_3gpuE9ELNS1_3repE0EEENS1_30default_config_static_selectorELNS0_4arch9wavefront6targetE0EEEvT1_.num_agpr, 0
	.set _ZN7rocprim17ROCPRIM_400000_NS6detail17trampoline_kernelINS0_14default_configENS1_25transform_config_selectorImLb1EEEZNS1_14transform_implILb1ES3_S5_PmPlNS0_8identityIvEEEE10hipError_tT2_T3_mT4_P12ihipStream_tbEUlT_E_NS1_11comp_targetILNS1_3genE5ELNS1_11target_archE942ELNS1_3gpuE9ELNS1_3repE0EEENS1_30default_config_static_selectorELNS0_4arch9wavefront6targetE0EEEvT1_.numbered_sgpr, 0
	.set _ZN7rocprim17ROCPRIM_400000_NS6detail17trampoline_kernelINS0_14default_configENS1_25transform_config_selectorImLb1EEEZNS1_14transform_implILb1ES3_S5_PmPlNS0_8identityIvEEEE10hipError_tT2_T3_mT4_P12ihipStream_tbEUlT_E_NS1_11comp_targetILNS1_3genE5ELNS1_11target_archE942ELNS1_3gpuE9ELNS1_3repE0EEENS1_30default_config_static_selectorELNS0_4arch9wavefront6targetE0EEEvT1_.num_named_barrier, 0
	.set _ZN7rocprim17ROCPRIM_400000_NS6detail17trampoline_kernelINS0_14default_configENS1_25transform_config_selectorImLb1EEEZNS1_14transform_implILb1ES3_S5_PmPlNS0_8identityIvEEEE10hipError_tT2_T3_mT4_P12ihipStream_tbEUlT_E_NS1_11comp_targetILNS1_3genE5ELNS1_11target_archE942ELNS1_3gpuE9ELNS1_3repE0EEENS1_30default_config_static_selectorELNS0_4arch9wavefront6targetE0EEEvT1_.private_seg_size, 0
	.set _ZN7rocprim17ROCPRIM_400000_NS6detail17trampoline_kernelINS0_14default_configENS1_25transform_config_selectorImLb1EEEZNS1_14transform_implILb1ES3_S5_PmPlNS0_8identityIvEEEE10hipError_tT2_T3_mT4_P12ihipStream_tbEUlT_E_NS1_11comp_targetILNS1_3genE5ELNS1_11target_archE942ELNS1_3gpuE9ELNS1_3repE0EEENS1_30default_config_static_selectorELNS0_4arch9wavefront6targetE0EEEvT1_.uses_vcc, 0
	.set _ZN7rocprim17ROCPRIM_400000_NS6detail17trampoline_kernelINS0_14default_configENS1_25transform_config_selectorImLb1EEEZNS1_14transform_implILb1ES3_S5_PmPlNS0_8identityIvEEEE10hipError_tT2_T3_mT4_P12ihipStream_tbEUlT_E_NS1_11comp_targetILNS1_3genE5ELNS1_11target_archE942ELNS1_3gpuE9ELNS1_3repE0EEENS1_30default_config_static_selectorELNS0_4arch9wavefront6targetE0EEEvT1_.uses_flat_scratch, 0
	.set _ZN7rocprim17ROCPRIM_400000_NS6detail17trampoline_kernelINS0_14default_configENS1_25transform_config_selectorImLb1EEEZNS1_14transform_implILb1ES3_S5_PmPlNS0_8identityIvEEEE10hipError_tT2_T3_mT4_P12ihipStream_tbEUlT_E_NS1_11comp_targetILNS1_3genE5ELNS1_11target_archE942ELNS1_3gpuE9ELNS1_3repE0EEENS1_30default_config_static_selectorELNS0_4arch9wavefront6targetE0EEEvT1_.has_dyn_sized_stack, 0
	.set _ZN7rocprim17ROCPRIM_400000_NS6detail17trampoline_kernelINS0_14default_configENS1_25transform_config_selectorImLb1EEEZNS1_14transform_implILb1ES3_S5_PmPlNS0_8identityIvEEEE10hipError_tT2_T3_mT4_P12ihipStream_tbEUlT_E_NS1_11comp_targetILNS1_3genE5ELNS1_11target_archE942ELNS1_3gpuE9ELNS1_3repE0EEENS1_30default_config_static_selectorELNS0_4arch9wavefront6targetE0EEEvT1_.has_recursion, 0
	.set _ZN7rocprim17ROCPRIM_400000_NS6detail17trampoline_kernelINS0_14default_configENS1_25transform_config_selectorImLb1EEEZNS1_14transform_implILb1ES3_S5_PmPlNS0_8identityIvEEEE10hipError_tT2_T3_mT4_P12ihipStream_tbEUlT_E_NS1_11comp_targetILNS1_3genE5ELNS1_11target_archE942ELNS1_3gpuE9ELNS1_3repE0EEENS1_30default_config_static_selectorELNS0_4arch9wavefront6targetE0EEEvT1_.has_indirect_call, 0
	.section	.AMDGPU.csdata,"",@progbits
; Kernel info:
; codeLenInByte = 0
; TotalNumSgprs: 0
; NumVgprs: 0
; ScratchSize: 0
; MemoryBound: 0
; FloatMode: 240
; IeeeMode: 1
; LDSByteSize: 0 bytes/workgroup (compile time only)
; SGPRBlocks: 0
; VGPRBlocks: 0
; NumSGPRsForWavesPerEU: 1
; NumVGPRsForWavesPerEU: 1
; NamedBarCnt: 0
; Occupancy: 16
; WaveLimiterHint : 0
; COMPUTE_PGM_RSRC2:SCRATCH_EN: 0
; COMPUTE_PGM_RSRC2:USER_SGPR: 2
; COMPUTE_PGM_RSRC2:TRAP_HANDLER: 0
; COMPUTE_PGM_RSRC2:TGID_X_EN: 1
; COMPUTE_PGM_RSRC2:TGID_Y_EN: 0
; COMPUTE_PGM_RSRC2:TGID_Z_EN: 0
; COMPUTE_PGM_RSRC2:TIDIG_COMP_CNT: 0
	.section	.text._ZN7rocprim17ROCPRIM_400000_NS6detail17trampoline_kernelINS0_14default_configENS1_25transform_config_selectorImLb1EEEZNS1_14transform_implILb1ES3_S5_PmPlNS0_8identityIvEEEE10hipError_tT2_T3_mT4_P12ihipStream_tbEUlT_E_NS1_11comp_targetILNS1_3genE4ELNS1_11target_archE910ELNS1_3gpuE8ELNS1_3repE0EEENS1_30default_config_static_selectorELNS0_4arch9wavefront6targetE0EEEvT1_,"axG",@progbits,_ZN7rocprim17ROCPRIM_400000_NS6detail17trampoline_kernelINS0_14default_configENS1_25transform_config_selectorImLb1EEEZNS1_14transform_implILb1ES3_S5_PmPlNS0_8identityIvEEEE10hipError_tT2_T3_mT4_P12ihipStream_tbEUlT_E_NS1_11comp_targetILNS1_3genE4ELNS1_11target_archE910ELNS1_3gpuE8ELNS1_3repE0EEENS1_30default_config_static_selectorELNS0_4arch9wavefront6targetE0EEEvT1_,comdat
	.protected	_ZN7rocprim17ROCPRIM_400000_NS6detail17trampoline_kernelINS0_14default_configENS1_25transform_config_selectorImLb1EEEZNS1_14transform_implILb1ES3_S5_PmPlNS0_8identityIvEEEE10hipError_tT2_T3_mT4_P12ihipStream_tbEUlT_E_NS1_11comp_targetILNS1_3genE4ELNS1_11target_archE910ELNS1_3gpuE8ELNS1_3repE0EEENS1_30default_config_static_selectorELNS0_4arch9wavefront6targetE0EEEvT1_ ; -- Begin function _ZN7rocprim17ROCPRIM_400000_NS6detail17trampoline_kernelINS0_14default_configENS1_25transform_config_selectorImLb1EEEZNS1_14transform_implILb1ES3_S5_PmPlNS0_8identityIvEEEE10hipError_tT2_T3_mT4_P12ihipStream_tbEUlT_E_NS1_11comp_targetILNS1_3genE4ELNS1_11target_archE910ELNS1_3gpuE8ELNS1_3repE0EEENS1_30default_config_static_selectorELNS0_4arch9wavefront6targetE0EEEvT1_
	.globl	_ZN7rocprim17ROCPRIM_400000_NS6detail17trampoline_kernelINS0_14default_configENS1_25transform_config_selectorImLb1EEEZNS1_14transform_implILb1ES3_S5_PmPlNS0_8identityIvEEEE10hipError_tT2_T3_mT4_P12ihipStream_tbEUlT_E_NS1_11comp_targetILNS1_3genE4ELNS1_11target_archE910ELNS1_3gpuE8ELNS1_3repE0EEENS1_30default_config_static_selectorELNS0_4arch9wavefront6targetE0EEEvT1_
	.p2align	8
	.type	_ZN7rocprim17ROCPRIM_400000_NS6detail17trampoline_kernelINS0_14default_configENS1_25transform_config_selectorImLb1EEEZNS1_14transform_implILb1ES3_S5_PmPlNS0_8identityIvEEEE10hipError_tT2_T3_mT4_P12ihipStream_tbEUlT_E_NS1_11comp_targetILNS1_3genE4ELNS1_11target_archE910ELNS1_3gpuE8ELNS1_3repE0EEENS1_30default_config_static_selectorELNS0_4arch9wavefront6targetE0EEEvT1_,@function
_ZN7rocprim17ROCPRIM_400000_NS6detail17trampoline_kernelINS0_14default_configENS1_25transform_config_selectorImLb1EEEZNS1_14transform_implILb1ES3_S5_PmPlNS0_8identityIvEEEE10hipError_tT2_T3_mT4_P12ihipStream_tbEUlT_E_NS1_11comp_targetILNS1_3genE4ELNS1_11target_archE910ELNS1_3gpuE8ELNS1_3repE0EEENS1_30default_config_static_selectorELNS0_4arch9wavefront6targetE0EEEvT1_: ; @_ZN7rocprim17ROCPRIM_400000_NS6detail17trampoline_kernelINS0_14default_configENS1_25transform_config_selectorImLb1EEEZNS1_14transform_implILb1ES3_S5_PmPlNS0_8identityIvEEEE10hipError_tT2_T3_mT4_P12ihipStream_tbEUlT_E_NS1_11comp_targetILNS1_3genE4ELNS1_11target_archE910ELNS1_3gpuE8ELNS1_3repE0EEENS1_30default_config_static_selectorELNS0_4arch9wavefront6targetE0EEEvT1_
; %bb.0:
	.section	.rodata,"a",@progbits
	.p2align	6, 0x0
	.amdhsa_kernel _ZN7rocprim17ROCPRIM_400000_NS6detail17trampoline_kernelINS0_14default_configENS1_25transform_config_selectorImLb1EEEZNS1_14transform_implILb1ES3_S5_PmPlNS0_8identityIvEEEE10hipError_tT2_T3_mT4_P12ihipStream_tbEUlT_E_NS1_11comp_targetILNS1_3genE4ELNS1_11target_archE910ELNS1_3gpuE8ELNS1_3repE0EEENS1_30default_config_static_selectorELNS0_4arch9wavefront6targetE0EEEvT1_
		.amdhsa_group_segment_fixed_size 0
		.amdhsa_private_segment_fixed_size 0
		.amdhsa_kernarg_size 40
		.amdhsa_user_sgpr_count 2
		.amdhsa_user_sgpr_dispatch_ptr 0
		.amdhsa_user_sgpr_queue_ptr 0
		.amdhsa_user_sgpr_kernarg_segment_ptr 1
		.amdhsa_user_sgpr_dispatch_id 0
		.amdhsa_user_sgpr_kernarg_preload_length 0
		.amdhsa_user_sgpr_kernarg_preload_offset 0
		.amdhsa_user_sgpr_private_segment_size 0
		.amdhsa_wavefront_size32 1
		.amdhsa_uses_dynamic_stack 0
		.amdhsa_enable_private_segment 0
		.amdhsa_system_sgpr_workgroup_id_x 1
		.amdhsa_system_sgpr_workgroup_id_y 0
		.amdhsa_system_sgpr_workgroup_id_z 0
		.amdhsa_system_sgpr_workgroup_info 0
		.amdhsa_system_vgpr_workitem_id 0
		.amdhsa_next_free_vgpr 1
		.amdhsa_next_free_sgpr 1
		.amdhsa_named_barrier_count 0
		.amdhsa_reserve_vcc 0
		.amdhsa_float_round_mode_32 0
		.amdhsa_float_round_mode_16_64 0
		.amdhsa_float_denorm_mode_32 3
		.amdhsa_float_denorm_mode_16_64 3
		.amdhsa_fp16_overflow 0
		.amdhsa_memory_ordered 1
		.amdhsa_forward_progress 1
		.amdhsa_inst_pref_size 0
		.amdhsa_round_robin_scheduling 0
		.amdhsa_exception_fp_ieee_invalid_op 0
		.amdhsa_exception_fp_denorm_src 0
		.amdhsa_exception_fp_ieee_div_zero 0
		.amdhsa_exception_fp_ieee_overflow 0
		.amdhsa_exception_fp_ieee_underflow 0
		.amdhsa_exception_fp_ieee_inexact 0
		.amdhsa_exception_int_div_zero 0
	.end_amdhsa_kernel
	.section	.text._ZN7rocprim17ROCPRIM_400000_NS6detail17trampoline_kernelINS0_14default_configENS1_25transform_config_selectorImLb1EEEZNS1_14transform_implILb1ES3_S5_PmPlNS0_8identityIvEEEE10hipError_tT2_T3_mT4_P12ihipStream_tbEUlT_E_NS1_11comp_targetILNS1_3genE4ELNS1_11target_archE910ELNS1_3gpuE8ELNS1_3repE0EEENS1_30default_config_static_selectorELNS0_4arch9wavefront6targetE0EEEvT1_,"axG",@progbits,_ZN7rocprim17ROCPRIM_400000_NS6detail17trampoline_kernelINS0_14default_configENS1_25transform_config_selectorImLb1EEEZNS1_14transform_implILb1ES3_S5_PmPlNS0_8identityIvEEEE10hipError_tT2_T3_mT4_P12ihipStream_tbEUlT_E_NS1_11comp_targetILNS1_3genE4ELNS1_11target_archE910ELNS1_3gpuE8ELNS1_3repE0EEENS1_30default_config_static_selectorELNS0_4arch9wavefront6targetE0EEEvT1_,comdat
.Lfunc_end12:
	.size	_ZN7rocprim17ROCPRIM_400000_NS6detail17trampoline_kernelINS0_14default_configENS1_25transform_config_selectorImLb1EEEZNS1_14transform_implILb1ES3_S5_PmPlNS0_8identityIvEEEE10hipError_tT2_T3_mT4_P12ihipStream_tbEUlT_E_NS1_11comp_targetILNS1_3genE4ELNS1_11target_archE910ELNS1_3gpuE8ELNS1_3repE0EEENS1_30default_config_static_selectorELNS0_4arch9wavefront6targetE0EEEvT1_, .Lfunc_end12-_ZN7rocprim17ROCPRIM_400000_NS6detail17trampoline_kernelINS0_14default_configENS1_25transform_config_selectorImLb1EEEZNS1_14transform_implILb1ES3_S5_PmPlNS0_8identityIvEEEE10hipError_tT2_T3_mT4_P12ihipStream_tbEUlT_E_NS1_11comp_targetILNS1_3genE4ELNS1_11target_archE910ELNS1_3gpuE8ELNS1_3repE0EEENS1_30default_config_static_selectorELNS0_4arch9wavefront6targetE0EEEvT1_
                                        ; -- End function
	.set _ZN7rocprim17ROCPRIM_400000_NS6detail17trampoline_kernelINS0_14default_configENS1_25transform_config_selectorImLb1EEEZNS1_14transform_implILb1ES3_S5_PmPlNS0_8identityIvEEEE10hipError_tT2_T3_mT4_P12ihipStream_tbEUlT_E_NS1_11comp_targetILNS1_3genE4ELNS1_11target_archE910ELNS1_3gpuE8ELNS1_3repE0EEENS1_30default_config_static_selectorELNS0_4arch9wavefront6targetE0EEEvT1_.num_vgpr, 0
	.set _ZN7rocprim17ROCPRIM_400000_NS6detail17trampoline_kernelINS0_14default_configENS1_25transform_config_selectorImLb1EEEZNS1_14transform_implILb1ES3_S5_PmPlNS0_8identityIvEEEE10hipError_tT2_T3_mT4_P12ihipStream_tbEUlT_E_NS1_11comp_targetILNS1_3genE4ELNS1_11target_archE910ELNS1_3gpuE8ELNS1_3repE0EEENS1_30default_config_static_selectorELNS0_4arch9wavefront6targetE0EEEvT1_.num_agpr, 0
	.set _ZN7rocprim17ROCPRIM_400000_NS6detail17trampoline_kernelINS0_14default_configENS1_25transform_config_selectorImLb1EEEZNS1_14transform_implILb1ES3_S5_PmPlNS0_8identityIvEEEE10hipError_tT2_T3_mT4_P12ihipStream_tbEUlT_E_NS1_11comp_targetILNS1_3genE4ELNS1_11target_archE910ELNS1_3gpuE8ELNS1_3repE0EEENS1_30default_config_static_selectorELNS0_4arch9wavefront6targetE0EEEvT1_.numbered_sgpr, 0
	.set _ZN7rocprim17ROCPRIM_400000_NS6detail17trampoline_kernelINS0_14default_configENS1_25transform_config_selectorImLb1EEEZNS1_14transform_implILb1ES3_S5_PmPlNS0_8identityIvEEEE10hipError_tT2_T3_mT4_P12ihipStream_tbEUlT_E_NS1_11comp_targetILNS1_3genE4ELNS1_11target_archE910ELNS1_3gpuE8ELNS1_3repE0EEENS1_30default_config_static_selectorELNS0_4arch9wavefront6targetE0EEEvT1_.num_named_barrier, 0
	.set _ZN7rocprim17ROCPRIM_400000_NS6detail17trampoline_kernelINS0_14default_configENS1_25transform_config_selectorImLb1EEEZNS1_14transform_implILb1ES3_S5_PmPlNS0_8identityIvEEEE10hipError_tT2_T3_mT4_P12ihipStream_tbEUlT_E_NS1_11comp_targetILNS1_3genE4ELNS1_11target_archE910ELNS1_3gpuE8ELNS1_3repE0EEENS1_30default_config_static_selectorELNS0_4arch9wavefront6targetE0EEEvT1_.private_seg_size, 0
	.set _ZN7rocprim17ROCPRIM_400000_NS6detail17trampoline_kernelINS0_14default_configENS1_25transform_config_selectorImLb1EEEZNS1_14transform_implILb1ES3_S5_PmPlNS0_8identityIvEEEE10hipError_tT2_T3_mT4_P12ihipStream_tbEUlT_E_NS1_11comp_targetILNS1_3genE4ELNS1_11target_archE910ELNS1_3gpuE8ELNS1_3repE0EEENS1_30default_config_static_selectorELNS0_4arch9wavefront6targetE0EEEvT1_.uses_vcc, 0
	.set _ZN7rocprim17ROCPRIM_400000_NS6detail17trampoline_kernelINS0_14default_configENS1_25transform_config_selectorImLb1EEEZNS1_14transform_implILb1ES3_S5_PmPlNS0_8identityIvEEEE10hipError_tT2_T3_mT4_P12ihipStream_tbEUlT_E_NS1_11comp_targetILNS1_3genE4ELNS1_11target_archE910ELNS1_3gpuE8ELNS1_3repE0EEENS1_30default_config_static_selectorELNS0_4arch9wavefront6targetE0EEEvT1_.uses_flat_scratch, 0
	.set _ZN7rocprim17ROCPRIM_400000_NS6detail17trampoline_kernelINS0_14default_configENS1_25transform_config_selectorImLb1EEEZNS1_14transform_implILb1ES3_S5_PmPlNS0_8identityIvEEEE10hipError_tT2_T3_mT4_P12ihipStream_tbEUlT_E_NS1_11comp_targetILNS1_3genE4ELNS1_11target_archE910ELNS1_3gpuE8ELNS1_3repE0EEENS1_30default_config_static_selectorELNS0_4arch9wavefront6targetE0EEEvT1_.has_dyn_sized_stack, 0
	.set _ZN7rocprim17ROCPRIM_400000_NS6detail17trampoline_kernelINS0_14default_configENS1_25transform_config_selectorImLb1EEEZNS1_14transform_implILb1ES3_S5_PmPlNS0_8identityIvEEEE10hipError_tT2_T3_mT4_P12ihipStream_tbEUlT_E_NS1_11comp_targetILNS1_3genE4ELNS1_11target_archE910ELNS1_3gpuE8ELNS1_3repE0EEENS1_30default_config_static_selectorELNS0_4arch9wavefront6targetE0EEEvT1_.has_recursion, 0
	.set _ZN7rocprim17ROCPRIM_400000_NS6detail17trampoline_kernelINS0_14default_configENS1_25transform_config_selectorImLb1EEEZNS1_14transform_implILb1ES3_S5_PmPlNS0_8identityIvEEEE10hipError_tT2_T3_mT4_P12ihipStream_tbEUlT_E_NS1_11comp_targetILNS1_3genE4ELNS1_11target_archE910ELNS1_3gpuE8ELNS1_3repE0EEENS1_30default_config_static_selectorELNS0_4arch9wavefront6targetE0EEEvT1_.has_indirect_call, 0
	.section	.AMDGPU.csdata,"",@progbits
; Kernel info:
; codeLenInByte = 0
; TotalNumSgprs: 0
; NumVgprs: 0
; ScratchSize: 0
; MemoryBound: 0
; FloatMode: 240
; IeeeMode: 1
; LDSByteSize: 0 bytes/workgroup (compile time only)
; SGPRBlocks: 0
; VGPRBlocks: 0
; NumSGPRsForWavesPerEU: 1
; NumVGPRsForWavesPerEU: 1
; NamedBarCnt: 0
; Occupancy: 16
; WaveLimiterHint : 0
; COMPUTE_PGM_RSRC2:SCRATCH_EN: 0
; COMPUTE_PGM_RSRC2:USER_SGPR: 2
; COMPUTE_PGM_RSRC2:TRAP_HANDLER: 0
; COMPUTE_PGM_RSRC2:TGID_X_EN: 1
; COMPUTE_PGM_RSRC2:TGID_Y_EN: 0
; COMPUTE_PGM_RSRC2:TGID_Z_EN: 0
; COMPUTE_PGM_RSRC2:TIDIG_COMP_CNT: 0
	.section	.text._ZN7rocprim17ROCPRIM_400000_NS6detail17trampoline_kernelINS0_14default_configENS1_25transform_config_selectorImLb1EEEZNS1_14transform_implILb1ES3_S5_PmPlNS0_8identityIvEEEE10hipError_tT2_T3_mT4_P12ihipStream_tbEUlT_E_NS1_11comp_targetILNS1_3genE3ELNS1_11target_archE908ELNS1_3gpuE7ELNS1_3repE0EEENS1_30default_config_static_selectorELNS0_4arch9wavefront6targetE0EEEvT1_,"axG",@progbits,_ZN7rocprim17ROCPRIM_400000_NS6detail17trampoline_kernelINS0_14default_configENS1_25transform_config_selectorImLb1EEEZNS1_14transform_implILb1ES3_S5_PmPlNS0_8identityIvEEEE10hipError_tT2_T3_mT4_P12ihipStream_tbEUlT_E_NS1_11comp_targetILNS1_3genE3ELNS1_11target_archE908ELNS1_3gpuE7ELNS1_3repE0EEENS1_30default_config_static_selectorELNS0_4arch9wavefront6targetE0EEEvT1_,comdat
	.protected	_ZN7rocprim17ROCPRIM_400000_NS6detail17trampoline_kernelINS0_14default_configENS1_25transform_config_selectorImLb1EEEZNS1_14transform_implILb1ES3_S5_PmPlNS0_8identityIvEEEE10hipError_tT2_T3_mT4_P12ihipStream_tbEUlT_E_NS1_11comp_targetILNS1_3genE3ELNS1_11target_archE908ELNS1_3gpuE7ELNS1_3repE0EEENS1_30default_config_static_selectorELNS0_4arch9wavefront6targetE0EEEvT1_ ; -- Begin function _ZN7rocprim17ROCPRIM_400000_NS6detail17trampoline_kernelINS0_14default_configENS1_25transform_config_selectorImLb1EEEZNS1_14transform_implILb1ES3_S5_PmPlNS0_8identityIvEEEE10hipError_tT2_T3_mT4_P12ihipStream_tbEUlT_E_NS1_11comp_targetILNS1_3genE3ELNS1_11target_archE908ELNS1_3gpuE7ELNS1_3repE0EEENS1_30default_config_static_selectorELNS0_4arch9wavefront6targetE0EEEvT1_
	.globl	_ZN7rocprim17ROCPRIM_400000_NS6detail17trampoline_kernelINS0_14default_configENS1_25transform_config_selectorImLb1EEEZNS1_14transform_implILb1ES3_S5_PmPlNS0_8identityIvEEEE10hipError_tT2_T3_mT4_P12ihipStream_tbEUlT_E_NS1_11comp_targetILNS1_3genE3ELNS1_11target_archE908ELNS1_3gpuE7ELNS1_3repE0EEENS1_30default_config_static_selectorELNS0_4arch9wavefront6targetE0EEEvT1_
	.p2align	8
	.type	_ZN7rocprim17ROCPRIM_400000_NS6detail17trampoline_kernelINS0_14default_configENS1_25transform_config_selectorImLb1EEEZNS1_14transform_implILb1ES3_S5_PmPlNS0_8identityIvEEEE10hipError_tT2_T3_mT4_P12ihipStream_tbEUlT_E_NS1_11comp_targetILNS1_3genE3ELNS1_11target_archE908ELNS1_3gpuE7ELNS1_3repE0EEENS1_30default_config_static_selectorELNS0_4arch9wavefront6targetE0EEEvT1_,@function
_ZN7rocprim17ROCPRIM_400000_NS6detail17trampoline_kernelINS0_14default_configENS1_25transform_config_selectorImLb1EEEZNS1_14transform_implILb1ES3_S5_PmPlNS0_8identityIvEEEE10hipError_tT2_T3_mT4_P12ihipStream_tbEUlT_E_NS1_11comp_targetILNS1_3genE3ELNS1_11target_archE908ELNS1_3gpuE7ELNS1_3repE0EEENS1_30default_config_static_selectorELNS0_4arch9wavefront6targetE0EEEvT1_: ; @_ZN7rocprim17ROCPRIM_400000_NS6detail17trampoline_kernelINS0_14default_configENS1_25transform_config_selectorImLb1EEEZNS1_14transform_implILb1ES3_S5_PmPlNS0_8identityIvEEEE10hipError_tT2_T3_mT4_P12ihipStream_tbEUlT_E_NS1_11comp_targetILNS1_3genE3ELNS1_11target_archE908ELNS1_3gpuE7ELNS1_3repE0EEENS1_30default_config_static_selectorELNS0_4arch9wavefront6targetE0EEEvT1_
; %bb.0:
	.section	.rodata,"a",@progbits
	.p2align	6, 0x0
	.amdhsa_kernel _ZN7rocprim17ROCPRIM_400000_NS6detail17trampoline_kernelINS0_14default_configENS1_25transform_config_selectorImLb1EEEZNS1_14transform_implILb1ES3_S5_PmPlNS0_8identityIvEEEE10hipError_tT2_T3_mT4_P12ihipStream_tbEUlT_E_NS1_11comp_targetILNS1_3genE3ELNS1_11target_archE908ELNS1_3gpuE7ELNS1_3repE0EEENS1_30default_config_static_selectorELNS0_4arch9wavefront6targetE0EEEvT1_
		.amdhsa_group_segment_fixed_size 0
		.amdhsa_private_segment_fixed_size 0
		.amdhsa_kernarg_size 40
		.amdhsa_user_sgpr_count 2
		.amdhsa_user_sgpr_dispatch_ptr 0
		.amdhsa_user_sgpr_queue_ptr 0
		.amdhsa_user_sgpr_kernarg_segment_ptr 1
		.amdhsa_user_sgpr_dispatch_id 0
		.amdhsa_user_sgpr_kernarg_preload_length 0
		.amdhsa_user_sgpr_kernarg_preload_offset 0
		.amdhsa_user_sgpr_private_segment_size 0
		.amdhsa_wavefront_size32 1
		.amdhsa_uses_dynamic_stack 0
		.amdhsa_enable_private_segment 0
		.amdhsa_system_sgpr_workgroup_id_x 1
		.amdhsa_system_sgpr_workgroup_id_y 0
		.amdhsa_system_sgpr_workgroup_id_z 0
		.amdhsa_system_sgpr_workgroup_info 0
		.amdhsa_system_vgpr_workitem_id 0
		.amdhsa_next_free_vgpr 1
		.amdhsa_next_free_sgpr 1
		.amdhsa_named_barrier_count 0
		.amdhsa_reserve_vcc 0
		.amdhsa_float_round_mode_32 0
		.amdhsa_float_round_mode_16_64 0
		.amdhsa_float_denorm_mode_32 3
		.amdhsa_float_denorm_mode_16_64 3
		.amdhsa_fp16_overflow 0
		.amdhsa_memory_ordered 1
		.amdhsa_forward_progress 1
		.amdhsa_inst_pref_size 0
		.amdhsa_round_robin_scheduling 0
		.amdhsa_exception_fp_ieee_invalid_op 0
		.amdhsa_exception_fp_denorm_src 0
		.amdhsa_exception_fp_ieee_div_zero 0
		.amdhsa_exception_fp_ieee_overflow 0
		.amdhsa_exception_fp_ieee_underflow 0
		.amdhsa_exception_fp_ieee_inexact 0
		.amdhsa_exception_int_div_zero 0
	.end_amdhsa_kernel
	.section	.text._ZN7rocprim17ROCPRIM_400000_NS6detail17trampoline_kernelINS0_14default_configENS1_25transform_config_selectorImLb1EEEZNS1_14transform_implILb1ES3_S5_PmPlNS0_8identityIvEEEE10hipError_tT2_T3_mT4_P12ihipStream_tbEUlT_E_NS1_11comp_targetILNS1_3genE3ELNS1_11target_archE908ELNS1_3gpuE7ELNS1_3repE0EEENS1_30default_config_static_selectorELNS0_4arch9wavefront6targetE0EEEvT1_,"axG",@progbits,_ZN7rocprim17ROCPRIM_400000_NS6detail17trampoline_kernelINS0_14default_configENS1_25transform_config_selectorImLb1EEEZNS1_14transform_implILb1ES3_S5_PmPlNS0_8identityIvEEEE10hipError_tT2_T3_mT4_P12ihipStream_tbEUlT_E_NS1_11comp_targetILNS1_3genE3ELNS1_11target_archE908ELNS1_3gpuE7ELNS1_3repE0EEENS1_30default_config_static_selectorELNS0_4arch9wavefront6targetE0EEEvT1_,comdat
.Lfunc_end13:
	.size	_ZN7rocprim17ROCPRIM_400000_NS6detail17trampoline_kernelINS0_14default_configENS1_25transform_config_selectorImLb1EEEZNS1_14transform_implILb1ES3_S5_PmPlNS0_8identityIvEEEE10hipError_tT2_T3_mT4_P12ihipStream_tbEUlT_E_NS1_11comp_targetILNS1_3genE3ELNS1_11target_archE908ELNS1_3gpuE7ELNS1_3repE0EEENS1_30default_config_static_selectorELNS0_4arch9wavefront6targetE0EEEvT1_, .Lfunc_end13-_ZN7rocprim17ROCPRIM_400000_NS6detail17trampoline_kernelINS0_14default_configENS1_25transform_config_selectorImLb1EEEZNS1_14transform_implILb1ES3_S5_PmPlNS0_8identityIvEEEE10hipError_tT2_T3_mT4_P12ihipStream_tbEUlT_E_NS1_11comp_targetILNS1_3genE3ELNS1_11target_archE908ELNS1_3gpuE7ELNS1_3repE0EEENS1_30default_config_static_selectorELNS0_4arch9wavefront6targetE0EEEvT1_
                                        ; -- End function
	.set _ZN7rocprim17ROCPRIM_400000_NS6detail17trampoline_kernelINS0_14default_configENS1_25transform_config_selectorImLb1EEEZNS1_14transform_implILb1ES3_S5_PmPlNS0_8identityIvEEEE10hipError_tT2_T3_mT4_P12ihipStream_tbEUlT_E_NS1_11comp_targetILNS1_3genE3ELNS1_11target_archE908ELNS1_3gpuE7ELNS1_3repE0EEENS1_30default_config_static_selectorELNS0_4arch9wavefront6targetE0EEEvT1_.num_vgpr, 0
	.set _ZN7rocprim17ROCPRIM_400000_NS6detail17trampoline_kernelINS0_14default_configENS1_25transform_config_selectorImLb1EEEZNS1_14transform_implILb1ES3_S5_PmPlNS0_8identityIvEEEE10hipError_tT2_T3_mT4_P12ihipStream_tbEUlT_E_NS1_11comp_targetILNS1_3genE3ELNS1_11target_archE908ELNS1_3gpuE7ELNS1_3repE0EEENS1_30default_config_static_selectorELNS0_4arch9wavefront6targetE0EEEvT1_.num_agpr, 0
	.set _ZN7rocprim17ROCPRIM_400000_NS6detail17trampoline_kernelINS0_14default_configENS1_25transform_config_selectorImLb1EEEZNS1_14transform_implILb1ES3_S5_PmPlNS0_8identityIvEEEE10hipError_tT2_T3_mT4_P12ihipStream_tbEUlT_E_NS1_11comp_targetILNS1_3genE3ELNS1_11target_archE908ELNS1_3gpuE7ELNS1_3repE0EEENS1_30default_config_static_selectorELNS0_4arch9wavefront6targetE0EEEvT1_.numbered_sgpr, 0
	.set _ZN7rocprim17ROCPRIM_400000_NS6detail17trampoline_kernelINS0_14default_configENS1_25transform_config_selectorImLb1EEEZNS1_14transform_implILb1ES3_S5_PmPlNS0_8identityIvEEEE10hipError_tT2_T3_mT4_P12ihipStream_tbEUlT_E_NS1_11comp_targetILNS1_3genE3ELNS1_11target_archE908ELNS1_3gpuE7ELNS1_3repE0EEENS1_30default_config_static_selectorELNS0_4arch9wavefront6targetE0EEEvT1_.num_named_barrier, 0
	.set _ZN7rocprim17ROCPRIM_400000_NS6detail17trampoline_kernelINS0_14default_configENS1_25transform_config_selectorImLb1EEEZNS1_14transform_implILb1ES3_S5_PmPlNS0_8identityIvEEEE10hipError_tT2_T3_mT4_P12ihipStream_tbEUlT_E_NS1_11comp_targetILNS1_3genE3ELNS1_11target_archE908ELNS1_3gpuE7ELNS1_3repE0EEENS1_30default_config_static_selectorELNS0_4arch9wavefront6targetE0EEEvT1_.private_seg_size, 0
	.set _ZN7rocprim17ROCPRIM_400000_NS6detail17trampoline_kernelINS0_14default_configENS1_25transform_config_selectorImLb1EEEZNS1_14transform_implILb1ES3_S5_PmPlNS0_8identityIvEEEE10hipError_tT2_T3_mT4_P12ihipStream_tbEUlT_E_NS1_11comp_targetILNS1_3genE3ELNS1_11target_archE908ELNS1_3gpuE7ELNS1_3repE0EEENS1_30default_config_static_selectorELNS0_4arch9wavefront6targetE0EEEvT1_.uses_vcc, 0
	.set _ZN7rocprim17ROCPRIM_400000_NS6detail17trampoline_kernelINS0_14default_configENS1_25transform_config_selectorImLb1EEEZNS1_14transform_implILb1ES3_S5_PmPlNS0_8identityIvEEEE10hipError_tT2_T3_mT4_P12ihipStream_tbEUlT_E_NS1_11comp_targetILNS1_3genE3ELNS1_11target_archE908ELNS1_3gpuE7ELNS1_3repE0EEENS1_30default_config_static_selectorELNS0_4arch9wavefront6targetE0EEEvT1_.uses_flat_scratch, 0
	.set _ZN7rocprim17ROCPRIM_400000_NS6detail17trampoline_kernelINS0_14default_configENS1_25transform_config_selectorImLb1EEEZNS1_14transform_implILb1ES3_S5_PmPlNS0_8identityIvEEEE10hipError_tT2_T3_mT4_P12ihipStream_tbEUlT_E_NS1_11comp_targetILNS1_3genE3ELNS1_11target_archE908ELNS1_3gpuE7ELNS1_3repE0EEENS1_30default_config_static_selectorELNS0_4arch9wavefront6targetE0EEEvT1_.has_dyn_sized_stack, 0
	.set _ZN7rocprim17ROCPRIM_400000_NS6detail17trampoline_kernelINS0_14default_configENS1_25transform_config_selectorImLb1EEEZNS1_14transform_implILb1ES3_S5_PmPlNS0_8identityIvEEEE10hipError_tT2_T3_mT4_P12ihipStream_tbEUlT_E_NS1_11comp_targetILNS1_3genE3ELNS1_11target_archE908ELNS1_3gpuE7ELNS1_3repE0EEENS1_30default_config_static_selectorELNS0_4arch9wavefront6targetE0EEEvT1_.has_recursion, 0
	.set _ZN7rocprim17ROCPRIM_400000_NS6detail17trampoline_kernelINS0_14default_configENS1_25transform_config_selectorImLb1EEEZNS1_14transform_implILb1ES3_S5_PmPlNS0_8identityIvEEEE10hipError_tT2_T3_mT4_P12ihipStream_tbEUlT_E_NS1_11comp_targetILNS1_3genE3ELNS1_11target_archE908ELNS1_3gpuE7ELNS1_3repE0EEENS1_30default_config_static_selectorELNS0_4arch9wavefront6targetE0EEEvT1_.has_indirect_call, 0
	.section	.AMDGPU.csdata,"",@progbits
; Kernel info:
; codeLenInByte = 0
; TotalNumSgprs: 0
; NumVgprs: 0
; ScratchSize: 0
; MemoryBound: 0
; FloatMode: 240
; IeeeMode: 1
; LDSByteSize: 0 bytes/workgroup (compile time only)
; SGPRBlocks: 0
; VGPRBlocks: 0
; NumSGPRsForWavesPerEU: 1
; NumVGPRsForWavesPerEU: 1
; NamedBarCnt: 0
; Occupancy: 16
; WaveLimiterHint : 0
; COMPUTE_PGM_RSRC2:SCRATCH_EN: 0
; COMPUTE_PGM_RSRC2:USER_SGPR: 2
; COMPUTE_PGM_RSRC2:TRAP_HANDLER: 0
; COMPUTE_PGM_RSRC2:TGID_X_EN: 1
; COMPUTE_PGM_RSRC2:TGID_Y_EN: 0
; COMPUTE_PGM_RSRC2:TGID_Z_EN: 0
; COMPUTE_PGM_RSRC2:TIDIG_COMP_CNT: 0
	.section	.text._ZN7rocprim17ROCPRIM_400000_NS6detail17trampoline_kernelINS0_14default_configENS1_25transform_config_selectorImLb1EEEZNS1_14transform_implILb1ES3_S5_PmPlNS0_8identityIvEEEE10hipError_tT2_T3_mT4_P12ihipStream_tbEUlT_E_NS1_11comp_targetILNS1_3genE2ELNS1_11target_archE906ELNS1_3gpuE6ELNS1_3repE0EEENS1_30default_config_static_selectorELNS0_4arch9wavefront6targetE0EEEvT1_,"axG",@progbits,_ZN7rocprim17ROCPRIM_400000_NS6detail17trampoline_kernelINS0_14default_configENS1_25transform_config_selectorImLb1EEEZNS1_14transform_implILb1ES3_S5_PmPlNS0_8identityIvEEEE10hipError_tT2_T3_mT4_P12ihipStream_tbEUlT_E_NS1_11comp_targetILNS1_3genE2ELNS1_11target_archE906ELNS1_3gpuE6ELNS1_3repE0EEENS1_30default_config_static_selectorELNS0_4arch9wavefront6targetE0EEEvT1_,comdat
	.protected	_ZN7rocprim17ROCPRIM_400000_NS6detail17trampoline_kernelINS0_14default_configENS1_25transform_config_selectorImLb1EEEZNS1_14transform_implILb1ES3_S5_PmPlNS0_8identityIvEEEE10hipError_tT2_T3_mT4_P12ihipStream_tbEUlT_E_NS1_11comp_targetILNS1_3genE2ELNS1_11target_archE906ELNS1_3gpuE6ELNS1_3repE0EEENS1_30default_config_static_selectorELNS0_4arch9wavefront6targetE0EEEvT1_ ; -- Begin function _ZN7rocprim17ROCPRIM_400000_NS6detail17trampoline_kernelINS0_14default_configENS1_25transform_config_selectorImLb1EEEZNS1_14transform_implILb1ES3_S5_PmPlNS0_8identityIvEEEE10hipError_tT2_T3_mT4_P12ihipStream_tbEUlT_E_NS1_11comp_targetILNS1_3genE2ELNS1_11target_archE906ELNS1_3gpuE6ELNS1_3repE0EEENS1_30default_config_static_selectorELNS0_4arch9wavefront6targetE0EEEvT1_
	.globl	_ZN7rocprim17ROCPRIM_400000_NS6detail17trampoline_kernelINS0_14default_configENS1_25transform_config_selectorImLb1EEEZNS1_14transform_implILb1ES3_S5_PmPlNS0_8identityIvEEEE10hipError_tT2_T3_mT4_P12ihipStream_tbEUlT_E_NS1_11comp_targetILNS1_3genE2ELNS1_11target_archE906ELNS1_3gpuE6ELNS1_3repE0EEENS1_30default_config_static_selectorELNS0_4arch9wavefront6targetE0EEEvT1_
	.p2align	8
	.type	_ZN7rocprim17ROCPRIM_400000_NS6detail17trampoline_kernelINS0_14default_configENS1_25transform_config_selectorImLb1EEEZNS1_14transform_implILb1ES3_S5_PmPlNS0_8identityIvEEEE10hipError_tT2_T3_mT4_P12ihipStream_tbEUlT_E_NS1_11comp_targetILNS1_3genE2ELNS1_11target_archE906ELNS1_3gpuE6ELNS1_3repE0EEENS1_30default_config_static_selectorELNS0_4arch9wavefront6targetE0EEEvT1_,@function
_ZN7rocprim17ROCPRIM_400000_NS6detail17trampoline_kernelINS0_14default_configENS1_25transform_config_selectorImLb1EEEZNS1_14transform_implILb1ES3_S5_PmPlNS0_8identityIvEEEE10hipError_tT2_T3_mT4_P12ihipStream_tbEUlT_E_NS1_11comp_targetILNS1_3genE2ELNS1_11target_archE906ELNS1_3gpuE6ELNS1_3repE0EEENS1_30default_config_static_selectorELNS0_4arch9wavefront6targetE0EEEvT1_: ; @_ZN7rocprim17ROCPRIM_400000_NS6detail17trampoline_kernelINS0_14default_configENS1_25transform_config_selectorImLb1EEEZNS1_14transform_implILb1ES3_S5_PmPlNS0_8identityIvEEEE10hipError_tT2_T3_mT4_P12ihipStream_tbEUlT_E_NS1_11comp_targetILNS1_3genE2ELNS1_11target_archE906ELNS1_3gpuE6ELNS1_3repE0EEENS1_30default_config_static_selectorELNS0_4arch9wavefront6targetE0EEEvT1_
; %bb.0:
	.section	.rodata,"a",@progbits
	.p2align	6, 0x0
	.amdhsa_kernel _ZN7rocprim17ROCPRIM_400000_NS6detail17trampoline_kernelINS0_14default_configENS1_25transform_config_selectorImLb1EEEZNS1_14transform_implILb1ES3_S5_PmPlNS0_8identityIvEEEE10hipError_tT2_T3_mT4_P12ihipStream_tbEUlT_E_NS1_11comp_targetILNS1_3genE2ELNS1_11target_archE906ELNS1_3gpuE6ELNS1_3repE0EEENS1_30default_config_static_selectorELNS0_4arch9wavefront6targetE0EEEvT1_
		.amdhsa_group_segment_fixed_size 0
		.amdhsa_private_segment_fixed_size 0
		.amdhsa_kernarg_size 40
		.amdhsa_user_sgpr_count 2
		.amdhsa_user_sgpr_dispatch_ptr 0
		.amdhsa_user_sgpr_queue_ptr 0
		.amdhsa_user_sgpr_kernarg_segment_ptr 1
		.amdhsa_user_sgpr_dispatch_id 0
		.amdhsa_user_sgpr_kernarg_preload_length 0
		.amdhsa_user_sgpr_kernarg_preload_offset 0
		.amdhsa_user_sgpr_private_segment_size 0
		.amdhsa_wavefront_size32 1
		.amdhsa_uses_dynamic_stack 0
		.amdhsa_enable_private_segment 0
		.amdhsa_system_sgpr_workgroup_id_x 1
		.amdhsa_system_sgpr_workgroup_id_y 0
		.amdhsa_system_sgpr_workgroup_id_z 0
		.amdhsa_system_sgpr_workgroup_info 0
		.amdhsa_system_vgpr_workitem_id 0
		.amdhsa_next_free_vgpr 1
		.amdhsa_next_free_sgpr 1
		.amdhsa_named_barrier_count 0
		.amdhsa_reserve_vcc 0
		.amdhsa_float_round_mode_32 0
		.amdhsa_float_round_mode_16_64 0
		.amdhsa_float_denorm_mode_32 3
		.amdhsa_float_denorm_mode_16_64 3
		.amdhsa_fp16_overflow 0
		.amdhsa_memory_ordered 1
		.amdhsa_forward_progress 1
		.amdhsa_inst_pref_size 0
		.amdhsa_round_robin_scheduling 0
		.amdhsa_exception_fp_ieee_invalid_op 0
		.amdhsa_exception_fp_denorm_src 0
		.amdhsa_exception_fp_ieee_div_zero 0
		.amdhsa_exception_fp_ieee_overflow 0
		.amdhsa_exception_fp_ieee_underflow 0
		.amdhsa_exception_fp_ieee_inexact 0
		.amdhsa_exception_int_div_zero 0
	.end_amdhsa_kernel
	.section	.text._ZN7rocprim17ROCPRIM_400000_NS6detail17trampoline_kernelINS0_14default_configENS1_25transform_config_selectorImLb1EEEZNS1_14transform_implILb1ES3_S5_PmPlNS0_8identityIvEEEE10hipError_tT2_T3_mT4_P12ihipStream_tbEUlT_E_NS1_11comp_targetILNS1_3genE2ELNS1_11target_archE906ELNS1_3gpuE6ELNS1_3repE0EEENS1_30default_config_static_selectorELNS0_4arch9wavefront6targetE0EEEvT1_,"axG",@progbits,_ZN7rocprim17ROCPRIM_400000_NS6detail17trampoline_kernelINS0_14default_configENS1_25transform_config_selectorImLb1EEEZNS1_14transform_implILb1ES3_S5_PmPlNS0_8identityIvEEEE10hipError_tT2_T3_mT4_P12ihipStream_tbEUlT_E_NS1_11comp_targetILNS1_3genE2ELNS1_11target_archE906ELNS1_3gpuE6ELNS1_3repE0EEENS1_30default_config_static_selectorELNS0_4arch9wavefront6targetE0EEEvT1_,comdat
.Lfunc_end14:
	.size	_ZN7rocprim17ROCPRIM_400000_NS6detail17trampoline_kernelINS0_14default_configENS1_25transform_config_selectorImLb1EEEZNS1_14transform_implILb1ES3_S5_PmPlNS0_8identityIvEEEE10hipError_tT2_T3_mT4_P12ihipStream_tbEUlT_E_NS1_11comp_targetILNS1_3genE2ELNS1_11target_archE906ELNS1_3gpuE6ELNS1_3repE0EEENS1_30default_config_static_selectorELNS0_4arch9wavefront6targetE0EEEvT1_, .Lfunc_end14-_ZN7rocprim17ROCPRIM_400000_NS6detail17trampoline_kernelINS0_14default_configENS1_25transform_config_selectorImLb1EEEZNS1_14transform_implILb1ES3_S5_PmPlNS0_8identityIvEEEE10hipError_tT2_T3_mT4_P12ihipStream_tbEUlT_E_NS1_11comp_targetILNS1_3genE2ELNS1_11target_archE906ELNS1_3gpuE6ELNS1_3repE0EEENS1_30default_config_static_selectorELNS0_4arch9wavefront6targetE0EEEvT1_
                                        ; -- End function
	.set _ZN7rocprim17ROCPRIM_400000_NS6detail17trampoline_kernelINS0_14default_configENS1_25transform_config_selectorImLb1EEEZNS1_14transform_implILb1ES3_S5_PmPlNS0_8identityIvEEEE10hipError_tT2_T3_mT4_P12ihipStream_tbEUlT_E_NS1_11comp_targetILNS1_3genE2ELNS1_11target_archE906ELNS1_3gpuE6ELNS1_3repE0EEENS1_30default_config_static_selectorELNS0_4arch9wavefront6targetE0EEEvT1_.num_vgpr, 0
	.set _ZN7rocprim17ROCPRIM_400000_NS6detail17trampoline_kernelINS0_14default_configENS1_25transform_config_selectorImLb1EEEZNS1_14transform_implILb1ES3_S5_PmPlNS0_8identityIvEEEE10hipError_tT2_T3_mT4_P12ihipStream_tbEUlT_E_NS1_11comp_targetILNS1_3genE2ELNS1_11target_archE906ELNS1_3gpuE6ELNS1_3repE0EEENS1_30default_config_static_selectorELNS0_4arch9wavefront6targetE0EEEvT1_.num_agpr, 0
	.set _ZN7rocprim17ROCPRIM_400000_NS6detail17trampoline_kernelINS0_14default_configENS1_25transform_config_selectorImLb1EEEZNS1_14transform_implILb1ES3_S5_PmPlNS0_8identityIvEEEE10hipError_tT2_T3_mT4_P12ihipStream_tbEUlT_E_NS1_11comp_targetILNS1_3genE2ELNS1_11target_archE906ELNS1_3gpuE6ELNS1_3repE0EEENS1_30default_config_static_selectorELNS0_4arch9wavefront6targetE0EEEvT1_.numbered_sgpr, 0
	.set _ZN7rocprim17ROCPRIM_400000_NS6detail17trampoline_kernelINS0_14default_configENS1_25transform_config_selectorImLb1EEEZNS1_14transform_implILb1ES3_S5_PmPlNS0_8identityIvEEEE10hipError_tT2_T3_mT4_P12ihipStream_tbEUlT_E_NS1_11comp_targetILNS1_3genE2ELNS1_11target_archE906ELNS1_3gpuE6ELNS1_3repE0EEENS1_30default_config_static_selectorELNS0_4arch9wavefront6targetE0EEEvT1_.num_named_barrier, 0
	.set _ZN7rocprim17ROCPRIM_400000_NS6detail17trampoline_kernelINS0_14default_configENS1_25transform_config_selectorImLb1EEEZNS1_14transform_implILb1ES3_S5_PmPlNS0_8identityIvEEEE10hipError_tT2_T3_mT4_P12ihipStream_tbEUlT_E_NS1_11comp_targetILNS1_3genE2ELNS1_11target_archE906ELNS1_3gpuE6ELNS1_3repE0EEENS1_30default_config_static_selectorELNS0_4arch9wavefront6targetE0EEEvT1_.private_seg_size, 0
	.set _ZN7rocprim17ROCPRIM_400000_NS6detail17trampoline_kernelINS0_14default_configENS1_25transform_config_selectorImLb1EEEZNS1_14transform_implILb1ES3_S5_PmPlNS0_8identityIvEEEE10hipError_tT2_T3_mT4_P12ihipStream_tbEUlT_E_NS1_11comp_targetILNS1_3genE2ELNS1_11target_archE906ELNS1_3gpuE6ELNS1_3repE0EEENS1_30default_config_static_selectorELNS0_4arch9wavefront6targetE0EEEvT1_.uses_vcc, 0
	.set _ZN7rocprim17ROCPRIM_400000_NS6detail17trampoline_kernelINS0_14default_configENS1_25transform_config_selectorImLb1EEEZNS1_14transform_implILb1ES3_S5_PmPlNS0_8identityIvEEEE10hipError_tT2_T3_mT4_P12ihipStream_tbEUlT_E_NS1_11comp_targetILNS1_3genE2ELNS1_11target_archE906ELNS1_3gpuE6ELNS1_3repE0EEENS1_30default_config_static_selectorELNS0_4arch9wavefront6targetE0EEEvT1_.uses_flat_scratch, 0
	.set _ZN7rocprim17ROCPRIM_400000_NS6detail17trampoline_kernelINS0_14default_configENS1_25transform_config_selectorImLb1EEEZNS1_14transform_implILb1ES3_S5_PmPlNS0_8identityIvEEEE10hipError_tT2_T3_mT4_P12ihipStream_tbEUlT_E_NS1_11comp_targetILNS1_3genE2ELNS1_11target_archE906ELNS1_3gpuE6ELNS1_3repE0EEENS1_30default_config_static_selectorELNS0_4arch9wavefront6targetE0EEEvT1_.has_dyn_sized_stack, 0
	.set _ZN7rocprim17ROCPRIM_400000_NS6detail17trampoline_kernelINS0_14default_configENS1_25transform_config_selectorImLb1EEEZNS1_14transform_implILb1ES3_S5_PmPlNS0_8identityIvEEEE10hipError_tT2_T3_mT4_P12ihipStream_tbEUlT_E_NS1_11comp_targetILNS1_3genE2ELNS1_11target_archE906ELNS1_3gpuE6ELNS1_3repE0EEENS1_30default_config_static_selectorELNS0_4arch9wavefront6targetE0EEEvT1_.has_recursion, 0
	.set _ZN7rocprim17ROCPRIM_400000_NS6detail17trampoline_kernelINS0_14default_configENS1_25transform_config_selectorImLb1EEEZNS1_14transform_implILb1ES3_S5_PmPlNS0_8identityIvEEEE10hipError_tT2_T3_mT4_P12ihipStream_tbEUlT_E_NS1_11comp_targetILNS1_3genE2ELNS1_11target_archE906ELNS1_3gpuE6ELNS1_3repE0EEENS1_30default_config_static_selectorELNS0_4arch9wavefront6targetE0EEEvT1_.has_indirect_call, 0
	.section	.AMDGPU.csdata,"",@progbits
; Kernel info:
; codeLenInByte = 0
; TotalNumSgprs: 0
; NumVgprs: 0
; ScratchSize: 0
; MemoryBound: 0
; FloatMode: 240
; IeeeMode: 1
; LDSByteSize: 0 bytes/workgroup (compile time only)
; SGPRBlocks: 0
; VGPRBlocks: 0
; NumSGPRsForWavesPerEU: 1
; NumVGPRsForWavesPerEU: 1
; NamedBarCnt: 0
; Occupancy: 16
; WaveLimiterHint : 0
; COMPUTE_PGM_RSRC2:SCRATCH_EN: 0
; COMPUTE_PGM_RSRC2:USER_SGPR: 2
; COMPUTE_PGM_RSRC2:TRAP_HANDLER: 0
; COMPUTE_PGM_RSRC2:TGID_X_EN: 1
; COMPUTE_PGM_RSRC2:TGID_Y_EN: 0
; COMPUTE_PGM_RSRC2:TGID_Z_EN: 0
; COMPUTE_PGM_RSRC2:TIDIG_COMP_CNT: 0
	.section	.text._ZN7rocprim17ROCPRIM_400000_NS6detail17trampoline_kernelINS0_14default_configENS1_25transform_config_selectorImLb1EEEZNS1_14transform_implILb1ES3_S5_PmPlNS0_8identityIvEEEE10hipError_tT2_T3_mT4_P12ihipStream_tbEUlT_E_NS1_11comp_targetILNS1_3genE9ELNS1_11target_archE1100ELNS1_3gpuE3ELNS1_3repE0EEENS1_30default_config_static_selectorELNS0_4arch9wavefront6targetE0EEEvT1_,"axG",@progbits,_ZN7rocprim17ROCPRIM_400000_NS6detail17trampoline_kernelINS0_14default_configENS1_25transform_config_selectorImLb1EEEZNS1_14transform_implILb1ES3_S5_PmPlNS0_8identityIvEEEE10hipError_tT2_T3_mT4_P12ihipStream_tbEUlT_E_NS1_11comp_targetILNS1_3genE9ELNS1_11target_archE1100ELNS1_3gpuE3ELNS1_3repE0EEENS1_30default_config_static_selectorELNS0_4arch9wavefront6targetE0EEEvT1_,comdat
	.protected	_ZN7rocprim17ROCPRIM_400000_NS6detail17trampoline_kernelINS0_14default_configENS1_25transform_config_selectorImLb1EEEZNS1_14transform_implILb1ES3_S5_PmPlNS0_8identityIvEEEE10hipError_tT2_T3_mT4_P12ihipStream_tbEUlT_E_NS1_11comp_targetILNS1_3genE9ELNS1_11target_archE1100ELNS1_3gpuE3ELNS1_3repE0EEENS1_30default_config_static_selectorELNS0_4arch9wavefront6targetE0EEEvT1_ ; -- Begin function _ZN7rocprim17ROCPRIM_400000_NS6detail17trampoline_kernelINS0_14default_configENS1_25transform_config_selectorImLb1EEEZNS1_14transform_implILb1ES3_S5_PmPlNS0_8identityIvEEEE10hipError_tT2_T3_mT4_P12ihipStream_tbEUlT_E_NS1_11comp_targetILNS1_3genE9ELNS1_11target_archE1100ELNS1_3gpuE3ELNS1_3repE0EEENS1_30default_config_static_selectorELNS0_4arch9wavefront6targetE0EEEvT1_
	.globl	_ZN7rocprim17ROCPRIM_400000_NS6detail17trampoline_kernelINS0_14default_configENS1_25transform_config_selectorImLb1EEEZNS1_14transform_implILb1ES3_S5_PmPlNS0_8identityIvEEEE10hipError_tT2_T3_mT4_P12ihipStream_tbEUlT_E_NS1_11comp_targetILNS1_3genE9ELNS1_11target_archE1100ELNS1_3gpuE3ELNS1_3repE0EEENS1_30default_config_static_selectorELNS0_4arch9wavefront6targetE0EEEvT1_
	.p2align	8
	.type	_ZN7rocprim17ROCPRIM_400000_NS6detail17trampoline_kernelINS0_14default_configENS1_25transform_config_selectorImLb1EEEZNS1_14transform_implILb1ES3_S5_PmPlNS0_8identityIvEEEE10hipError_tT2_T3_mT4_P12ihipStream_tbEUlT_E_NS1_11comp_targetILNS1_3genE9ELNS1_11target_archE1100ELNS1_3gpuE3ELNS1_3repE0EEENS1_30default_config_static_selectorELNS0_4arch9wavefront6targetE0EEEvT1_,@function
_ZN7rocprim17ROCPRIM_400000_NS6detail17trampoline_kernelINS0_14default_configENS1_25transform_config_selectorImLb1EEEZNS1_14transform_implILb1ES3_S5_PmPlNS0_8identityIvEEEE10hipError_tT2_T3_mT4_P12ihipStream_tbEUlT_E_NS1_11comp_targetILNS1_3genE9ELNS1_11target_archE1100ELNS1_3gpuE3ELNS1_3repE0EEENS1_30default_config_static_selectorELNS0_4arch9wavefront6targetE0EEEvT1_: ; @_ZN7rocprim17ROCPRIM_400000_NS6detail17trampoline_kernelINS0_14default_configENS1_25transform_config_selectorImLb1EEEZNS1_14transform_implILb1ES3_S5_PmPlNS0_8identityIvEEEE10hipError_tT2_T3_mT4_P12ihipStream_tbEUlT_E_NS1_11comp_targetILNS1_3genE9ELNS1_11target_archE1100ELNS1_3gpuE3ELNS1_3repE0EEENS1_30default_config_static_selectorELNS0_4arch9wavefront6targetE0EEEvT1_
; %bb.0:
	.section	.rodata,"a",@progbits
	.p2align	6, 0x0
	.amdhsa_kernel _ZN7rocprim17ROCPRIM_400000_NS6detail17trampoline_kernelINS0_14default_configENS1_25transform_config_selectorImLb1EEEZNS1_14transform_implILb1ES3_S5_PmPlNS0_8identityIvEEEE10hipError_tT2_T3_mT4_P12ihipStream_tbEUlT_E_NS1_11comp_targetILNS1_3genE9ELNS1_11target_archE1100ELNS1_3gpuE3ELNS1_3repE0EEENS1_30default_config_static_selectorELNS0_4arch9wavefront6targetE0EEEvT1_
		.amdhsa_group_segment_fixed_size 0
		.amdhsa_private_segment_fixed_size 0
		.amdhsa_kernarg_size 40
		.amdhsa_user_sgpr_count 2
		.amdhsa_user_sgpr_dispatch_ptr 0
		.amdhsa_user_sgpr_queue_ptr 0
		.amdhsa_user_sgpr_kernarg_segment_ptr 1
		.amdhsa_user_sgpr_dispatch_id 0
		.amdhsa_user_sgpr_kernarg_preload_length 0
		.amdhsa_user_sgpr_kernarg_preload_offset 0
		.amdhsa_user_sgpr_private_segment_size 0
		.amdhsa_wavefront_size32 1
		.amdhsa_uses_dynamic_stack 0
		.amdhsa_enable_private_segment 0
		.amdhsa_system_sgpr_workgroup_id_x 1
		.amdhsa_system_sgpr_workgroup_id_y 0
		.amdhsa_system_sgpr_workgroup_id_z 0
		.amdhsa_system_sgpr_workgroup_info 0
		.amdhsa_system_vgpr_workitem_id 0
		.amdhsa_next_free_vgpr 1
		.amdhsa_next_free_sgpr 1
		.amdhsa_named_barrier_count 0
		.amdhsa_reserve_vcc 0
		.amdhsa_float_round_mode_32 0
		.amdhsa_float_round_mode_16_64 0
		.amdhsa_float_denorm_mode_32 3
		.amdhsa_float_denorm_mode_16_64 3
		.amdhsa_fp16_overflow 0
		.amdhsa_memory_ordered 1
		.amdhsa_forward_progress 1
		.amdhsa_inst_pref_size 0
		.amdhsa_round_robin_scheduling 0
		.amdhsa_exception_fp_ieee_invalid_op 0
		.amdhsa_exception_fp_denorm_src 0
		.amdhsa_exception_fp_ieee_div_zero 0
		.amdhsa_exception_fp_ieee_overflow 0
		.amdhsa_exception_fp_ieee_underflow 0
		.amdhsa_exception_fp_ieee_inexact 0
		.amdhsa_exception_int_div_zero 0
	.end_amdhsa_kernel
	.section	.text._ZN7rocprim17ROCPRIM_400000_NS6detail17trampoline_kernelINS0_14default_configENS1_25transform_config_selectorImLb1EEEZNS1_14transform_implILb1ES3_S5_PmPlNS0_8identityIvEEEE10hipError_tT2_T3_mT4_P12ihipStream_tbEUlT_E_NS1_11comp_targetILNS1_3genE9ELNS1_11target_archE1100ELNS1_3gpuE3ELNS1_3repE0EEENS1_30default_config_static_selectorELNS0_4arch9wavefront6targetE0EEEvT1_,"axG",@progbits,_ZN7rocprim17ROCPRIM_400000_NS6detail17trampoline_kernelINS0_14default_configENS1_25transform_config_selectorImLb1EEEZNS1_14transform_implILb1ES3_S5_PmPlNS0_8identityIvEEEE10hipError_tT2_T3_mT4_P12ihipStream_tbEUlT_E_NS1_11comp_targetILNS1_3genE9ELNS1_11target_archE1100ELNS1_3gpuE3ELNS1_3repE0EEENS1_30default_config_static_selectorELNS0_4arch9wavefront6targetE0EEEvT1_,comdat
.Lfunc_end15:
	.size	_ZN7rocprim17ROCPRIM_400000_NS6detail17trampoline_kernelINS0_14default_configENS1_25transform_config_selectorImLb1EEEZNS1_14transform_implILb1ES3_S5_PmPlNS0_8identityIvEEEE10hipError_tT2_T3_mT4_P12ihipStream_tbEUlT_E_NS1_11comp_targetILNS1_3genE9ELNS1_11target_archE1100ELNS1_3gpuE3ELNS1_3repE0EEENS1_30default_config_static_selectorELNS0_4arch9wavefront6targetE0EEEvT1_, .Lfunc_end15-_ZN7rocprim17ROCPRIM_400000_NS6detail17trampoline_kernelINS0_14default_configENS1_25transform_config_selectorImLb1EEEZNS1_14transform_implILb1ES3_S5_PmPlNS0_8identityIvEEEE10hipError_tT2_T3_mT4_P12ihipStream_tbEUlT_E_NS1_11comp_targetILNS1_3genE9ELNS1_11target_archE1100ELNS1_3gpuE3ELNS1_3repE0EEENS1_30default_config_static_selectorELNS0_4arch9wavefront6targetE0EEEvT1_
                                        ; -- End function
	.set _ZN7rocprim17ROCPRIM_400000_NS6detail17trampoline_kernelINS0_14default_configENS1_25transform_config_selectorImLb1EEEZNS1_14transform_implILb1ES3_S5_PmPlNS0_8identityIvEEEE10hipError_tT2_T3_mT4_P12ihipStream_tbEUlT_E_NS1_11comp_targetILNS1_3genE9ELNS1_11target_archE1100ELNS1_3gpuE3ELNS1_3repE0EEENS1_30default_config_static_selectorELNS0_4arch9wavefront6targetE0EEEvT1_.num_vgpr, 0
	.set _ZN7rocprim17ROCPRIM_400000_NS6detail17trampoline_kernelINS0_14default_configENS1_25transform_config_selectorImLb1EEEZNS1_14transform_implILb1ES3_S5_PmPlNS0_8identityIvEEEE10hipError_tT2_T3_mT4_P12ihipStream_tbEUlT_E_NS1_11comp_targetILNS1_3genE9ELNS1_11target_archE1100ELNS1_3gpuE3ELNS1_3repE0EEENS1_30default_config_static_selectorELNS0_4arch9wavefront6targetE0EEEvT1_.num_agpr, 0
	.set _ZN7rocprim17ROCPRIM_400000_NS6detail17trampoline_kernelINS0_14default_configENS1_25transform_config_selectorImLb1EEEZNS1_14transform_implILb1ES3_S5_PmPlNS0_8identityIvEEEE10hipError_tT2_T3_mT4_P12ihipStream_tbEUlT_E_NS1_11comp_targetILNS1_3genE9ELNS1_11target_archE1100ELNS1_3gpuE3ELNS1_3repE0EEENS1_30default_config_static_selectorELNS0_4arch9wavefront6targetE0EEEvT1_.numbered_sgpr, 0
	.set _ZN7rocprim17ROCPRIM_400000_NS6detail17trampoline_kernelINS0_14default_configENS1_25transform_config_selectorImLb1EEEZNS1_14transform_implILb1ES3_S5_PmPlNS0_8identityIvEEEE10hipError_tT2_T3_mT4_P12ihipStream_tbEUlT_E_NS1_11comp_targetILNS1_3genE9ELNS1_11target_archE1100ELNS1_3gpuE3ELNS1_3repE0EEENS1_30default_config_static_selectorELNS0_4arch9wavefront6targetE0EEEvT1_.num_named_barrier, 0
	.set _ZN7rocprim17ROCPRIM_400000_NS6detail17trampoline_kernelINS0_14default_configENS1_25transform_config_selectorImLb1EEEZNS1_14transform_implILb1ES3_S5_PmPlNS0_8identityIvEEEE10hipError_tT2_T3_mT4_P12ihipStream_tbEUlT_E_NS1_11comp_targetILNS1_3genE9ELNS1_11target_archE1100ELNS1_3gpuE3ELNS1_3repE0EEENS1_30default_config_static_selectorELNS0_4arch9wavefront6targetE0EEEvT1_.private_seg_size, 0
	.set _ZN7rocprim17ROCPRIM_400000_NS6detail17trampoline_kernelINS0_14default_configENS1_25transform_config_selectorImLb1EEEZNS1_14transform_implILb1ES3_S5_PmPlNS0_8identityIvEEEE10hipError_tT2_T3_mT4_P12ihipStream_tbEUlT_E_NS1_11comp_targetILNS1_3genE9ELNS1_11target_archE1100ELNS1_3gpuE3ELNS1_3repE0EEENS1_30default_config_static_selectorELNS0_4arch9wavefront6targetE0EEEvT1_.uses_vcc, 0
	.set _ZN7rocprim17ROCPRIM_400000_NS6detail17trampoline_kernelINS0_14default_configENS1_25transform_config_selectorImLb1EEEZNS1_14transform_implILb1ES3_S5_PmPlNS0_8identityIvEEEE10hipError_tT2_T3_mT4_P12ihipStream_tbEUlT_E_NS1_11comp_targetILNS1_3genE9ELNS1_11target_archE1100ELNS1_3gpuE3ELNS1_3repE0EEENS1_30default_config_static_selectorELNS0_4arch9wavefront6targetE0EEEvT1_.uses_flat_scratch, 0
	.set _ZN7rocprim17ROCPRIM_400000_NS6detail17trampoline_kernelINS0_14default_configENS1_25transform_config_selectorImLb1EEEZNS1_14transform_implILb1ES3_S5_PmPlNS0_8identityIvEEEE10hipError_tT2_T3_mT4_P12ihipStream_tbEUlT_E_NS1_11comp_targetILNS1_3genE9ELNS1_11target_archE1100ELNS1_3gpuE3ELNS1_3repE0EEENS1_30default_config_static_selectorELNS0_4arch9wavefront6targetE0EEEvT1_.has_dyn_sized_stack, 0
	.set _ZN7rocprim17ROCPRIM_400000_NS6detail17trampoline_kernelINS0_14default_configENS1_25transform_config_selectorImLb1EEEZNS1_14transform_implILb1ES3_S5_PmPlNS0_8identityIvEEEE10hipError_tT2_T3_mT4_P12ihipStream_tbEUlT_E_NS1_11comp_targetILNS1_3genE9ELNS1_11target_archE1100ELNS1_3gpuE3ELNS1_3repE0EEENS1_30default_config_static_selectorELNS0_4arch9wavefront6targetE0EEEvT1_.has_recursion, 0
	.set _ZN7rocprim17ROCPRIM_400000_NS6detail17trampoline_kernelINS0_14default_configENS1_25transform_config_selectorImLb1EEEZNS1_14transform_implILb1ES3_S5_PmPlNS0_8identityIvEEEE10hipError_tT2_T3_mT4_P12ihipStream_tbEUlT_E_NS1_11comp_targetILNS1_3genE9ELNS1_11target_archE1100ELNS1_3gpuE3ELNS1_3repE0EEENS1_30default_config_static_selectorELNS0_4arch9wavefront6targetE0EEEvT1_.has_indirect_call, 0
	.section	.AMDGPU.csdata,"",@progbits
; Kernel info:
; codeLenInByte = 0
; TotalNumSgprs: 0
; NumVgprs: 0
; ScratchSize: 0
; MemoryBound: 0
; FloatMode: 240
; IeeeMode: 1
; LDSByteSize: 0 bytes/workgroup (compile time only)
; SGPRBlocks: 0
; VGPRBlocks: 0
; NumSGPRsForWavesPerEU: 1
; NumVGPRsForWavesPerEU: 1
; NamedBarCnt: 0
; Occupancy: 16
; WaveLimiterHint : 0
; COMPUTE_PGM_RSRC2:SCRATCH_EN: 0
; COMPUTE_PGM_RSRC2:USER_SGPR: 2
; COMPUTE_PGM_RSRC2:TRAP_HANDLER: 0
; COMPUTE_PGM_RSRC2:TGID_X_EN: 1
; COMPUTE_PGM_RSRC2:TGID_Y_EN: 0
; COMPUTE_PGM_RSRC2:TGID_Z_EN: 0
; COMPUTE_PGM_RSRC2:TIDIG_COMP_CNT: 0
	.section	.text._ZN7rocprim17ROCPRIM_400000_NS6detail17trampoline_kernelINS0_14default_configENS1_25transform_config_selectorImLb1EEEZNS1_14transform_implILb1ES3_S5_PmPlNS0_8identityIvEEEE10hipError_tT2_T3_mT4_P12ihipStream_tbEUlT_E_NS1_11comp_targetILNS1_3genE8ELNS1_11target_archE1030ELNS1_3gpuE2ELNS1_3repE0EEENS1_30default_config_static_selectorELNS0_4arch9wavefront6targetE0EEEvT1_,"axG",@progbits,_ZN7rocprim17ROCPRIM_400000_NS6detail17trampoline_kernelINS0_14default_configENS1_25transform_config_selectorImLb1EEEZNS1_14transform_implILb1ES3_S5_PmPlNS0_8identityIvEEEE10hipError_tT2_T3_mT4_P12ihipStream_tbEUlT_E_NS1_11comp_targetILNS1_3genE8ELNS1_11target_archE1030ELNS1_3gpuE2ELNS1_3repE0EEENS1_30default_config_static_selectorELNS0_4arch9wavefront6targetE0EEEvT1_,comdat
	.protected	_ZN7rocprim17ROCPRIM_400000_NS6detail17trampoline_kernelINS0_14default_configENS1_25transform_config_selectorImLb1EEEZNS1_14transform_implILb1ES3_S5_PmPlNS0_8identityIvEEEE10hipError_tT2_T3_mT4_P12ihipStream_tbEUlT_E_NS1_11comp_targetILNS1_3genE8ELNS1_11target_archE1030ELNS1_3gpuE2ELNS1_3repE0EEENS1_30default_config_static_selectorELNS0_4arch9wavefront6targetE0EEEvT1_ ; -- Begin function _ZN7rocprim17ROCPRIM_400000_NS6detail17trampoline_kernelINS0_14default_configENS1_25transform_config_selectorImLb1EEEZNS1_14transform_implILb1ES3_S5_PmPlNS0_8identityIvEEEE10hipError_tT2_T3_mT4_P12ihipStream_tbEUlT_E_NS1_11comp_targetILNS1_3genE8ELNS1_11target_archE1030ELNS1_3gpuE2ELNS1_3repE0EEENS1_30default_config_static_selectorELNS0_4arch9wavefront6targetE0EEEvT1_
	.globl	_ZN7rocprim17ROCPRIM_400000_NS6detail17trampoline_kernelINS0_14default_configENS1_25transform_config_selectorImLb1EEEZNS1_14transform_implILb1ES3_S5_PmPlNS0_8identityIvEEEE10hipError_tT2_T3_mT4_P12ihipStream_tbEUlT_E_NS1_11comp_targetILNS1_3genE8ELNS1_11target_archE1030ELNS1_3gpuE2ELNS1_3repE0EEENS1_30default_config_static_selectorELNS0_4arch9wavefront6targetE0EEEvT1_
	.p2align	8
	.type	_ZN7rocprim17ROCPRIM_400000_NS6detail17trampoline_kernelINS0_14default_configENS1_25transform_config_selectorImLb1EEEZNS1_14transform_implILb1ES3_S5_PmPlNS0_8identityIvEEEE10hipError_tT2_T3_mT4_P12ihipStream_tbEUlT_E_NS1_11comp_targetILNS1_3genE8ELNS1_11target_archE1030ELNS1_3gpuE2ELNS1_3repE0EEENS1_30default_config_static_selectorELNS0_4arch9wavefront6targetE0EEEvT1_,@function
_ZN7rocprim17ROCPRIM_400000_NS6detail17trampoline_kernelINS0_14default_configENS1_25transform_config_selectorImLb1EEEZNS1_14transform_implILb1ES3_S5_PmPlNS0_8identityIvEEEE10hipError_tT2_T3_mT4_P12ihipStream_tbEUlT_E_NS1_11comp_targetILNS1_3genE8ELNS1_11target_archE1030ELNS1_3gpuE2ELNS1_3repE0EEENS1_30default_config_static_selectorELNS0_4arch9wavefront6targetE0EEEvT1_: ; @_ZN7rocprim17ROCPRIM_400000_NS6detail17trampoline_kernelINS0_14default_configENS1_25transform_config_selectorImLb1EEEZNS1_14transform_implILb1ES3_S5_PmPlNS0_8identityIvEEEE10hipError_tT2_T3_mT4_P12ihipStream_tbEUlT_E_NS1_11comp_targetILNS1_3genE8ELNS1_11target_archE1030ELNS1_3gpuE2ELNS1_3repE0EEENS1_30default_config_static_selectorELNS0_4arch9wavefront6targetE0EEEvT1_
; %bb.0:
	.section	.rodata,"a",@progbits
	.p2align	6, 0x0
	.amdhsa_kernel _ZN7rocprim17ROCPRIM_400000_NS6detail17trampoline_kernelINS0_14default_configENS1_25transform_config_selectorImLb1EEEZNS1_14transform_implILb1ES3_S5_PmPlNS0_8identityIvEEEE10hipError_tT2_T3_mT4_P12ihipStream_tbEUlT_E_NS1_11comp_targetILNS1_3genE8ELNS1_11target_archE1030ELNS1_3gpuE2ELNS1_3repE0EEENS1_30default_config_static_selectorELNS0_4arch9wavefront6targetE0EEEvT1_
		.amdhsa_group_segment_fixed_size 0
		.amdhsa_private_segment_fixed_size 0
		.amdhsa_kernarg_size 40
		.amdhsa_user_sgpr_count 2
		.amdhsa_user_sgpr_dispatch_ptr 0
		.amdhsa_user_sgpr_queue_ptr 0
		.amdhsa_user_sgpr_kernarg_segment_ptr 1
		.amdhsa_user_sgpr_dispatch_id 0
		.amdhsa_user_sgpr_kernarg_preload_length 0
		.amdhsa_user_sgpr_kernarg_preload_offset 0
		.amdhsa_user_sgpr_private_segment_size 0
		.amdhsa_wavefront_size32 1
		.amdhsa_uses_dynamic_stack 0
		.amdhsa_enable_private_segment 0
		.amdhsa_system_sgpr_workgroup_id_x 1
		.amdhsa_system_sgpr_workgroup_id_y 0
		.amdhsa_system_sgpr_workgroup_id_z 0
		.amdhsa_system_sgpr_workgroup_info 0
		.amdhsa_system_vgpr_workitem_id 0
		.amdhsa_next_free_vgpr 1
		.amdhsa_next_free_sgpr 1
		.amdhsa_named_barrier_count 0
		.amdhsa_reserve_vcc 0
		.amdhsa_float_round_mode_32 0
		.amdhsa_float_round_mode_16_64 0
		.amdhsa_float_denorm_mode_32 3
		.amdhsa_float_denorm_mode_16_64 3
		.amdhsa_fp16_overflow 0
		.amdhsa_memory_ordered 1
		.amdhsa_forward_progress 1
		.amdhsa_inst_pref_size 0
		.amdhsa_round_robin_scheduling 0
		.amdhsa_exception_fp_ieee_invalid_op 0
		.amdhsa_exception_fp_denorm_src 0
		.amdhsa_exception_fp_ieee_div_zero 0
		.amdhsa_exception_fp_ieee_overflow 0
		.amdhsa_exception_fp_ieee_underflow 0
		.amdhsa_exception_fp_ieee_inexact 0
		.amdhsa_exception_int_div_zero 0
	.end_amdhsa_kernel
	.section	.text._ZN7rocprim17ROCPRIM_400000_NS6detail17trampoline_kernelINS0_14default_configENS1_25transform_config_selectorImLb1EEEZNS1_14transform_implILb1ES3_S5_PmPlNS0_8identityIvEEEE10hipError_tT2_T3_mT4_P12ihipStream_tbEUlT_E_NS1_11comp_targetILNS1_3genE8ELNS1_11target_archE1030ELNS1_3gpuE2ELNS1_3repE0EEENS1_30default_config_static_selectorELNS0_4arch9wavefront6targetE0EEEvT1_,"axG",@progbits,_ZN7rocprim17ROCPRIM_400000_NS6detail17trampoline_kernelINS0_14default_configENS1_25transform_config_selectorImLb1EEEZNS1_14transform_implILb1ES3_S5_PmPlNS0_8identityIvEEEE10hipError_tT2_T3_mT4_P12ihipStream_tbEUlT_E_NS1_11comp_targetILNS1_3genE8ELNS1_11target_archE1030ELNS1_3gpuE2ELNS1_3repE0EEENS1_30default_config_static_selectorELNS0_4arch9wavefront6targetE0EEEvT1_,comdat
.Lfunc_end16:
	.size	_ZN7rocprim17ROCPRIM_400000_NS6detail17trampoline_kernelINS0_14default_configENS1_25transform_config_selectorImLb1EEEZNS1_14transform_implILb1ES3_S5_PmPlNS0_8identityIvEEEE10hipError_tT2_T3_mT4_P12ihipStream_tbEUlT_E_NS1_11comp_targetILNS1_3genE8ELNS1_11target_archE1030ELNS1_3gpuE2ELNS1_3repE0EEENS1_30default_config_static_selectorELNS0_4arch9wavefront6targetE0EEEvT1_, .Lfunc_end16-_ZN7rocprim17ROCPRIM_400000_NS6detail17trampoline_kernelINS0_14default_configENS1_25transform_config_selectorImLb1EEEZNS1_14transform_implILb1ES3_S5_PmPlNS0_8identityIvEEEE10hipError_tT2_T3_mT4_P12ihipStream_tbEUlT_E_NS1_11comp_targetILNS1_3genE8ELNS1_11target_archE1030ELNS1_3gpuE2ELNS1_3repE0EEENS1_30default_config_static_selectorELNS0_4arch9wavefront6targetE0EEEvT1_
                                        ; -- End function
	.set _ZN7rocprim17ROCPRIM_400000_NS6detail17trampoline_kernelINS0_14default_configENS1_25transform_config_selectorImLb1EEEZNS1_14transform_implILb1ES3_S5_PmPlNS0_8identityIvEEEE10hipError_tT2_T3_mT4_P12ihipStream_tbEUlT_E_NS1_11comp_targetILNS1_3genE8ELNS1_11target_archE1030ELNS1_3gpuE2ELNS1_3repE0EEENS1_30default_config_static_selectorELNS0_4arch9wavefront6targetE0EEEvT1_.num_vgpr, 0
	.set _ZN7rocprim17ROCPRIM_400000_NS6detail17trampoline_kernelINS0_14default_configENS1_25transform_config_selectorImLb1EEEZNS1_14transform_implILb1ES3_S5_PmPlNS0_8identityIvEEEE10hipError_tT2_T3_mT4_P12ihipStream_tbEUlT_E_NS1_11comp_targetILNS1_3genE8ELNS1_11target_archE1030ELNS1_3gpuE2ELNS1_3repE0EEENS1_30default_config_static_selectorELNS0_4arch9wavefront6targetE0EEEvT1_.num_agpr, 0
	.set _ZN7rocprim17ROCPRIM_400000_NS6detail17trampoline_kernelINS0_14default_configENS1_25transform_config_selectorImLb1EEEZNS1_14transform_implILb1ES3_S5_PmPlNS0_8identityIvEEEE10hipError_tT2_T3_mT4_P12ihipStream_tbEUlT_E_NS1_11comp_targetILNS1_3genE8ELNS1_11target_archE1030ELNS1_3gpuE2ELNS1_3repE0EEENS1_30default_config_static_selectorELNS0_4arch9wavefront6targetE0EEEvT1_.numbered_sgpr, 0
	.set _ZN7rocprim17ROCPRIM_400000_NS6detail17trampoline_kernelINS0_14default_configENS1_25transform_config_selectorImLb1EEEZNS1_14transform_implILb1ES3_S5_PmPlNS0_8identityIvEEEE10hipError_tT2_T3_mT4_P12ihipStream_tbEUlT_E_NS1_11comp_targetILNS1_3genE8ELNS1_11target_archE1030ELNS1_3gpuE2ELNS1_3repE0EEENS1_30default_config_static_selectorELNS0_4arch9wavefront6targetE0EEEvT1_.num_named_barrier, 0
	.set _ZN7rocprim17ROCPRIM_400000_NS6detail17trampoline_kernelINS0_14default_configENS1_25transform_config_selectorImLb1EEEZNS1_14transform_implILb1ES3_S5_PmPlNS0_8identityIvEEEE10hipError_tT2_T3_mT4_P12ihipStream_tbEUlT_E_NS1_11comp_targetILNS1_3genE8ELNS1_11target_archE1030ELNS1_3gpuE2ELNS1_3repE0EEENS1_30default_config_static_selectorELNS0_4arch9wavefront6targetE0EEEvT1_.private_seg_size, 0
	.set _ZN7rocprim17ROCPRIM_400000_NS6detail17trampoline_kernelINS0_14default_configENS1_25transform_config_selectorImLb1EEEZNS1_14transform_implILb1ES3_S5_PmPlNS0_8identityIvEEEE10hipError_tT2_T3_mT4_P12ihipStream_tbEUlT_E_NS1_11comp_targetILNS1_3genE8ELNS1_11target_archE1030ELNS1_3gpuE2ELNS1_3repE0EEENS1_30default_config_static_selectorELNS0_4arch9wavefront6targetE0EEEvT1_.uses_vcc, 0
	.set _ZN7rocprim17ROCPRIM_400000_NS6detail17trampoline_kernelINS0_14default_configENS1_25transform_config_selectorImLb1EEEZNS1_14transform_implILb1ES3_S5_PmPlNS0_8identityIvEEEE10hipError_tT2_T3_mT4_P12ihipStream_tbEUlT_E_NS1_11comp_targetILNS1_3genE8ELNS1_11target_archE1030ELNS1_3gpuE2ELNS1_3repE0EEENS1_30default_config_static_selectorELNS0_4arch9wavefront6targetE0EEEvT1_.uses_flat_scratch, 0
	.set _ZN7rocprim17ROCPRIM_400000_NS6detail17trampoline_kernelINS0_14default_configENS1_25transform_config_selectorImLb1EEEZNS1_14transform_implILb1ES3_S5_PmPlNS0_8identityIvEEEE10hipError_tT2_T3_mT4_P12ihipStream_tbEUlT_E_NS1_11comp_targetILNS1_3genE8ELNS1_11target_archE1030ELNS1_3gpuE2ELNS1_3repE0EEENS1_30default_config_static_selectorELNS0_4arch9wavefront6targetE0EEEvT1_.has_dyn_sized_stack, 0
	.set _ZN7rocprim17ROCPRIM_400000_NS6detail17trampoline_kernelINS0_14default_configENS1_25transform_config_selectorImLb1EEEZNS1_14transform_implILb1ES3_S5_PmPlNS0_8identityIvEEEE10hipError_tT2_T3_mT4_P12ihipStream_tbEUlT_E_NS1_11comp_targetILNS1_3genE8ELNS1_11target_archE1030ELNS1_3gpuE2ELNS1_3repE0EEENS1_30default_config_static_selectorELNS0_4arch9wavefront6targetE0EEEvT1_.has_recursion, 0
	.set _ZN7rocprim17ROCPRIM_400000_NS6detail17trampoline_kernelINS0_14default_configENS1_25transform_config_selectorImLb1EEEZNS1_14transform_implILb1ES3_S5_PmPlNS0_8identityIvEEEE10hipError_tT2_T3_mT4_P12ihipStream_tbEUlT_E_NS1_11comp_targetILNS1_3genE8ELNS1_11target_archE1030ELNS1_3gpuE2ELNS1_3repE0EEENS1_30default_config_static_selectorELNS0_4arch9wavefront6targetE0EEEvT1_.has_indirect_call, 0
	.section	.AMDGPU.csdata,"",@progbits
; Kernel info:
; codeLenInByte = 0
; TotalNumSgprs: 0
; NumVgprs: 0
; ScratchSize: 0
; MemoryBound: 0
; FloatMode: 240
; IeeeMode: 1
; LDSByteSize: 0 bytes/workgroup (compile time only)
; SGPRBlocks: 0
; VGPRBlocks: 0
; NumSGPRsForWavesPerEU: 1
; NumVGPRsForWavesPerEU: 1
; NamedBarCnt: 0
; Occupancy: 16
; WaveLimiterHint : 0
; COMPUTE_PGM_RSRC2:SCRATCH_EN: 0
; COMPUTE_PGM_RSRC2:USER_SGPR: 2
; COMPUTE_PGM_RSRC2:TRAP_HANDLER: 0
; COMPUTE_PGM_RSRC2:TGID_X_EN: 1
; COMPUTE_PGM_RSRC2:TGID_Y_EN: 0
; COMPUTE_PGM_RSRC2:TGID_Z_EN: 0
; COMPUTE_PGM_RSRC2:TIDIG_COMP_CNT: 0
	.section	.text._ZN7rocprim17ROCPRIM_400000_NS6detail31init_lookback_scan_state_kernelINS1_19lookback_scan_stateIjLb1ELb1EEENS1_16block_id_wrapperIjLb1EEEEEvT_jT0_jPNS7_10value_typeE,"axG",@progbits,_ZN7rocprim17ROCPRIM_400000_NS6detail31init_lookback_scan_state_kernelINS1_19lookback_scan_stateIjLb1ELb1EEENS1_16block_id_wrapperIjLb1EEEEEvT_jT0_jPNS7_10value_typeE,comdat
	.protected	_ZN7rocprim17ROCPRIM_400000_NS6detail31init_lookback_scan_state_kernelINS1_19lookback_scan_stateIjLb1ELb1EEENS1_16block_id_wrapperIjLb1EEEEEvT_jT0_jPNS7_10value_typeE ; -- Begin function _ZN7rocprim17ROCPRIM_400000_NS6detail31init_lookback_scan_state_kernelINS1_19lookback_scan_stateIjLb1ELb1EEENS1_16block_id_wrapperIjLb1EEEEEvT_jT0_jPNS7_10value_typeE
	.globl	_ZN7rocprim17ROCPRIM_400000_NS6detail31init_lookback_scan_state_kernelINS1_19lookback_scan_stateIjLb1ELb1EEENS1_16block_id_wrapperIjLb1EEEEEvT_jT0_jPNS7_10value_typeE
	.p2align	8
	.type	_ZN7rocprim17ROCPRIM_400000_NS6detail31init_lookback_scan_state_kernelINS1_19lookback_scan_stateIjLb1ELb1EEENS1_16block_id_wrapperIjLb1EEEEEvT_jT0_jPNS7_10value_typeE,@function
_ZN7rocprim17ROCPRIM_400000_NS6detail31init_lookback_scan_state_kernelINS1_19lookback_scan_stateIjLb1ELb1EEENS1_16block_id_wrapperIjLb1EEEEEvT_jT0_jPNS7_10value_typeE: ; @_ZN7rocprim17ROCPRIM_400000_NS6detail31init_lookback_scan_state_kernelINS1_19lookback_scan_stateIjLb1ELb1EEENS1_16block_id_wrapperIjLb1EEEEEvT_jT0_jPNS7_10value_typeE
; %bb.0:
	s_clause 0x2
	s_load_b32 s7, s[0:1], 0x34
	s_load_b96 s[4:6], s[0:1], 0x0
	s_load_b64 s[2:3], s[0:1], 0x20
	s_bfe_u32 s8, ttmp6, 0x4000c
	s_and_b32 s9, ttmp6, 15
	s_add_co_i32 s8, s8, 1
	s_getreg_b32 s10, hwreg(HW_REG_IB_STS2, 6, 4)
	s_mul_i32 s8, ttmp9, s8
	s_delay_alu instid0(SALU_CYCLE_1)
	s_add_co_i32 s9, s9, s8
	s_wait_kmcnt 0x0
	s_and_b32 s7, s7, 0xffff
	s_cmp_eq_u32 s10, 0
	s_cselect_b32 s8, ttmp9, s9
	s_cmp_eq_u64 s[2:3], 0
	v_mad_u32 v4, s8, s7, v0
	s_cbranch_scc1 .LBB17_9
; %bb.1:
	s_load_b32 s8, s[0:1], 0x18
	s_wait_kmcnt 0x0
	s_cmp_lt_u32 s8, s6
	s_cselect_b32 s7, s8, 0
	s_delay_alu instid0(VALU_DEP_1) | instid1(SALU_CYCLE_1)
	v_cmp_eq_u32_e32 vcc_lo, s7, v4
	s_and_saveexec_b32 s7, vcc_lo
	s_cbranch_execz .LBB17_8
; %bb.2:
	s_add_co_i32 s8, s8, 32
	s_delay_alu instid0(SALU_CYCLE_1)
	v_mov_b32_e32 v0, s8
	global_load_b64 v[2:3], v0, s[4:5] scale_offset scope:SCOPE_DEV
	s_wait_xcnt 0x0
	v_mov_b32_e32 v0, 0
	s_wait_loadcnt 0x0
	v_and_b32_e32 v1, 0xff, v3
	s_delay_alu instid0(VALU_DEP_1)
	v_cmp_ne_u64_e32 vcc_lo, 0, v[0:1]
	s_cbranch_vccnz .LBB17_7
; %bb.3:
	s_mov_b32 s9, 0
	s_mov_b32 s10, 1
	s_lshl_b64 s[8:9], s[8:9], 3
	s_delay_alu instid0(SALU_CYCLE_1)
	s_add_nc_u64 s[8:9], s[4:5], s[8:9]
.LBB17_4:                               ; =>This Loop Header: Depth=1
                                        ;     Child Loop BB17_5 Depth 2
	s_mov_b32 s11, s10
.LBB17_5:                               ;   Parent Loop BB17_4 Depth=1
                                        ; =>  This Inner Loop Header: Depth=2
	s_delay_alu instid0(SALU_CYCLE_1)
	s_add_co_i32 s11, s11, -1
	s_sleep 1
	s_cmp_eq_u32 s11, 0
	s_cbranch_scc0 .LBB17_5
; %bb.6:                                ;   in Loop: Header=BB17_4 Depth=1
	global_load_b64 v[2:3], v0, s[8:9] scope:SCOPE_DEV
	s_cmp_lt_u32 s10, 32
	s_cselect_b32 s11, -1, 0
	s_delay_alu instid0(SALU_CYCLE_1) | instskip(SKIP_3) | instid1(VALU_DEP_1)
	s_cmp_lg_u32 s11, 0
	s_add_co_ci_u32 s10, s10, 0
	s_wait_loadcnt 0x0
	v_and_b32_e32 v1, 0xff, v3
	v_cmp_ne_u64_e32 vcc_lo, 0, v[0:1]
	s_cbranch_vccz .LBB17_4
.LBB17_7:
	v_mov_b32_e32 v0, 0
	global_store_b32 v0, v2, s[2:3]
.LBB17_8:
	s_wait_xcnt 0x0
	s_or_b32 exec_lo, exec_lo, s7
.LBB17_9:
	s_delay_alu instid0(SALU_CYCLE_1) | instskip(NEXT) | instid1(VALU_DEP_1)
	s_mov_b32 s2, exec_lo
	v_cmpx_eq_u32_e32 0, v4
	s_cbranch_execz .LBB17_11
; %bb.10:
	s_load_b64 s[0:1], s[0:1], 0x10
	v_mov_b32_e32 v0, 0
	s_wait_kmcnt 0x0
	global_store_b32 v0, v0, s[0:1]
.LBB17_11:
	s_wait_xcnt 0x0
	s_or_b32 exec_lo, exec_lo, s2
	s_delay_alu instid0(SALU_CYCLE_1)
	s_mov_b32 s0, exec_lo
	v_cmpx_gt_u32_e64 s6, v4
	s_cbranch_execz .LBB17_13
; %bb.12:
	v_mov_b64_e32 v[0:1], 0
	v_add_nc_u32_e32 v2, 32, v4
	global_store_b64 v2, v[0:1], s[4:5] scale_offset
.LBB17_13:
	s_wait_xcnt 0x0
	s_or_b32 exec_lo, exec_lo, s0
	s_delay_alu instid0(SALU_CYCLE_1)
	s_mov_b32 s0, exec_lo
	v_cmpx_gt_u32_e32 32, v4
	s_cbranch_execz .LBB17_15
; %bb.14:
	v_mov_b64_e32 v[0:1], 0xff00000000
	global_store_b64 v4, v[0:1], s[4:5] scale_offset
.LBB17_15:
	s_endpgm
	.section	.rodata,"a",@progbits
	.p2align	6, 0x0
	.amdhsa_kernel _ZN7rocprim17ROCPRIM_400000_NS6detail31init_lookback_scan_state_kernelINS1_19lookback_scan_stateIjLb1ELb1EEENS1_16block_id_wrapperIjLb1EEEEEvT_jT0_jPNS7_10value_typeE
		.amdhsa_group_segment_fixed_size 0
		.amdhsa_private_segment_fixed_size 0
		.amdhsa_kernarg_size 296
		.amdhsa_user_sgpr_count 2
		.amdhsa_user_sgpr_dispatch_ptr 0
		.amdhsa_user_sgpr_queue_ptr 0
		.amdhsa_user_sgpr_kernarg_segment_ptr 1
		.amdhsa_user_sgpr_dispatch_id 0
		.amdhsa_user_sgpr_kernarg_preload_length 0
		.amdhsa_user_sgpr_kernarg_preload_offset 0
		.amdhsa_user_sgpr_private_segment_size 0
		.amdhsa_wavefront_size32 1
		.amdhsa_uses_dynamic_stack 0
		.amdhsa_enable_private_segment 0
		.amdhsa_system_sgpr_workgroup_id_x 1
		.amdhsa_system_sgpr_workgroup_id_y 0
		.amdhsa_system_sgpr_workgroup_id_z 0
		.amdhsa_system_sgpr_workgroup_info 0
		.amdhsa_system_vgpr_workitem_id 0
		.amdhsa_next_free_vgpr 5
		.amdhsa_next_free_sgpr 12
		.amdhsa_named_barrier_count 0
		.amdhsa_reserve_vcc 1
		.amdhsa_float_round_mode_32 0
		.amdhsa_float_round_mode_16_64 0
		.amdhsa_float_denorm_mode_32 3
		.amdhsa_float_denorm_mode_16_64 3
		.amdhsa_fp16_overflow 0
		.amdhsa_memory_ordered 1
		.amdhsa_forward_progress 1
		.amdhsa_inst_pref_size 4
		.amdhsa_round_robin_scheduling 0
		.amdhsa_exception_fp_ieee_invalid_op 0
		.amdhsa_exception_fp_denorm_src 0
		.amdhsa_exception_fp_ieee_div_zero 0
		.amdhsa_exception_fp_ieee_overflow 0
		.amdhsa_exception_fp_ieee_underflow 0
		.amdhsa_exception_fp_ieee_inexact 0
		.amdhsa_exception_int_div_zero 0
	.end_amdhsa_kernel
	.section	.text._ZN7rocprim17ROCPRIM_400000_NS6detail31init_lookback_scan_state_kernelINS1_19lookback_scan_stateIjLb1ELb1EEENS1_16block_id_wrapperIjLb1EEEEEvT_jT0_jPNS7_10value_typeE,"axG",@progbits,_ZN7rocprim17ROCPRIM_400000_NS6detail31init_lookback_scan_state_kernelINS1_19lookback_scan_stateIjLb1ELb1EEENS1_16block_id_wrapperIjLb1EEEEEvT_jT0_jPNS7_10value_typeE,comdat
.Lfunc_end17:
	.size	_ZN7rocprim17ROCPRIM_400000_NS6detail31init_lookback_scan_state_kernelINS1_19lookback_scan_stateIjLb1ELb1EEENS1_16block_id_wrapperIjLb1EEEEEvT_jT0_jPNS7_10value_typeE, .Lfunc_end17-_ZN7rocprim17ROCPRIM_400000_NS6detail31init_lookback_scan_state_kernelINS1_19lookback_scan_stateIjLb1ELb1EEENS1_16block_id_wrapperIjLb1EEEEEvT_jT0_jPNS7_10value_typeE
                                        ; -- End function
	.set _ZN7rocprim17ROCPRIM_400000_NS6detail31init_lookback_scan_state_kernelINS1_19lookback_scan_stateIjLb1ELb1EEENS1_16block_id_wrapperIjLb1EEEEEvT_jT0_jPNS7_10value_typeE.num_vgpr, 5
	.set _ZN7rocprim17ROCPRIM_400000_NS6detail31init_lookback_scan_state_kernelINS1_19lookback_scan_stateIjLb1ELb1EEENS1_16block_id_wrapperIjLb1EEEEEvT_jT0_jPNS7_10value_typeE.num_agpr, 0
	.set _ZN7rocprim17ROCPRIM_400000_NS6detail31init_lookback_scan_state_kernelINS1_19lookback_scan_stateIjLb1ELb1EEENS1_16block_id_wrapperIjLb1EEEEEvT_jT0_jPNS7_10value_typeE.numbered_sgpr, 12
	.set _ZN7rocprim17ROCPRIM_400000_NS6detail31init_lookback_scan_state_kernelINS1_19lookback_scan_stateIjLb1ELb1EEENS1_16block_id_wrapperIjLb1EEEEEvT_jT0_jPNS7_10value_typeE.num_named_barrier, 0
	.set _ZN7rocprim17ROCPRIM_400000_NS6detail31init_lookback_scan_state_kernelINS1_19lookback_scan_stateIjLb1ELb1EEENS1_16block_id_wrapperIjLb1EEEEEvT_jT0_jPNS7_10value_typeE.private_seg_size, 0
	.set _ZN7rocprim17ROCPRIM_400000_NS6detail31init_lookback_scan_state_kernelINS1_19lookback_scan_stateIjLb1ELb1EEENS1_16block_id_wrapperIjLb1EEEEEvT_jT0_jPNS7_10value_typeE.uses_vcc, 1
	.set _ZN7rocprim17ROCPRIM_400000_NS6detail31init_lookback_scan_state_kernelINS1_19lookback_scan_stateIjLb1ELb1EEENS1_16block_id_wrapperIjLb1EEEEEvT_jT0_jPNS7_10value_typeE.uses_flat_scratch, 0
	.set _ZN7rocprim17ROCPRIM_400000_NS6detail31init_lookback_scan_state_kernelINS1_19lookback_scan_stateIjLb1ELb1EEENS1_16block_id_wrapperIjLb1EEEEEvT_jT0_jPNS7_10value_typeE.has_dyn_sized_stack, 0
	.set _ZN7rocprim17ROCPRIM_400000_NS6detail31init_lookback_scan_state_kernelINS1_19lookback_scan_stateIjLb1ELb1EEENS1_16block_id_wrapperIjLb1EEEEEvT_jT0_jPNS7_10value_typeE.has_recursion, 0
	.set _ZN7rocprim17ROCPRIM_400000_NS6detail31init_lookback_scan_state_kernelINS1_19lookback_scan_stateIjLb1ELb1EEENS1_16block_id_wrapperIjLb1EEEEEvT_jT0_jPNS7_10value_typeE.has_indirect_call, 0
	.section	.AMDGPU.csdata,"",@progbits
; Kernel info:
; codeLenInByte = 452
; TotalNumSgprs: 14
; NumVgprs: 5
; ScratchSize: 0
; MemoryBound: 0
; FloatMode: 240
; IeeeMode: 1
; LDSByteSize: 0 bytes/workgroup (compile time only)
; SGPRBlocks: 0
; VGPRBlocks: 0
; NumSGPRsForWavesPerEU: 14
; NumVGPRsForWavesPerEU: 5
; NamedBarCnt: 0
; Occupancy: 16
; WaveLimiterHint : 0
; COMPUTE_PGM_RSRC2:SCRATCH_EN: 0
; COMPUTE_PGM_RSRC2:USER_SGPR: 2
; COMPUTE_PGM_RSRC2:TRAP_HANDLER: 0
; COMPUTE_PGM_RSRC2:TGID_X_EN: 1
; COMPUTE_PGM_RSRC2:TGID_Y_EN: 0
; COMPUTE_PGM_RSRC2:TGID_Z_EN: 0
; COMPUTE_PGM_RSRC2:TIDIG_COMP_CNT: 0
	.section	.text._ZN7rocprim17ROCPRIM_400000_NS6detail17trampoline_kernelINS0_14default_configENS1_25partition_config_selectorILNS1_17partition_subalgoE9EiibEEZZNS1_14partition_implILS5_9ELb0ES3_jPKiN6thrust23THRUST_200600_302600_NS17counting_iteratorIiNSB_11use_defaultESD_SD_EEPNS0_10empty_typeENS0_5tupleIJPiSF_EEENSH_IJSI_SG_EEENS0_18inequality_wrapperIN6hipcub16HIPCUB_304000_NS8EqualityEEEPlJSF_EEE10hipError_tPvRmT3_T4_T5_T6_T7_T9_mT8_P12ihipStream_tbDpT10_ENKUlT_T0_E_clISt17integral_constantIbLb1EES1A_EEDaS15_S16_EUlS15_E_NS1_11comp_targetILNS1_3genE0ELNS1_11target_archE4294967295ELNS1_3gpuE0ELNS1_3repE0EEENS1_30default_config_static_selectorELNS0_4arch9wavefront6targetE0EEEvT1_,"axG",@progbits,_ZN7rocprim17ROCPRIM_400000_NS6detail17trampoline_kernelINS0_14default_configENS1_25partition_config_selectorILNS1_17partition_subalgoE9EiibEEZZNS1_14partition_implILS5_9ELb0ES3_jPKiN6thrust23THRUST_200600_302600_NS17counting_iteratorIiNSB_11use_defaultESD_SD_EEPNS0_10empty_typeENS0_5tupleIJPiSF_EEENSH_IJSI_SG_EEENS0_18inequality_wrapperIN6hipcub16HIPCUB_304000_NS8EqualityEEEPlJSF_EEE10hipError_tPvRmT3_T4_T5_T6_T7_T9_mT8_P12ihipStream_tbDpT10_ENKUlT_T0_E_clISt17integral_constantIbLb1EES1A_EEDaS15_S16_EUlS15_E_NS1_11comp_targetILNS1_3genE0ELNS1_11target_archE4294967295ELNS1_3gpuE0ELNS1_3repE0EEENS1_30default_config_static_selectorELNS0_4arch9wavefront6targetE0EEEvT1_,comdat
	.protected	_ZN7rocprim17ROCPRIM_400000_NS6detail17trampoline_kernelINS0_14default_configENS1_25partition_config_selectorILNS1_17partition_subalgoE9EiibEEZZNS1_14partition_implILS5_9ELb0ES3_jPKiN6thrust23THRUST_200600_302600_NS17counting_iteratorIiNSB_11use_defaultESD_SD_EEPNS0_10empty_typeENS0_5tupleIJPiSF_EEENSH_IJSI_SG_EEENS0_18inequality_wrapperIN6hipcub16HIPCUB_304000_NS8EqualityEEEPlJSF_EEE10hipError_tPvRmT3_T4_T5_T6_T7_T9_mT8_P12ihipStream_tbDpT10_ENKUlT_T0_E_clISt17integral_constantIbLb1EES1A_EEDaS15_S16_EUlS15_E_NS1_11comp_targetILNS1_3genE0ELNS1_11target_archE4294967295ELNS1_3gpuE0ELNS1_3repE0EEENS1_30default_config_static_selectorELNS0_4arch9wavefront6targetE0EEEvT1_ ; -- Begin function _ZN7rocprim17ROCPRIM_400000_NS6detail17trampoline_kernelINS0_14default_configENS1_25partition_config_selectorILNS1_17partition_subalgoE9EiibEEZZNS1_14partition_implILS5_9ELb0ES3_jPKiN6thrust23THRUST_200600_302600_NS17counting_iteratorIiNSB_11use_defaultESD_SD_EEPNS0_10empty_typeENS0_5tupleIJPiSF_EEENSH_IJSI_SG_EEENS0_18inequality_wrapperIN6hipcub16HIPCUB_304000_NS8EqualityEEEPlJSF_EEE10hipError_tPvRmT3_T4_T5_T6_T7_T9_mT8_P12ihipStream_tbDpT10_ENKUlT_T0_E_clISt17integral_constantIbLb1EES1A_EEDaS15_S16_EUlS15_E_NS1_11comp_targetILNS1_3genE0ELNS1_11target_archE4294967295ELNS1_3gpuE0ELNS1_3repE0EEENS1_30default_config_static_selectorELNS0_4arch9wavefront6targetE0EEEvT1_
	.globl	_ZN7rocprim17ROCPRIM_400000_NS6detail17trampoline_kernelINS0_14default_configENS1_25partition_config_selectorILNS1_17partition_subalgoE9EiibEEZZNS1_14partition_implILS5_9ELb0ES3_jPKiN6thrust23THRUST_200600_302600_NS17counting_iteratorIiNSB_11use_defaultESD_SD_EEPNS0_10empty_typeENS0_5tupleIJPiSF_EEENSH_IJSI_SG_EEENS0_18inequality_wrapperIN6hipcub16HIPCUB_304000_NS8EqualityEEEPlJSF_EEE10hipError_tPvRmT3_T4_T5_T6_T7_T9_mT8_P12ihipStream_tbDpT10_ENKUlT_T0_E_clISt17integral_constantIbLb1EES1A_EEDaS15_S16_EUlS15_E_NS1_11comp_targetILNS1_3genE0ELNS1_11target_archE4294967295ELNS1_3gpuE0ELNS1_3repE0EEENS1_30default_config_static_selectorELNS0_4arch9wavefront6targetE0EEEvT1_
	.p2align	8
	.type	_ZN7rocprim17ROCPRIM_400000_NS6detail17trampoline_kernelINS0_14default_configENS1_25partition_config_selectorILNS1_17partition_subalgoE9EiibEEZZNS1_14partition_implILS5_9ELb0ES3_jPKiN6thrust23THRUST_200600_302600_NS17counting_iteratorIiNSB_11use_defaultESD_SD_EEPNS0_10empty_typeENS0_5tupleIJPiSF_EEENSH_IJSI_SG_EEENS0_18inequality_wrapperIN6hipcub16HIPCUB_304000_NS8EqualityEEEPlJSF_EEE10hipError_tPvRmT3_T4_T5_T6_T7_T9_mT8_P12ihipStream_tbDpT10_ENKUlT_T0_E_clISt17integral_constantIbLb1EES1A_EEDaS15_S16_EUlS15_E_NS1_11comp_targetILNS1_3genE0ELNS1_11target_archE4294967295ELNS1_3gpuE0ELNS1_3repE0EEENS1_30default_config_static_selectorELNS0_4arch9wavefront6targetE0EEEvT1_,@function
_ZN7rocprim17ROCPRIM_400000_NS6detail17trampoline_kernelINS0_14default_configENS1_25partition_config_selectorILNS1_17partition_subalgoE9EiibEEZZNS1_14partition_implILS5_9ELb0ES3_jPKiN6thrust23THRUST_200600_302600_NS17counting_iteratorIiNSB_11use_defaultESD_SD_EEPNS0_10empty_typeENS0_5tupleIJPiSF_EEENSH_IJSI_SG_EEENS0_18inequality_wrapperIN6hipcub16HIPCUB_304000_NS8EqualityEEEPlJSF_EEE10hipError_tPvRmT3_T4_T5_T6_T7_T9_mT8_P12ihipStream_tbDpT10_ENKUlT_T0_E_clISt17integral_constantIbLb1EES1A_EEDaS15_S16_EUlS15_E_NS1_11comp_targetILNS1_3genE0ELNS1_11target_archE4294967295ELNS1_3gpuE0ELNS1_3repE0EEENS1_30default_config_static_selectorELNS0_4arch9wavefront6targetE0EEEvT1_: ; @_ZN7rocprim17ROCPRIM_400000_NS6detail17trampoline_kernelINS0_14default_configENS1_25partition_config_selectorILNS1_17partition_subalgoE9EiibEEZZNS1_14partition_implILS5_9ELb0ES3_jPKiN6thrust23THRUST_200600_302600_NS17counting_iteratorIiNSB_11use_defaultESD_SD_EEPNS0_10empty_typeENS0_5tupleIJPiSF_EEENSH_IJSI_SG_EEENS0_18inequality_wrapperIN6hipcub16HIPCUB_304000_NS8EqualityEEEPlJSF_EEE10hipError_tPvRmT3_T4_T5_T6_T7_T9_mT8_P12ihipStream_tbDpT10_ENKUlT_T0_E_clISt17integral_constantIbLb1EES1A_EEDaS15_S16_EUlS15_E_NS1_11comp_targetILNS1_3genE0ELNS1_11target_archE4294967295ELNS1_3gpuE0ELNS1_3repE0EEENS1_30default_config_static_selectorELNS0_4arch9wavefront6targetE0EEEvT1_
; %bb.0:
	s_endpgm
	.section	.rodata,"a",@progbits
	.p2align	6, 0x0
	.amdhsa_kernel _ZN7rocprim17ROCPRIM_400000_NS6detail17trampoline_kernelINS0_14default_configENS1_25partition_config_selectorILNS1_17partition_subalgoE9EiibEEZZNS1_14partition_implILS5_9ELb0ES3_jPKiN6thrust23THRUST_200600_302600_NS17counting_iteratorIiNSB_11use_defaultESD_SD_EEPNS0_10empty_typeENS0_5tupleIJPiSF_EEENSH_IJSI_SG_EEENS0_18inequality_wrapperIN6hipcub16HIPCUB_304000_NS8EqualityEEEPlJSF_EEE10hipError_tPvRmT3_T4_T5_T6_T7_T9_mT8_P12ihipStream_tbDpT10_ENKUlT_T0_E_clISt17integral_constantIbLb1EES1A_EEDaS15_S16_EUlS15_E_NS1_11comp_targetILNS1_3genE0ELNS1_11target_archE4294967295ELNS1_3gpuE0ELNS1_3repE0EEENS1_30default_config_static_selectorELNS0_4arch9wavefront6targetE0EEEvT1_
		.amdhsa_group_segment_fixed_size 0
		.amdhsa_private_segment_fixed_size 0
		.amdhsa_kernarg_size 128
		.amdhsa_user_sgpr_count 2
		.amdhsa_user_sgpr_dispatch_ptr 0
		.amdhsa_user_sgpr_queue_ptr 0
		.amdhsa_user_sgpr_kernarg_segment_ptr 1
		.amdhsa_user_sgpr_dispatch_id 0
		.amdhsa_user_sgpr_kernarg_preload_length 0
		.amdhsa_user_sgpr_kernarg_preload_offset 0
		.amdhsa_user_sgpr_private_segment_size 0
		.amdhsa_wavefront_size32 1
		.amdhsa_uses_dynamic_stack 0
		.amdhsa_enable_private_segment 0
		.amdhsa_system_sgpr_workgroup_id_x 1
		.amdhsa_system_sgpr_workgroup_id_y 0
		.amdhsa_system_sgpr_workgroup_id_z 0
		.amdhsa_system_sgpr_workgroup_info 0
		.amdhsa_system_vgpr_workitem_id 0
		.amdhsa_next_free_vgpr 1
		.amdhsa_next_free_sgpr 1
		.amdhsa_named_barrier_count 0
		.amdhsa_reserve_vcc 0
		.amdhsa_float_round_mode_32 0
		.amdhsa_float_round_mode_16_64 0
		.amdhsa_float_denorm_mode_32 3
		.amdhsa_float_denorm_mode_16_64 3
		.amdhsa_fp16_overflow 0
		.amdhsa_memory_ordered 1
		.amdhsa_forward_progress 1
		.amdhsa_inst_pref_size 1
		.amdhsa_round_robin_scheduling 0
		.amdhsa_exception_fp_ieee_invalid_op 0
		.amdhsa_exception_fp_denorm_src 0
		.amdhsa_exception_fp_ieee_div_zero 0
		.amdhsa_exception_fp_ieee_overflow 0
		.amdhsa_exception_fp_ieee_underflow 0
		.amdhsa_exception_fp_ieee_inexact 0
		.amdhsa_exception_int_div_zero 0
	.end_amdhsa_kernel
	.section	.text._ZN7rocprim17ROCPRIM_400000_NS6detail17trampoline_kernelINS0_14default_configENS1_25partition_config_selectorILNS1_17partition_subalgoE9EiibEEZZNS1_14partition_implILS5_9ELb0ES3_jPKiN6thrust23THRUST_200600_302600_NS17counting_iteratorIiNSB_11use_defaultESD_SD_EEPNS0_10empty_typeENS0_5tupleIJPiSF_EEENSH_IJSI_SG_EEENS0_18inequality_wrapperIN6hipcub16HIPCUB_304000_NS8EqualityEEEPlJSF_EEE10hipError_tPvRmT3_T4_T5_T6_T7_T9_mT8_P12ihipStream_tbDpT10_ENKUlT_T0_E_clISt17integral_constantIbLb1EES1A_EEDaS15_S16_EUlS15_E_NS1_11comp_targetILNS1_3genE0ELNS1_11target_archE4294967295ELNS1_3gpuE0ELNS1_3repE0EEENS1_30default_config_static_selectorELNS0_4arch9wavefront6targetE0EEEvT1_,"axG",@progbits,_ZN7rocprim17ROCPRIM_400000_NS6detail17trampoline_kernelINS0_14default_configENS1_25partition_config_selectorILNS1_17partition_subalgoE9EiibEEZZNS1_14partition_implILS5_9ELb0ES3_jPKiN6thrust23THRUST_200600_302600_NS17counting_iteratorIiNSB_11use_defaultESD_SD_EEPNS0_10empty_typeENS0_5tupleIJPiSF_EEENSH_IJSI_SG_EEENS0_18inequality_wrapperIN6hipcub16HIPCUB_304000_NS8EqualityEEEPlJSF_EEE10hipError_tPvRmT3_T4_T5_T6_T7_T9_mT8_P12ihipStream_tbDpT10_ENKUlT_T0_E_clISt17integral_constantIbLb1EES1A_EEDaS15_S16_EUlS15_E_NS1_11comp_targetILNS1_3genE0ELNS1_11target_archE4294967295ELNS1_3gpuE0ELNS1_3repE0EEENS1_30default_config_static_selectorELNS0_4arch9wavefront6targetE0EEEvT1_,comdat
.Lfunc_end18:
	.size	_ZN7rocprim17ROCPRIM_400000_NS6detail17trampoline_kernelINS0_14default_configENS1_25partition_config_selectorILNS1_17partition_subalgoE9EiibEEZZNS1_14partition_implILS5_9ELb0ES3_jPKiN6thrust23THRUST_200600_302600_NS17counting_iteratorIiNSB_11use_defaultESD_SD_EEPNS0_10empty_typeENS0_5tupleIJPiSF_EEENSH_IJSI_SG_EEENS0_18inequality_wrapperIN6hipcub16HIPCUB_304000_NS8EqualityEEEPlJSF_EEE10hipError_tPvRmT3_T4_T5_T6_T7_T9_mT8_P12ihipStream_tbDpT10_ENKUlT_T0_E_clISt17integral_constantIbLb1EES1A_EEDaS15_S16_EUlS15_E_NS1_11comp_targetILNS1_3genE0ELNS1_11target_archE4294967295ELNS1_3gpuE0ELNS1_3repE0EEENS1_30default_config_static_selectorELNS0_4arch9wavefront6targetE0EEEvT1_, .Lfunc_end18-_ZN7rocprim17ROCPRIM_400000_NS6detail17trampoline_kernelINS0_14default_configENS1_25partition_config_selectorILNS1_17partition_subalgoE9EiibEEZZNS1_14partition_implILS5_9ELb0ES3_jPKiN6thrust23THRUST_200600_302600_NS17counting_iteratorIiNSB_11use_defaultESD_SD_EEPNS0_10empty_typeENS0_5tupleIJPiSF_EEENSH_IJSI_SG_EEENS0_18inequality_wrapperIN6hipcub16HIPCUB_304000_NS8EqualityEEEPlJSF_EEE10hipError_tPvRmT3_T4_T5_T6_T7_T9_mT8_P12ihipStream_tbDpT10_ENKUlT_T0_E_clISt17integral_constantIbLb1EES1A_EEDaS15_S16_EUlS15_E_NS1_11comp_targetILNS1_3genE0ELNS1_11target_archE4294967295ELNS1_3gpuE0ELNS1_3repE0EEENS1_30default_config_static_selectorELNS0_4arch9wavefront6targetE0EEEvT1_
                                        ; -- End function
	.set _ZN7rocprim17ROCPRIM_400000_NS6detail17trampoline_kernelINS0_14default_configENS1_25partition_config_selectorILNS1_17partition_subalgoE9EiibEEZZNS1_14partition_implILS5_9ELb0ES3_jPKiN6thrust23THRUST_200600_302600_NS17counting_iteratorIiNSB_11use_defaultESD_SD_EEPNS0_10empty_typeENS0_5tupleIJPiSF_EEENSH_IJSI_SG_EEENS0_18inequality_wrapperIN6hipcub16HIPCUB_304000_NS8EqualityEEEPlJSF_EEE10hipError_tPvRmT3_T4_T5_T6_T7_T9_mT8_P12ihipStream_tbDpT10_ENKUlT_T0_E_clISt17integral_constantIbLb1EES1A_EEDaS15_S16_EUlS15_E_NS1_11comp_targetILNS1_3genE0ELNS1_11target_archE4294967295ELNS1_3gpuE0ELNS1_3repE0EEENS1_30default_config_static_selectorELNS0_4arch9wavefront6targetE0EEEvT1_.num_vgpr, 0
	.set _ZN7rocprim17ROCPRIM_400000_NS6detail17trampoline_kernelINS0_14default_configENS1_25partition_config_selectorILNS1_17partition_subalgoE9EiibEEZZNS1_14partition_implILS5_9ELb0ES3_jPKiN6thrust23THRUST_200600_302600_NS17counting_iteratorIiNSB_11use_defaultESD_SD_EEPNS0_10empty_typeENS0_5tupleIJPiSF_EEENSH_IJSI_SG_EEENS0_18inequality_wrapperIN6hipcub16HIPCUB_304000_NS8EqualityEEEPlJSF_EEE10hipError_tPvRmT3_T4_T5_T6_T7_T9_mT8_P12ihipStream_tbDpT10_ENKUlT_T0_E_clISt17integral_constantIbLb1EES1A_EEDaS15_S16_EUlS15_E_NS1_11comp_targetILNS1_3genE0ELNS1_11target_archE4294967295ELNS1_3gpuE0ELNS1_3repE0EEENS1_30default_config_static_selectorELNS0_4arch9wavefront6targetE0EEEvT1_.num_agpr, 0
	.set _ZN7rocprim17ROCPRIM_400000_NS6detail17trampoline_kernelINS0_14default_configENS1_25partition_config_selectorILNS1_17partition_subalgoE9EiibEEZZNS1_14partition_implILS5_9ELb0ES3_jPKiN6thrust23THRUST_200600_302600_NS17counting_iteratorIiNSB_11use_defaultESD_SD_EEPNS0_10empty_typeENS0_5tupleIJPiSF_EEENSH_IJSI_SG_EEENS0_18inequality_wrapperIN6hipcub16HIPCUB_304000_NS8EqualityEEEPlJSF_EEE10hipError_tPvRmT3_T4_T5_T6_T7_T9_mT8_P12ihipStream_tbDpT10_ENKUlT_T0_E_clISt17integral_constantIbLb1EES1A_EEDaS15_S16_EUlS15_E_NS1_11comp_targetILNS1_3genE0ELNS1_11target_archE4294967295ELNS1_3gpuE0ELNS1_3repE0EEENS1_30default_config_static_selectorELNS0_4arch9wavefront6targetE0EEEvT1_.numbered_sgpr, 0
	.set _ZN7rocprim17ROCPRIM_400000_NS6detail17trampoline_kernelINS0_14default_configENS1_25partition_config_selectorILNS1_17partition_subalgoE9EiibEEZZNS1_14partition_implILS5_9ELb0ES3_jPKiN6thrust23THRUST_200600_302600_NS17counting_iteratorIiNSB_11use_defaultESD_SD_EEPNS0_10empty_typeENS0_5tupleIJPiSF_EEENSH_IJSI_SG_EEENS0_18inequality_wrapperIN6hipcub16HIPCUB_304000_NS8EqualityEEEPlJSF_EEE10hipError_tPvRmT3_T4_T5_T6_T7_T9_mT8_P12ihipStream_tbDpT10_ENKUlT_T0_E_clISt17integral_constantIbLb1EES1A_EEDaS15_S16_EUlS15_E_NS1_11comp_targetILNS1_3genE0ELNS1_11target_archE4294967295ELNS1_3gpuE0ELNS1_3repE0EEENS1_30default_config_static_selectorELNS0_4arch9wavefront6targetE0EEEvT1_.num_named_barrier, 0
	.set _ZN7rocprim17ROCPRIM_400000_NS6detail17trampoline_kernelINS0_14default_configENS1_25partition_config_selectorILNS1_17partition_subalgoE9EiibEEZZNS1_14partition_implILS5_9ELb0ES3_jPKiN6thrust23THRUST_200600_302600_NS17counting_iteratorIiNSB_11use_defaultESD_SD_EEPNS0_10empty_typeENS0_5tupleIJPiSF_EEENSH_IJSI_SG_EEENS0_18inequality_wrapperIN6hipcub16HIPCUB_304000_NS8EqualityEEEPlJSF_EEE10hipError_tPvRmT3_T4_T5_T6_T7_T9_mT8_P12ihipStream_tbDpT10_ENKUlT_T0_E_clISt17integral_constantIbLb1EES1A_EEDaS15_S16_EUlS15_E_NS1_11comp_targetILNS1_3genE0ELNS1_11target_archE4294967295ELNS1_3gpuE0ELNS1_3repE0EEENS1_30default_config_static_selectorELNS0_4arch9wavefront6targetE0EEEvT1_.private_seg_size, 0
	.set _ZN7rocprim17ROCPRIM_400000_NS6detail17trampoline_kernelINS0_14default_configENS1_25partition_config_selectorILNS1_17partition_subalgoE9EiibEEZZNS1_14partition_implILS5_9ELb0ES3_jPKiN6thrust23THRUST_200600_302600_NS17counting_iteratorIiNSB_11use_defaultESD_SD_EEPNS0_10empty_typeENS0_5tupleIJPiSF_EEENSH_IJSI_SG_EEENS0_18inequality_wrapperIN6hipcub16HIPCUB_304000_NS8EqualityEEEPlJSF_EEE10hipError_tPvRmT3_T4_T5_T6_T7_T9_mT8_P12ihipStream_tbDpT10_ENKUlT_T0_E_clISt17integral_constantIbLb1EES1A_EEDaS15_S16_EUlS15_E_NS1_11comp_targetILNS1_3genE0ELNS1_11target_archE4294967295ELNS1_3gpuE0ELNS1_3repE0EEENS1_30default_config_static_selectorELNS0_4arch9wavefront6targetE0EEEvT1_.uses_vcc, 0
	.set _ZN7rocprim17ROCPRIM_400000_NS6detail17trampoline_kernelINS0_14default_configENS1_25partition_config_selectorILNS1_17partition_subalgoE9EiibEEZZNS1_14partition_implILS5_9ELb0ES3_jPKiN6thrust23THRUST_200600_302600_NS17counting_iteratorIiNSB_11use_defaultESD_SD_EEPNS0_10empty_typeENS0_5tupleIJPiSF_EEENSH_IJSI_SG_EEENS0_18inequality_wrapperIN6hipcub16HIPCUB_304000_NS8EqualityEEEPlJSF_EEE10hipError_tPvRmT3_T4_T5_T6_T7_T9_mT8_P12ihipStream_tbDpT10_ENKUlT_T0_E_clISt17integral_constantIbLb1EES1A_EEDaS15_S16_EUlS15_E_NS1_11comp_targetILNS1_3genE0ELNS1_11target_archE4294967295ELNS1_3gpuE0ELNS1_3repE0EEENS1_30default_config_static_selectorELNS0_4arch9wavefront6targetE0EEEvT1_.uses_flat_scratch, 0
	.set _ZN7rocprim17ROCPRIM_400000_NS6detail17trampoline_kernelINS0_14default_configENS1_25partition_config_selectorILNS1_17partition_subalgoE9EiibEEZZNS1_14partition_implILS5_9ELb0ES3_jPKiN6thrust23THRUST_200600_302600_NS17counting_iteratorIiNSB_11use_defaultESD_SD_EEPNS0_10empty_typeENS0_5tupleIJPiSF_EEENSH_IJSI_SG_EEENS0_18inequality_wrapperIN6hipcub16HIPCUB_304000_NS8EqualityEEEPlJSF_EEE10hipError_tPvRmT3_T4_T5_T6_T7_T9_mT8_P12ihipStream_tbDpT10_ENKUlT_T0_E_clISt17integral_constantIbLb1EES1A_EEDaS15_S16_EUlS15_E_NS1_11comp_targetILNS1_3genE0ELNS1_11target_archE4294967295ELNS1_3gpuE0ELNS1_3repE0EEENS1_30default_config_static_selectorELNS0_4arch9wavefront6targetE0EEEvT1_.has_dyn_sized_stack, 0
	.set _ZN7rocprim17ROCPRIM_400000_NS6detail17trampoline_kernelINS0_14default_configENS1_25partition_config_selectorILNS1_17partition_subalgoE9EiibEEZZNS1_14partition_implILS5_9ELb0ES3_jPKiN6thrust23THRUST_200600_302600_NS17counting_iteratorIiNSB_11use_defaultESD_SD_EEPNS0_10empty_typeENS0_5tupleIJPiSF_EEENSH_IJSI_SG_EEENS0_18inequality_wrapperIN6hipcub16HIPCUB_304000_NS8EqualityEEEPlJSF_EEE10hipError_tPvRmT3_T4_T5_T6_T7_T9_mT8_P12ihipStream_tbDpT10_ENKUlT_T0_E_clISt17integral_constantIbLb1EES1A_EEDaS15_S16_EUlS15_E_NS1_11comp_targetILNS1_3genE0ELNS1_11target_archE4294967295ELNS1_3gpuE0ELNS1_3repE0EEENS1_30default_config_static_selectorELNS0_4arch9wavefront6targetE0EEEvT1_.has_recursion, 0
	.set _ZN7rocprim17ROCPRIM_400000_NS6detail17trampoline_kernelINS0_14default_configENS1_25partition_config_selectorILNS1_17partition_subalgoE9EiibEEZZNS1_14partition_implILS5_9ELb0ES3_jPKiN6thrust23THRUST_200600_302600_NS17counting_iteratorIiNSB_11use_defaultESD_SD_EEPNS0_10empty_typeENS0_5tupleIJPiSF_EEENSH_IJSI_SG_EEENS0_18inequality_wrapperIN6hipcub16HIPCUB_304000_NS8EqualityEEEPlJSF_EEE10hipError_tPvRmT3_T4_T5_T6_T7_T9_mT8_P12ihipStream_tbDpT10_ENKUlT_T0_E_clISt17integral_constantIbLb1EES1A_EEDaS15_S16_EUlS15_E_NS1_11comp_targetILNS1_3genE0ELNS1_11target_archE4294967295ELNS1_3gpuE0ELNS1_3repE0EEENS1_30default_config_static_selectorELNS0_4arch9wavefront6targetE0EEEvT1_.has_indirect_call, 0
	.section	.AMDGPU.csdata,"",@progbits
; Kernel info:
; codeLenInByte = 4
; TotalNumSgprs: 0
; NumVgprs: 0
; ScratchSize: 0
; MemoryBound: 0
; FloatMode: 240
; IeeeMode: 1
; LDSByteSize: 0 bytes/workgroup (compile time only)
; SGPRBlocks: 0
; VGPRBlocks: 0
; NumSGPRsForWavesPerEU: 1
; NumVGPRsForWavesPerEU: 1
; NamedBarCnt: 0
; Occupancy: 16
; WaveLimiterHint : 0
; COMPUTE_PGM_RSRC2:SCRATCH_EN: 0
; COMPUTE_PGM_RSRC2:USER_SGPR: 2
; COMPUTE_PGM_RSRC2:TRAP_HANDLER: 0
; COMPUTE_PGM_RSRC2:TGID_X_EN: 1
; COMPUTE_PGM_RSRC2:TGID_Y_EN: 0
; COMPUTE_PGM_RSRC2:TGID_Z_EN: 0
; COMPUTE_PGM_RSRC2:TIDIG_COMP_CNT: 0
	.section	.text._ZN7rocprim17ROCPRIM_400000_NS6detail17trampoline_kernelINS0_14default_configENS1_25partition_config_selectorILNS1_17partition_subalgoE9EiibEEZZNS1_14partition_implILS5_9ELb0ES3_jPKiN6thrust23THRUST_200600_302600_NS17counting_iteratorIiNSB_11use_defaultESD_SD_EEPNS0_10empty_typeENS0_5tupleIJPiSF_EEENSH_IJSI_SG_EEENS0_18inequality_wrapperIN6hipcub16HIPCUB_304000_NS8EqualityEEEPlJSF_EEE10hipError_tPvRmT3_T4_T5_T6_T7_T9_mT8_P12ihipStream_tbDpT10_ENKUlT_T0_E_clISt17integral_constantIbLb1EES1A_EEDaS15_S16_EUlS15_E_NS1_11comp_targetILNS1_3genE5ELNS1_11target_archE942ELNS1_3gpuE9ELNS1_3repE0EEENS1_30default_config_static_selectorELNS0_4arch9wavefront6targetE0EEEvT1_,"axG",@progbits,_ZN7rocprim17ROCPRIM_400000_NS6detail17trampoline_kernelINS0_14default_configENS1_25partition_config_selectorILNS1_17partition_subalgoE9EiibEEZZNS1_14partition_implILS5_9ELb0ES3_jPKiN6thrust23THRUST_200600_302600_NS17counting_iteratorIiNSB_11use_defaultESD_SD_EEPNS0_10empty_typeENS0_5tupleIJPiSF_EEENSH_IJSI_SG_EEENS0_18inequality_wrapperIN6hipcub16HIPCUB_304000_NS8EqualityEEEPlJSF_EEE10hipError_tPvRmT3_T4_T5_T6_T7_T9_mT8_P12ihipStream_tbDpT10_ENKUlT_T0_E_clISt17integral_constantIbLb1EES1A_EEDaS15_S16_EUlS15_E_NS1_11comp_targetILNS1_3genE5ELNS1_11target_archE942ELNS1_3gpuE9ELNS1_3repE0EEENS1_30default_config_static_selectorELNS0_4arch9wavefront6targetE0EEEvT1_,comdat
	.protected	_ZN7rocprim17ROCPRIM_400000_NS6detail17trampoline_kernelINS0_14default_configENS1_25partition_config_selectorILNS1_17partition_subalgoE9EiibEEZZNS1_14partition_implILS5_9ELb0ES3_jPKiN6thrust23THRUST_200600_302600_NS17counting_iteratorIiNSB_11use_defaultESD_SD_EEPNS0_10empty_typeENS0_5tupleIJPiSF_EEENSH_IJSI_SG_EEENS0_18inequality_wrapperIN6hipcub16HIPCUB_304000_NS8EqualityEEEPlJSF_EEE10hipError_tPvRmT3_T4_T5_T6_T7_T9_mT8_P12ihipStream_tbDpT10_ENKUlT_T0_E_clISt17integral_constantIbLb1EES1A_EEDaS15_S16_EUlS15_E_NS1_11comp_targetILNS1_3genE5ELNS1_11target_archE942ELNS1_3gpuE9ELNS1_3repE0EEENS1_30default_config_static_selectorELNS0_4arch9wavefront6targetE0EEEvT1_ ; -- Begin function _ZN7rocprim17ROCPRIM_400000_NS6detail17trampoline_kernelINS0_14default_configENS1_25partition_config_selectorILNS1_17partition_subalgoE9EiibEEZZNS1_14partition_implILS5_9ELb0ES3_jPKiN6thrust23THRUST_200600_302600_NS17counting_iteratorIiNSB_11use_defaultESD_SD_EEPNS0_10empty_typeENS0_5tupleIJPiSF_EEENSH_IJSI_SG_EEENS0_18inequality_wrapperIN6hipcub16HIPCUB_304000_NS8EqualityEEEPlJSF_EEE10hipError_tPvRmT3_T4_T5_T6_T7_T9_mT8_P12ihipStream_tbDpT10_ENKUlT_T0_E_clISt17integral_constantIbLb1EES1A_EEDaS15_S16_EUlS15_E_NS1_11comp_targetILNS1_3genE5ELNS1_11target_archE942ELNS1_3gpuE9ELNS1_3repE0EEENS1_30default_config_static_selectorELNS0_4arch9wavefront6targetE0EEEvT1_
	.globl	_ZN7rocprim17ROCPRIM_400000_NS6detail17trampoline_kernelINS0_14default_configENS1_25partition_config_selectorILNS1_17partition_subalgoE9EiibEEZZNS1_14partition_implILS5_9ELb0ES3_jPKiN6thrust23THRUST_200600_302600_NS17counting_iteratorIiNSB_11use_defaultESD_SD_EEPNS0_10empty_typeENS0_5tupleIJPiSF_EEENSH_IJSI_SG_EEENS0_18inequality_wrapperIN6hipcub16HIPCUB_304000_NS8EqualityEEEPlJSF_EEE10hipError_tPvRmT3_T4_T5_T6_T7_T9_mT8_P12ihipStream_tbDpT10_ENKUlT_T0_E_clISt17integral_constantIbLb1EES1A_EEDaS15_S16_EUlS15_E_NS1_11comp_targetILNS1_3genE5ELNS1_11target_archE942ELNS1_3gpuE9ELNS1_3repE0EEENS1_30default_config_static_selectorELNS0_4arch9wavefront6targetE0EEEvT1_
	.p2align	8
	.type	_ZN7rocprim17ROCPRIM_400000_NS6detail17trampoline_kernelINS0_14default_configENS1_25partition_config_selectorILNS1_17partition_subalgoE9EiibEEZZNS1_14partition_implILS5_9ELb0ES3_jPKiN6thrust23THRUST_200600_302600_NS17counting_iteratorIiNSB_11use_defaultESD_SD_EEPNS0_10empty_typeENS0_5tupleIJPiSF_EEENSH_IJSI_SG_EEENS0_18inequality_wrapperIN6hipcub16HIPCUB_304000_NS8EqualityEEEPlJSF_EEE10hipError_tPvRmT3_T4_T5_T6_T7_T9_mT8_P12ihipStream_tbDpT10_ENKUlT_T0_E_clISt17integral_constantIbLb1EES1A_EEDaS15_S16_EUlS15_E_NS1_11comp_targetILNS1_3genE5ELNS1_11target_archE942ELNS1_3gpuE9ELNS1_3repE0EEENS1_30default_config_static_selectorELNS0_4arch9wavefront6targetE0EEEvT1_,@function
_ZN7rocprim17ROCPRIM_400000_NS6detail17trampoline_kernelINS0_14default_configENS1_25partition_config_selectorILNS1_17partition_subalgoE9EiibEEZZNS1_14partition_implILS5_9ELb0ES3_jPKiN6thrust23THRUST_200600_302600_NS17counting_iteratorIiNSB_11use_defaultESD_SD_EEPNS0_10empty_typeENS0_5tupleIJPiSF_EEENSH_IJSI_SG_EEENS0_18inequality_wrapperIN6hipcub16HIPCUB_304000_NS8EqualityEEEPlJSF_EEE10hipError_tPvRmT3_T4_T5_T6_T7_T9_mT8_P12ihipStream_tbDpT10_ENKUlT_T0_E_clISt17integral_constantIbLb1EES1A_EEDaS15_S16_EUlS15_E_NS1_11comp_targetILNS1_3genE5ELNS1_11target_archE942ELNS1_3gpuE9ELNS1_3repE0EEENS1_30default_config_static_selectorELNS0_4arch9wavefront6targetE0EEEvT1_: ; @_ZN7rocprim17ROCPRIM_400000_NS6detail17trampoline_kernelINS0_14default_configENS1_25partition_config_selectorILNS1_17partition_subalgoE9EiibEEZZNS1_14partition_implILS5_9ELb0ES3_jPKiN6thrust23THRUST_200600_302600_NS17counting_iteratorIiNSB_11use_defaultESD_SD_EEPNS0_10empty_typeENS0_5tupleIJPiSF_EEENSH_IJSI_SG_EEENS0_18inequality_wrapperIN6hipcub16HIPCUB_304000_NS8EqualityEEEPlJSF_EEE10hipError_tPvRmT3_T4_T5_T6_T7_T9_mT8_P12ihipStream_tbDpT10_ENKUlT_T0_E_clISt17integral_constantIbLb1EES1A_EEDaS15_S16_EUlS15_E_NS1_11comp_targetILNS1_3genE5ELNS1_11target_archE942ELNS1_3gpuE9ELNS1_3repE0EEENS1_30default_config_static_selectorELNS0_4arch9wavefront6targetE0EEEvT1_
; %bb.0:
	.section	.rodata,"a",@progbits
	.p2align	6, 0x0
	.amdhsa_kernel _ZN7rocprim17ROCPRIM_400000_NS6detail17trampoline_kernelINS0_14default_configENS1_25partition_config_selectorILNS1_17partition_subalgoE9EiibEEZZNS1_14partition_implILS5_9ELb0ES3_jPKiN6thrust23THRUST_200600_302600_NS17counting_iteratorIiNSB_11use_defaultESD_SD_EEPNS0_10empty_typeENS0_5tupleIJPiSF_EEENSH_IJSI_SG_EEENS0_18inequality_wrapperIN6hipcub16HIPCUB_304000_NS8EqualityEEEPlJSF_EEE10hipError_tPvRmT3_T4_T5_T6_T7_T9_mT8_P12ihipStream_tbDpT10_ENKUlT_T0_E_clISt17integral_constantIbLb1EES1A_EEDaS15_S16_EUlS15_E_NS1_11comp_targetILNS1_3genE5ELNS1_11target_archE942ELNS1_3gpuE9ELNS1_3repE0EEENS1_30default_config_static_selectorELNS0_4arch9wavefront6targetE0EEEvT1_
		.amdhsa_group_segment_fixed_size 0
		.amdhsa_private_segment_fixed_size 0
		.amdhsa_kernarg_size 128
		.amdhsa_user_sgpr_count 2
		.amdhsa_user_sgpr_dispatch_ptr 0
		.amdhsa_user_sgpr_queue_ptr 0
		.amdhsa_user_sgpr_kernarg_segment_ptr 1
		.amdhsa_user_sgpr_dispatch_id 0
		.amdhsa_user_sgpr_kernarg_preload_length 0
		.amdhsa_user_sgpr_kernarg_preload_offset 0
		.amdhsa_user_sgpr_private_segment_size 0
		.amdhsa_wavefront_size32 1
		.amdhsa_uses_dynamic_stack 0
		.amdhsa_enable_private_segment 0
		.amdhsa_system_sgpr_workgroup_id_x 1
		.amdhsa_system_sgpr_workgroup_id_y 0
		.amdhsa_system_sgpr_workgroup_id_z 0
		.amdhsa_system_sgpr_workgroup_info 0
		.amdhsa_system_vgpr_workitem_id 0
		.amdhsa_next_free_vgpr 1
		.amdhsa_next_free_sgpr 1
		.amdhsa_named_barrier_count 0
		.amdhsa_reserve_vcc 0
		.amdhsa_float_round_mode_32 0
		.amdhsa_float_round_mode_16_64 0
		.amdhsa_float_denorm_mode_32 3
		.amdhsa_float_denorm_mode_16_64 3
		.amdhsa_fp16_overflow 0
		.amdhsa_memory_ordered 1
		.amdhsa_forward_progress 1
		.amdhsa_inst_pref_size 0
		.amdhsa_round_robin_scheduling 0
		.amdhsa_exception_fp_ieee_invalid_op 0
		.amdhsa_exception_fp_denorm_src 0
		.amdhsa_exception_fp_ieee_div_zero 0
		.amdhsa_exception_fp_ieee_overflow 0
		.amdhsa_exception_fp_ieee_underflow 0
		.amdhsa_exception_fp_ieee_inexact 0
		.amdhsa_exception_int_div_zero 0
	.end_amdhsa_kernel
	.section	.text._ZN7rocprim17ROCPRIM_400000_NS6detail17trampoline_kernelINS0_14default_configENS1_25partition_config_selectorILNS1_17partition_subalgoE9EiibEEZZNS1_14partition_implILS5_9ELb0ES3_jPKiN6thrust23THRUST_200600_302600_NS17counting_iteratorIiNSB_11use_defaultESD_SD_EEPNS0_10empty_typeENS0_5tupleIJPiSF_EEENSH_IJSI_SG_EEENS0_18inequality_wrapperIN6hipcub16HIPCUB_304000_NS8EqualityEEEPlJSF_EEE10hipError_tPvRmT3_T4_T5_T6_T7_T9_mT8_P12ihipStream_tbDpT10_ENKUlT_T0_E_clISt17integral_constantIbLb1EES1A_EEDaS15_S16_EUlS15_E_NS1_11comp_targetILNS1_3genE5ELNS1_11target_archE942ELNS1_3gpuE9ELNS1_3repE0EEENS1_30default_config_static_selectorELNS0_4arch9wavefront6targetE0EEEvT1_,"axG",@progbits,_ZN7rocprim17ROCPRIM_400000_NS6detail17trampoline_kernelINS0_14default_configENS1_25partition_config_selectorILNS1_17partition_subalgoE9EiibEEZZNS1_14partition_implILS5_9ELb0ES3_jPKiN6thrust23THRUST_200600_302600_NS17counting_iteratorIiNSB_11use_defaultESD_SD_EEPNS0_10empty_typeENS0_5tupleIJPiSF_EEENSH_IJSI_SG_EEENS0_18inequality_wrapperIN6hipcub16HIPCUB_304000_NS8EqualityEEEPlJSF_EEE10hipError_tPvRmT3_T4_T5_T6_T7_T9_mT8_P12ihipStream_tbDpT10_ENKUlT_T0_E_clISt17integral_constantIbLb1EES1A_EEDaS15_S16_EUlS15_E_NS1_11comp_targetILNS1_3genE5ELNS1_11target_archE942ELNS1_3gpuE9ELNS1_3repE0EEENS1_30default_config_static_selectorELNS0_4arch9wavefront6targetE0EEEvT1_,comdat
.Lfunc_end19:
	.size	_ZN7rocprim17ROCPRIM_400000_NS6detail17trampoline_kernelINS0_14default_configENS1_25partition_config_selectorILNS1_17partition_subalgoE9EiibEEZZNS1_14partition_implILS5_9ELb0ES3_jPKiN6thrust23THRUST_200600_302600_NS17counting_iteratorIiNSB_11use_defaultESD_SD_EEPNS0_10empty_typeENS0_5tupleIJPiSF_EEENSH_IJSI_SG_EEENS0_18inequality_wrapperIN6hipcub16HIPCUB_304000_NS8EqualityEEEPlJSF_EEE10hipError_tPvRmT3_T4_T5_T6_T7_T9_mT8_P12ihipStream_tbDpT10_ENKUlT_T0_E_clISt17integral_constantIbLb1EES1A_EEDaS15_S16_EUlS15_E_NS1_11comp_targetILNS1_3genE5ELNS1_11target_archE942ELNS1_3gpuE9ELNS1_3repE0EEENS1_30default_config_static_selectorELNS0_4arch9wavefront6targetE0EEEvT1_, .Lfunc_end19-_ZN7rocprim17ROCPRIM_400000_NS6detail17trampoline_kernelINS0_14default_configENS1_25partition_config_selectorILNS1_17partition_subalgoE9EiibEEZZNS1_14partition_implILS5_9ELb0ES3_jPKiN6thrust23THRUST_200600_302600_NS17counting_iteratorIiNSB_11use_defaultESD_SD_EEPNS0_10empty_typeENS0_5tupleIJPiSF_EEENSH_IJSI_SG_EEENS0_18inequality_wrapperIN6hipcub16HIPCUB_304000_NS8EqualityEEEPlJSF_EEE10hipError_tPvRmT3_T4_T5_T6_T7_T9_mT8_P12ihipStream_tbDpT10_ENKUlT_T0_E_clISt17integral_constantIbLb1EES1A_EEDaS15_S16_EUlS15_E_NS1_11comp_targetILNS1_3genE5ELNS1_11target_archE942ELNS1_3gpuE9ELNS1_3repE0EEENS1_30default_config_static_selectorELNS0_4arch9wavefront6targetE0EEEvT1_
                                        ; -- End function
	.set _ZN7rocprim17ROCPRIM_400000_NS6detail17trampoline_kernelINS0_14default_configENS1_25partition_config_selectorILNS1_17partition_subalgoE9EiibEEZZNS1_14partition_implILS5_9ELb0ES3_jPKiN6thrust23THRUST_200600_302600_NS17counting_iteratorIiNSB_11use_defaultESD_SD_EEPNS0_10empty_typeENS0_5tupleIJPiSF_EEENSH_IJSI_SG_EEENS0_18inequality_wrapperIN6hipcub16HIPCUB_304000_NS8EqualityEEEPlJSF_EEE10hipError_tPvRmT3_T4_T5_T6_T7_T9_mT8_P12ihipStream_tbDpT10_ENKUlT_T0_E_clISt17integral_constantIbLb1EES1A_EEDaS15_S16_EUlS15_E_NS1_11comp_targetILNS1_3genE5ELNS1_11target_archE942ELNS1_3gpuE9ELNS1_3repE0EEENS1_30default_config_static_selectorELNS0_4arch9wavefront6targetE0EEEvT1_.num_vgpr, 0
	.set _ZN7rocprim17ROCPRIM_400000_NS6detail17trampoline_kernelINS0_14default_configENS1_25partition_config_selectorILNS1_17partition_subalgoE9EiibEEZZNS1_14partition_implILS5_9ELb0ES3_jPKiN6thrust23THRUST_200600_302600_NS17counting_iteratorIiNSB_11use_defaultESD_SD_EEPNS0_10empty_typeENS0_5tupleIJPiSF_EEENSH_IJSI_SG_EEENS0_18inequality_wrapperIN6hipcub16HIPCUB_304000_NS8EqualityEEEPlJSF_EEE10hipError_tPvRmT3_T4_T5_T6_T7_T9_mT8_P12ihipStream_tbDpT10_ENKUlT_T0_E_clISt17integral_constantIbLb1EES1A_EEDaS15_S16_EUlS15_E_NS1_11comp_targetILNS1_3genE5ELNS1_11target_archE942ELNS1_3gpuE9ELNS1_3repE0EEENS1_30default_config_static_selectorELNS0_4arch9wavefront6targetE0EEEvT1_.num_agpr, 0
	.set _ZN7rocprim17ROCPRIM_400000_NS6detail17trampoline_kernelINS0_14default_configENS1_25partition_config_selectorILNS1_17partition_subalgoE9EiibEEZZNS1_14partition_implILS5_9ELb0ES3_jPKiN6thrust23THRUST_200600_302600_NS17counting_iteratorIiNSB_11use_defaultESD_SD_EEPNS0_10empty_typeENS0_5tupleIJPiSF_EEENSH_IJSI_SG_EEENS0_18inequality_wrapperIN6hipcub16HIPCUB_304000_NS8EqualityEEEPlJSF_EEE10hipError_tPvRmT3_T4_T5_T6_T7_T9_mT8_P12ihipStream_tbDpT10_ENKUlT_T0_E_clISt17integral_constantIbLb1EES1A_EEDaS15_S16_EUlS15_E_NS1_11comp_targetILNS1_3genE5ELNS1_11target_archE942ELNS1_3gpuE9ELNS1_3repE0EEENS1_30default_config_static_selectorELNS0_4arch9wavefront6targetE0EEEvT1_.numbered_sgpr, 0
	.set _ZN7rocprim17ROCPRIM_400000_NS6detail17trampoline_kernelINS0_14default_configENS1_25partition_config_selectorILNS1_17partition_subalgoE9EiibEEZZNS1_14partition_implILS5_9ELb0ES3_jPKiN6thrust23THRUST_200600_302600_NS17counting_iteratorIiNSB_11use_defaultESD_SD_EEPNS0_10empty_typeENS0_5tupleIJPiSF_EEENSH_IJSI_SG_EEENS0_18inequality_wrapperIN6hipcub16HIPCUB_304000_NS8EqualityEEEPlJSF_EEE10hipError_tPvRmT3_T4_T5_T6_T7_T9_mT8_P12ihipStream_tbDpT10_ENKUlT_T0_E_clISt17integral_constantIbLb1EES1A_EEDaS15_S16_EUlS15_E_NS1_11comp_targetILNS1_3genE5ELNS1_11target_archE942ELNS1_3gpuE9ELNS1_3repE0EEENS1_30default_config_static_selectorELNS0_4arch9wavefront6targetE0EEEvT1_.num_named_barrier, 0
	.set _ZN7rocprim17ROCPRIM_400000_NS6detail17trampoline_kernelINS0_14default_configENS1_25partition_config_selectorILNS1_17partition_subalgoE9EiibEEZZNS1_14partition_implILS5_9ELb0ES3_jPKiN6thrust23THRUST_200600_302600_NS17counting_iteratorIiNSB_11use_defaultESD_SD_EEPNS0_10empty_typeENS0_5tupleIJPiSF_EEENSH_IJSI_SG_EEENS0_18inequality_wrapperIN6hipcub16HIPCUB_304000_NS8EqualityEEEPlJSF_EEE10hipError_tPvRmT3_T4_T5_T6_T7_T9_mT8_P12ihipStream_tbDpT10_ENKUlT_T0_E_clISt17integral_constantIbLb1EES1A_EEDaS15_S16_EUlS15_E_NS1_11comp_targetILNS1_3genE5ELNS1_11target_archE942ELNS1_3gpuE9ELNS1_3repE0EEENS1_30default_config_static_selectorELNS0_4arch9wavefront6targetE0EEEvT1_.private_seg_size, 0
	.set _ZN7rocprim17ROCPRIM_400000_NS6detail17trampoline_kernelINS0_14default_configENS1_25partition_config_selectorILNS1_17partition_subalgoE9EiibEEZZNS1_14partition_implILS5_9ELb0ES3_jPKiN6thrust23THRUST_200600_302600_NS17counting_iteratorIiNSB_11use_defaultESD_SD_EEPNS0_10empty_typeENS0_5tupleIJPiSF_EEENSH_IJSI_SG_EEENS0_18inequality_wrapperIN6hipcub16HIPCUB_304000_NS8EqualityEEEPlJSF_EEE10hipError_tPvRmT3_T4_T5_T6_T7_T9_mT8_P12ihipStream_tbDpT10_ENKUlT_T0_E_clISt17integral_constantIbLb1EES1A_EEDaS15_S16_EUlS15_E_NS1_11comp_targetILNS1_3genE5ELNS1_11target_archE942ELNS1_3gpuE9ELNS1_3repE0EEENS1_30default_config_static_selectorELNS0_4arch9wavefront6targetE0EEEvT1_.uses_vcc, 0
	.set _ZN7rocprim17ROCPRIM_400000_NS6detail17trampoline_kernelINS0_14default_configENS1_25partition_config_selectorILNS1_17partition_subalgoE9EiibEEZZNS1_14partition_implILS5_9ELb0ES3_jPKiN6thrust23THRUST_200600_302600_NS17counting_iteratorIiNSB_11use_defaultESD_SD_EEPNS0_10empty_typeENS0_5tupleIJPiSF_EEENSH_IJSI_SG_EEENS0_18inequality_wrapperIN6hipcub16HIPCUB_304000_NS8EqualityEEEPlJSF_EEE10hipError_tPvRmT3_T4_T5_T6_T7_T9_mT8_P12ihipStream_tbDpT10_ENKUlT_T0_E_clISt17integral_constantIbLb1EES1A_EEDaS15_S16_EUlS15_E_NS1_11comp_targetILNS1_3genE5ELNS1_11target_archE942ELNS1_3gpuE9ELNS1_3repE0EEENS1_30default_config_static_selectorELNS0_4arch9wavefront6targetE0EEEvT1_.uses_flat_scratch, 0
	.set _ZN7rocprim17ROCPRIM_400000_NS6detail17trampoline_kernelINS0_14default_configENS1_25partition_config_selectorILNS1_17partition_subalgoE9EiibEEZZNS1_14partition_implILS5_9ELb0ES3_jPKiN6thrust23THRUST_200600_302600_NS17counting_iteratorIiNSB_11use_defaultESD_SD_EEPNS0_10empty_typeENS0_5tupleIJPiSF_EEENSH_IJSI_SG_EEENS0_18inequality_wrapperIN6hipcub16HIPCUB_304000_NS8EqualityEEEPlJSF_EEE10hipError_tPvRmT3_T4_T5_T6_T7_T9_mT8_P12ihipStream_tbDpT10_ENKUlT_T0_E_clISt17integral_constantIbLb1EES1A_EEDaS15_S16_EUlS15_E_NS1_11comp_targetILNS1_3genE5ELNS1_11target_archE942ELNS1_3gpuE9ELNS1_3repE0EEENS1_30default_config_static_selectorELNS0_4arch9wavefront6targetE0EEEvT1_.has_dyn_sized_stack, 0
	.set _ZN7rocprim17ROCPRIM_400000_NS6detail17trampoline_kernelINS0_14default_configENS1_25partition_config_selectorILNS1_17partition_subalgoE9EiibEEZZNS1_14partition_implILS5_9ELb0ES3_jPKiN6thrust23THRUST_200600_302600_NS17counting_iteratorIiNSB_11use_defaultESD_SD_EEPNS0_10empty_typeENS0_5tupleIJPiSF_EEENSH_IJSI_SG_EEENS0_18inequality_wrapperIN6hipcub16HIPCUB_304000_NS8EqualityEEEPlJSF_EEE10hipError_tPvRmT3_T4_T5_T6_T7_T9_mT8_P12ihipStream_tbDpT10_ENKUlT_T0_E_clISt17integral_constantIbLb1EES1A_EEDaS15_S16_EUlS15_E_NS1_11comp_targetILNS1_3genE5ELNS1_11target_archE942ELNS1_3gpuE9ELNS1_3repE0EEENS1_30default_config_static_selectorELNS0_4arch9wavefront6targetE0EEEvT1_.has_recursion, 0
	.set _ZN7rocprim17ROCPRIM_400000_NS6detail17trampoline_kernelINS0_14default_configENS1_25partition_config_selectorILNS1_17partition_subalgoE9EiibEEZZNS1_14partition_implILS5_9ELb0ES3_jPKiN6thrust23THRUST_200600_302600_NS17counting_iteratorIiNSB_11use_defaultESD_SD_EEPNS0_10empty_typeENS0_5tupleIJPiSF_EEENSH_IJSI_SG_EEENS0_18inequality_wrapperIN6hipcub16HIPCUB_304000_NS8EqualityEEEPlJSF_EEE10hipError_tPvRmT3_T4_T5_T6_T7_T9_mT8_P12ihipStream_tbDpT10_ENKUlT_T0_E_clISt17integral_constantIbLb1EES1A_EEDaS15_S16_EUlS15_E_NS1_11comp_targetILNS1_3genE5ELNS1_11target_archE942ELNS1_3gpuE9ELNS1_3repE0EEENS1_30default_config_static_selectorELNS0_4arch9wavefront6targetE0EEEvT1_.has_indirect_call, 0
	.section	.AMDGPU.csdata,"",@progbits
; Kernel info:
; codeLenInByte = 0
; TotalNumSgprs: 0
; NumVgprs: 0
; ScratchSize: 0
; MemoryBound: 0
; FloatMode: 240
; IeeeMode: 1
; LDSByteSize: 0 bytes/workgroup (compile time only)
; SGPRBlocks: 0
; VGPRBlocks: 0
; NumSGPRsForWavesPerEU: 1
; NumVGPRsForWavesPerEU: 1
; NamedBarCnt: 0
; Occupancy: 16
; WaveLimiterHint : 0
; COMPUTE_PGM_RSRC2:SCRATCH_EN: 0
; COMPUTE_PGM_RSRC2:USER_SGPR: 2
; COMPUTE_PGM_RSRC2:TRAP_HANDLER: 0
; COMPUTE_PGM_RSRC2:TGID_X_EN: 1
; COMPUTE_PGM_RSRC2:TGID_Y_EN: 0
; COMPUTE_PGM_RSRC2:TGID_Z_EN: 0
; COMPUTE_PGM_RSRC2:TIDIG_COMP_CNT: 0
	.section	.text._ZN7rocprim17ROCPRIM_400000_NS6detail17trampoline_kernelINS0_14default_configENS1_25partition_config_selectorILNS1_17partition_subalgoE9EiibEEZZNS1_14partition_implILS5_9ELb0ES3_jPKiN6thrust23THRUST_200600_302600_NS17counting_iteratorIiNSB_11use_defaultESD_SD_EEPNS0_10empty_typeENS0_5tupleIJPiSF_EEENSH_IJSI_SG_EEENS0_18inequality_wrapperIN6hipcub16HIPCUB_304000_NS8EqualityEEEPlJSF_EEE10hipError_tPvRmT3_T4_T5_T6_T7_T9_mT8_P12ihipStream_tbDpT10_ENKUlT_T0_E_clISt17integral_constantIbLb1EES1A_EEDaS15_S16_EUlS15_E_NS1_11comp_targetILNS1_3genE4ELNS1_11target_archE910ELNS1_3gpuE8ELNS1_3repE0EEENS1_30default_config_static_selectorELNS0_4arch9wavefront6targetE0EEEvT1_,"axG",@progbits,_ZN7rocprim17ROCPRIM_400000_NS6detail17trampoline_kernelINS0_14default_configENS1_25partition_config_selectorILNS1_17partition_subalgoE9EiibEEZZNS1_14partition_implILS5_9ELb0ES3_jPKiN6thrust23THRUST_200600_302600_NS17counting_iteratorIiNSB_11use_defaultESD_SD_EEPNS0_10empty_typeENS0_5tupleIJPiSF_EEENSH_IJSI_SG_EEENS0_18inequality_wrapperIN6hipcub16HIPCUB_304000_NS8EqualityEEEPlJSF_EEE10hipError_tPvRmT3_T4_T5_T6_T7_T9_mT8_P12ihipStream_tbDpT10_ENKUlT_T0_E_clISt17integral_constantIbLb1EES1A_EEDaS15_S16_EUlS15_E_NS1_11comp_targetILNS1_3genE4ELNS1_11target_archE910ELNS1_3gpuE8ELNS1_3repE0EEENS1_30default_config_static_selectorELNS0_4arch9wavefront6targetE0EEEvT1_,comdat
	.protected	_ZN7rocprim17ROCPRIM_400000_NS6detail17trampoline_kernelINS0_14default_configENS1_25partition_config_selectorILNS1_17partition_subalgoE9EiibEEZZNS1_14partition_implILS5_9ELb0ES3_jPKiN6thrust23THRUST_200600_302600_NS17counting_iteratorIiNSB_11use_defaultESD_SD_EEPNS0_10empty_typeENS0_5tupleIJPiSF_EEENSH_IJSI_SG_EEENS0_18inequality_wrapperIN6hipcub16HIPCUB_304000_NS8EqualityEEEPlJSF_EEE10hipError_tPvRmT3_T4_T5_T6_T7_T9_mT8_P12ihipStream_tbDpT10_ENKUlT_T0_E_clISt17integral_constantIbLb1EES1A_EEDaS15_S16_EUlS15_E_NS1_11comp_targetILNS1_3genE4ELNS1_11target_archE910ELNS1_3gpuE8ELNS1_3repE0EEENS1_30default_config_static_selectorELNS0_4arch9wavefront6targetE0EEEvT1_ ; -- Begin function _ZN7rocprim17ROCPRIM_400000_NS6detail17trampoline_kernelINS0_14default_configENS1_25partition_config_selectorILNS1_17partition_subalgoE9EiibEEZZNS1_14partition_implILS5_9ELb0ES3_jPKiN6thrust23THRUST_200600_302600_NS17counting_iteratorIiNSB_11use_defaultESD_SD_EEPNS0_10empty_typeENS0_5tupleIJPiSF_EEENSH_IJSI_SG_EEENS0_18inequality_wrapperIN6hipcub16HIPCUB_304000_NS8EqualityEEEPlJSF_EEE10hipError_tPvRmT3_T4_T5_T6_T7_T9_mT8_P12ihipStream_tbDpT10_ENKUlT_T0_E_clISt17integral_constantIbLb1EES1A_EEDaS15_S16_EUlS15_E_NS1_11comp_targetILNS1_3genE4ELNS1_11target_archE910ELNS1_3gpuE8ELNS1_3repE0EEENS1_30default_config_static_selectorELNS0_4arch9wavefront6targetE0EEEvT1_
	.globl	_ZN7rocprim17ROCPRIM_400000_NS6detail17trampoline_kernelINS0_14default_configENS1_25partition_config_selectorILNS1_17partition_subalgoE9EiibEEZZNS1_14partition_implILS5_9ELb0ES3_jPKiN6thrust23THRUST_200600_302600_NS17counting_iteratorIiNSB_11use_defaultESD_SD_EEPNS0_10empty_typeENS0_5tupleIJPiSF_EEENSH_IJSI_SG_EEENS0_18inequality_wrapperIN6hipcub16HIPCUB_304000_NS8EqualityEEEPlJSF_EEE10hipError_tPvRmT3_T4_T5_T6_T7_T9_mT8_P12ihipStream_tbDpT10_ENKUlT_T0_E_clISt17integral_constantIbLb1EES1A_EEDaS15_S16_EUlS15_E_NS1_11comp_targetILNS1_3genE4ELNS1_11target_archE910ELNS1_3gpuE8ELNS1_3repE0EEENS1_30default_config_static_selectorELNS0_4arch9wavefront6targetE0EEEvT1_
	.p2align	8
	.type	_ZN7rocprim17ROCPRIM_400000_NS6detail17trampoline_kernelINS0_14default_configENS1_25partition_config_selectorILNS1_17partition_subalgoE9EiibEEZZNS1_14partition_implILS5_9ELb0ES3_jPKiN6thrust23THRUST_200600_302600_NS17counting_iteratorIiNSB_11use_defaultESD_SD_EEPNS0_10empty_typeENS0_5tupleIJPiSF_EEENSH_IJSI_SG_EEENS0_18inequality_wrapperIN6hipcub16HIPCUB_304000_NS8EqualityEEEPlJSF_EEE10hipError_tPvRmT3_T4_T5_T6_T7_T9_mT8_P12ihipStream_tbDpT10_ENKUlT_T0_E_clISt17integral_constantIbLb1EES1A_EEDaS15_S16_EUlS15_E_NS1_11comp_targetILNS1_3genE4ELNS1_11target_archE910ELNS1_3gpuE8ELNS1_3repE0EEENS1_30default_config_static_selectorELNS0_4arch9wavefront6targetE0EEEvT1_,@function
_ZN7rocprim17ROCPRIM_400000_NS6detail17trampoline_kernelINS0_14default_configENS1_25partition_config_selectorILNS1_17partition_subalgoE9EiibEEZZNS1_14partition_implILS5_9ELb0ES3_jPKiN6thrust23THRUST_200600_302600_NS17counting_iteratorIiNSB_11use_defaultESD_SD_EEPNS0_10empty_typeENS0_5tupleIJPiSF_EEENSH_IJSI_SG_EEENS0_18inequality_wrapperIN6hipcub16HIPCUB_304000_NS8EqualityEEEPlJSF_EEE10hipError_tPvRmT3_T4_T5_T6_T7_T9_mT8_P12ihipStream_tbDpT10_ENKUlT_T0_E_clISt17integral_constantIbLb1EES1A_EEDaS15_S16_EUlS15_E_NS1_11comp_targetILNS1_3genE4ELNS1_11target_archE910ELNS1_3gpuE8ELNS1_3repE0EEENS1_30default_config_static_selectorELNS0_4arch9wavefront6targetE0EEEvT1_: ; @_ZN7rocprim17ROCPRIM_400000_NS6detail17trampoline_kernelINS0_14default_configENS1_25partition_config_selectorILNS1_17partition_subalgoE9EiibEEZZNS1_14partition_implILS5_9ELb0ES3_jPKiN6thrust23THRUST_200600_302600_NS17counting_iteratorIiNSB_11use_defaultESD_SD_EEPNS0_10empty_typeENS0_5tupleIJPiSF_EEENSH_IJSI_SG_EEENS0_18inequality_wrapperIN6hipcub16HIPCUB_304000_NS8EqualityEEEPlJSF_EEE10hipError_tPvRmT3_T4_T5_T6_T7_T9_mT8_P12ihipStream_tbDpT10_ENKUlT_T0_E_clISt17integral_constantIbLb1EES1A_EEDaS15_S16_EUlS15_E_NS1_11comp_targetILNS1_3genE4ELNS1_11target_archE910ELNS1_3gpuE8ELNS1_3repE0EEENS1_30default_config_static_selectorELNS0_4arch9wavefront6targetE0EEEvT1_
; %bb.0:
	.section	.rodata,"a",@progbits
	.p2align	6, 0x0
	.amdhsa_kernel _ZN7rocprim17ROCPRIM_400000_NS6detail17trampoline_kernelINS0_14default_configENS1_25partition_config_selectorILNS1_17partition_subalgoE9EiibEEZZNS1_14partition_implILS5_9ELb0ES3_jPKiN6thrust23THRUST_200600_302600_NS17counting_iteratorIiNSB_11use_defaultESD_SD_EEPNS0_10empty_typeENS0_5tupleIJPiSF_EEENSH_IJSI_SG_EEENS0_18inequality_wrapperIN6hipcub16HIPCUB_304000_NS8EqualityEEEPlJSF_EEE10hipError_tPvRmT3_T4_T5_T6_T7_T9_mT8_P12ihipStream_tbDpT10_ENKUlT_T0_E_clISt17integral_constantIbLb1EES1A_EEDaS15_S16_EUlS15_E_NS1_11comp_targetILNS1_3genE4ELNS1_11target_archE910ELNS1_3gpuE8ELNS1_3repE0EEENS1_30default_config_static_selectorELNS0_4arch9wavefront6targetE0EEEvT1_
		.amdhsa_group_segment_fixed_size 0
		.amdhsa_private_segment_fixed_size 0
		.amdhsa_kernarg_size 128
		.amdhsa_user_sgpr_count 2
		.amdhsa_user_sgpr_dispatch_ptr 0
		.amdhsa_user_sgpr_queue_ptr 0
		.amdhsa_user_sgpr_kernarg_segment_ptr 1
		.amdhsa_user_sgpr_dispatch_id 0
		.amdhsa_user_sgpr_kernarg_preload_length 0
		.amdhsa_user_sgpr_kernarg_preload_offset 0
		.amdhsa_user_sgpr_private_segment_size 0
		.amdhsa_wavefront_size32 1
		.amdhsa_uses_dynamic_stack 0
		.amdhsa_enable_private_segment 0
		.amdhsa_system_sgpr_workgroup_id_x 1
		.amdhsa_system_sgpr_workgroup_id_y 0
		.amdhsa_system_sgpr_workgroup_id_z 0
		.amdhsa_system_sgpr_workgroup_info 0
		.amdhsa_system_vgpr_workitem_id 0
		.amdhsa_next_free_vgpr 1
		.amdhsa_next_free_sgpr 1
		.amdhsa_named_barrier_count 0
		.amdhsa_reserve_vcc 0
		.amdhsa_float_round_mode_32 0
		.amdhsa_float_round_mode_16_64 0
		.amdhsa_float_denorm_mode_32 3
		.amdhsa_float_denorm_mode_16_64 3
		.amdhsa_fp16_overflow 0
		.amdhsa_memory_ordered 1
		.amdhsa_forward_progress 1
		.amdhsa_inst_pref_size 0
		.amdhsa_round_robin_scheduling 0
		.amdhsa_exception_fp_ieee_invalid_op 0
		.amdhsa_exception_fp_denorm_src 0
		.amdhsa_exception_fp_ieee_div_zero 0
		.amdhsa_exception_fp_ieee_overflow 0
		.amdhsa_exception_fp_ieee_underflow 0
		.amdhsa_exception_fp_ieee_inexact 0
		.amdhsa_exception_int_div_zero 0
	.end_amdhsa_kernel
	.section	.text._ZN7rocprim17ROCPRIM_400000_NS6detail17trampoline_kernelINS0_14default_configENS1_25partition_config_selectorILNS1_17partition_subalgoE9EiibEEZZNS1_14partition_implILS5_9ELb0ES3_jPKiN6thrust23THRUST_200600_302600_NS17counting_iteratorIiNSB_11use_defaultESD_SD_EEPNS0_10empty_typeENS0_5tupleIJPiSF_EEENSH_IJSI_SG_EEENS0_18inequality_wrapperIN6hipcub16HIPCUB_304000_NS8EqualityEEEPlJSF_EEE10hipError_tPvRmT3_T4_T5_T6_T7_T9_mT8_P12ihipStream_tbDpT10_ENKUlT_T0_E_clISt17integral_constantIbLb1EES1A_EEDaS15_S16_EUlS15_E_NS1_11comp_targetILNS1_3genE4ELNS1_11target_archE910ELNS1_3gpuE8ELNS1_3repE0EEENS1_30default_config_static_selectorELNS0_4arch9wavefront6targetE0EEEvT1_,"axG",@progbits,_ZN7rocprim17ROCPRIM_400000_NS6detail17trampoline_kernelINS0_14default_configENS1_25partition_config_selectorILNS1_17partition_subalgoE9EiibEEZZNS1_14partition_implILS5_9ELb0ES3_jPKiN6thrust23THRUST_200600_302600_NS17counting_iteratorIiNSB_11use_defaultESD_SD_EEPNS0_10empty_typeENS0_5tupleIJPiSF_EEENSH_IJSI_SG_EEENS0_18inequality_wrapperIN6hipcub16HIPCUB_304000_NS8EqualityEEEPlJSF_EEE10hipError_tPvRmT3_T4_T5_T6_T7_T9_mT8_P12ihipStream_tbDpT10_ENKUlT_T0_E_clISt17integral_constantIbLb1EES1A_EEDaS15_S16_EUlS15_E_NS1_11comp_targetILNS1_3genE4ELNS1_11target_archE910ELNS1_3gpuE8ELNS1_3repE0EEENS1_30default_config_static_selectorELNS0_4arch9wavefront6targetE0EEEvT1_,comdat
.Lfunc_end20:
	.size	_ZN7rocprim17ROCPRIM_400000_NS6detail17trampoline_kernelINS0_14default_configENS1_25partition_config_selectorILNS1_17partition_subalgoE9EiibEEZZNS1_14partition_implILS5_9ELb0ES3_jPKiN6thrust23THRUST_200600_302600_NS17counting_iteratorIiNSB_11use_defaultESD_SD_EEPNS0_10empty_typeENS0_5tupleIJPiSF_EEENSH_IJSI_SG_EEENS0_18inequality_wrapperIN6hipcub16HIPCUB_304000_NS8EqualityEEEPlJSF_EEE10hipError_tPvRmT3_T4_T5_T6_T7_T9_mT8_P12ihipStream_tbDpT10_ENKUlT_T0_E_clISt17integral_constantIbLb1EES1A_EEDaS15_S16_EUlS15_E_NS1_11comp_targetILNS1_3genE4ELNS1_11target_archE910ELNS1_3gpuE8ELNS1_3repE0EEENS1_30default_config_static_selectorELNS0_4arch9wavefront6targetE0EEEvT1_, .Lfunc_end20-_ZN7rocprim17ROCPRIM_400000_NS6detail17trampoline_kernelINS0_14default_configENS1_25partition_config_selectorILNS1_17partition_subalgoE9EiibEEZZNS1_14partition_implILS5_9ELb0ES3_jPKiN6thrust23THRUST_200600_302600_NS17counting_iteratorIiNSB_11use_defaultESD_SD_EEPNS0_10empty_typeENS0_5tupleIJPiSF_EEENSH_IJSI_SG_EEENS0_18inequality_wrapperIN6hipcub16HIPCUB_304000_NS8EqualityEEEPlJSF_EEE10hipError_tPvRmT3_T4_T5_T6_T7_T9_mT8_P12ihipStream_tbDpT10_ENKUlT_T0_E_clISt17integral_constantIbLb1EES1A_EEDaS15_S16_EUlS15_E_NS1_11comp_targetILNS1_3genE4ELNS1_11target_archE910ELNS1_3gpuE8ELNS1_3repE0EEENS1_30default_config_static_selectorELNS0_4arch9wavefront6targetE0EEEvT1_
                                        ; -- End function
	.set _ZN7rocprim17ROCPRIM_400000_NS6detail17trampoline_kernelINS0_14default_configENS1_25partition_config_selectorILNS1_17partition_subalgoE9EiibEEZZNS1_14partition_implILS5_9ELb0ES3_jPKiN6thrust23THRUST_200600_302600_NS17counting_iteratorIiNSB_11use_defaultESD_SD_EEPNS0_10empty_typeENS0_5tupleIJPiSF_EEENSH_IJSI_SG_EEENS0_18inequality_wrapperIN6hipcub16HIPCUB_304000_NS8EqualityEEEPlJSF_EEE10hipError_tPvRmT3_T4_T5_T6_T7_T9_mT8_P12ihipStream_tbDpT10_ENKUlT_T0_E_clISt17integral_constantIbLb1EES1A_EEDaS15_S16_EUlS15_E_NS1_11comp_targetILNS1_3genE4ELNS1_11target_archE910ELNS1_3gpuE8ELNS1_3repE0EEENS1_30default_config_static_selectorELNS0_4arch9wavefront6targetE0EEEvT1_.num_vgpr, 0
	.set _ZN7rocprim17ROCPRIM_400000_NS6detail17trampoline_kernelINS0_14default_configENS1_25partition_config_selectorILNS1_17partition_subalgoE9EiibEEZZNS1_14partition_implILS5_9ELb0ES3_jPKiN6thrust23THRUST_200600_302600_NS17counting_iteratorIiNSB_11use_defaultESD_SD_EEPNS0_10empty_typeENS0_5tupleIJPiSF_EEENSH_IJSI_SG_EEENS0_18inequality_wrapperIN6hipcub16HIPCUB_304000_NS8EqualityEEEPlJSF_EEE10hipError_tPvRmT3_T4_T5_T6_T7_T9_mT8_P12ihipStream_tbDpT10_ENKUlT_T0_E_clISt17integral_constantIbLb1EES1A_EEDaS15_S16_EUlS15_E_NS1_11comp_targetILNS1_3genE4ELNS1_11target_archE910ELNS1_3gpuE8ELNS1_3repE0EEENS1_30default_config_static_selectorELNS0_4arch9wavefront6targetE0EEEvT1_.num_agpr, 0
	.set _ZN7rocprim17ROCPRIM_400000_NS6detail17trampoline_kernelINS0_14default_configENS1_25partition_config_selectorILNS1_17partition_subalgoE9EiibEEZZNS1_14partition_implILS5_9ELb0ES3_jPKiN6thrust23THRUST_200600_302600_NS17counting_iteratorIiNSB_11use_defaultESD_SD_EEPNS0_10empty_typeENS0_5tupleIJPiSF_EEENSH_IJSI_SG_EEENS0_18inequality_wrapperIN6hipcub16HIPCUB_304000_NS8EqualityEEEPlJSF_EEE10hipError_tPvRmT3_T4_T5_T6_T7_T9_mT8_P12ihipStream_tbDpT10_ENKUlT_T0_E_clISt17integral_constantIbLb1EES1A_EEDaS15_S16_EUlS15_E_NS1_11comp_targetILNS1_3genE4ELNS1_11target_archE910ELNS1_3gpuE8ELNS1_3repE0EEENS1_30default_config_static_selectorELNS0_4arch9wavefront6targetE0EEEvT1_.numbered_sgpr, 0
	.set _ZN7rocprim17ROCPRIM_400000_NS6detail17trampoline_kernelINS0_14default_configENS1_25partition_config_selectorILNS1_17partition_subalgoE9EiibEEZZNS1_14partition_implILS5_9ELb0ES3_jPKiN6thrust23THRUST_200600_302600_NS17counting_iteratorIiNSB_11use_defaultESD_SD_EEPNS0_10empty_typeENS0_5tupleIJPiSF_EEENSH_IJSI_SG_EEENS0_18inequality_wrapperIN6hipcub16HIPCUB_304000_NS8EqualityEEEPlJSF_EEE10hipError_tPvRmT3_T4_T5_T6_T7_T9_mT8_P12ihipStream_tbDpT10_ENKUlT_T0_E_clISt17integral_constantIbLb1EES1A_EEDaS15_S16_EUlS15_E_NS1_11comp_targetILNS1_3genE4ELNS1_11target_archE910ELNS1_3gpuE8ELNS1_3repE0EEENS1_30default_config_static_selectorELNS0_4arch9wavefront6targetE0EEEvT1_.num_named_barrier, 0
	.set _ZN7rocprim17ROCPRIM_400000_NS6detail17trampoline_kernelINS0_14default_configENS1_25partition_config_selectorILNS1_17partition_subalgoE9EiibEEZZNS1_14partition_implILS5_9ELb0ES3_jPKiN6thrust23THRUST_200600_302600_NS17counting_iteratorIiNSB_11use_defaultESD_SD_EEPNS0_10empty_typeENS0_5tupleIJPiSF_EEENSH_IJSI_SG_EEENS0_18inequality_wrapperIN6hipcub16HIPCUB_304000_NS8EqualityEEEPlJSF_EEE10hipError_tPvRmT3_T4_T5_T6_T7_T9_mT8_P12ihipStream_tbDpT10_ENKUlT_T0_E_clISt17integral_constantIbLb1EES1A_EEDaS15_S16_EUlS15_E_NS1_11comp_targetILNS1_3genE4ELNS1_11target_archE910ELNS1_3gpuE8ELNS1_3repE0EEENS1_30default_config_static_selectorELNS0_4arch9wavefront6targetE0EEEvT1_.private_seg_size, 0
	.set _ZN7rocprim17ROCPRIM_400000_NS6detail17trampoline_kernelINS0_14default_configENS1_25partition_config_selectorILNS1_17partition_subalgoE9EiibEEZZNS1_14partition_implILS5_9ELb0ES3_jPKiN6thrust23THRUST_200600_302600_NS17counting_iteratorIiNSB_11use_defaultESD_SD_EEPNS0_10empty_typeENS0_5tupleIJPiSF_EEENSH_IJSI_SG_EEENS0_18inequality_wrapperIN6hipcub16HIPCUB_304000_NS8EqualityEEEPlJSF_EEE10hipError_tPvRmT3_T4_T5_T6_T7_T9_mT8_P12ihipStream_tbDpT10_ENKUlT_T0_E_clISt17integral_constantIbLb1EES1A_EEDaS15_S16_EUlS15_E_NS1_11comp_targetILNS1_3genE4ELNS1_11target_archE910ELNS1_3gpuE8ELNS1_3repE0EEENS1_30default_config_static_selectorELNS0_4arch9wavefront6targetE0EEEvT1_.uses_vcc, 0
	.set _ZN7rocprim17ROCPRIM_400000_NS6detail17trampoline_kernelINS0_14default_configENS1_25partition_config_selectorILNS1_17partition_subalgoE9EiibEEZZNS1_14partition_implILS5_9ELb0ES3_jPKiN6thrust23THRUST_200600_302600_NS17counting_iteratorIiNSB_11use_defaultESD_SD_EEPNS0_10empty_typeENS0_5tupleIJPiSF_EEENSH_IJSI_SG_EEENS0_18inequality_wrapperIN6hipcub16HIPCUB_304000_NS8EqualityEEEPlJSF_EEE10hipError_tPvRmT3_T4_T5_T6_T7_T9_mT8_P12ihipStream_tbDpT10_ENKUlT_T0_E_clISt17integral_constantIbLb1EES1A_EEDaS15_S16_EUlS15_E_NS1_11comp_targetILNS1_3genE4ELNS1_11target_archE910ELNS1_3gpuE8ELNS1_3repE0EEENS1_30default_config_static_selectorELNS0_4arch9wavefront6targetE0EEEvT1_.uses_flat_scratch, 0
	.set _ZN7rocprim17ROCPRIM_400000_NS6detail17trampoline_kernelINS0_14default_configENS1_25partition_config_selectorILNS1_17partition_subalgoE9EiibEEZZNS1_14partition_implILS5_9ELb0ES3_jPKiN6thrust23THRUST_200600_302600_NS17counting_iteratorIiNSB_11use_defaultESD_SD_EEPNS0_10empty_typeENS0_5tupleIJPiSF_EEENSH_IJSI_SG_EEENS0_18inequality_wrapperIN6hipcub16HIPCUB_304000_NS8EqualityEEEPlJSF_EEE10hipError_tPvRmT3_T4_T5_T6_T7_T9_mT8_P12ihipStream_tbDpT10_ENKUlT_T0_E_clISt17integral_constantIbLb1EES1A_EEDaS15_S16_EUlS15_E_NS1_11comp_targetILNS1_3genE4ELNS1_11target_archE910ELNS1_3gpuE8ELNS1_3repE0EEENS1_30default_config_static_selectorELNS0_4arch9wavefront6targetE0EEEvT1_.has_dyn_sized_stack, 0
	.set _ZN7rocprim17ROCPRIM_400000_NS6detail17trampoline_kernelINS0_14default_configENS1_25partition_config_selectorILNS1_17partition_subalgoE9EiibEEZZNS1_14partition_implILS5_9ELb0ES3_jPKiN6thrust23THRUST_200600_302600_NS17counting_iteratorIiNSB_11use_defaultESD_SD_EEPNS0_10empty_typeENS0_5tupleIJPiSF_EEENSH_IJSI_SG_EEENS0_18inequality_wrapperIN6hipcub16HIPCUB_304000_NS8EqualityEEEPlJSF_EEE10hipError_tPvRmT3_T4_T5_T6_T7_T9_mT8_P12ihipStream_tbDpT10_ENKUlT_T0_E_clISt17integral_constantIbLb1EES1A_EEDaS15_S16_EUlS15_E_NS1_11comp_targetILNS1_3genE4ELNS1_11target_archE910ELNS1_3gpuE8ELNS1_3repE0EEENS1_30default_config_static_selectorELNS0_4arch9wavefront6targetE0EEEvT1_.has_recursion, 0
	.set _ZN7rocprim17ROCPRIM_400000_NS6detail17trampoline_kernelINS0_14default_configENS1_25partition_config_selectorILNS1_17partition_subalgoE9EiibEEZZNS1_14partition_implILS5_9ELb0ES3_jPKiN6thrust23THRUST_200600_302600_NS17counting_iteratorIiNSB_11use_defaultESD_SD_EEPNS0_10empty_typeENS0_5tupleIJPiSF_EEENSH_IJSI_SG_EEENS0_18inequality_wrapperIN6hipcub16HIPCUB_304000_NS8EqualityEEEPlJSF_EEE10hipError_tPvRmT3_T4_T5_T6_T7_T9_mT8_P12ihipStream_tbDpT10_ENKUlT_T0_E_clISt17integral_constantIbLb1EES1A_EEDaS15_S16_EUlS15_E_NS1_11comp_targetILNS1_3genE4ELNS1_11target_archE910ELNS1_3gpuE8ELNS1_3repE0EEENS1_30default_config_static_selectorELNS0_4arch9wavefront6targetE0EEEvT1_.has_indirect_call, 0
	.section	.AMDGPU.csdata,"",@progbits
; Kernel info:
; codeLenInByte = 0
; TotalNumSgprs: 0
; NumVgprs: 0
; ScratchSize: 0
; MemoryBound: 0
; FloatMode: 240
; IeeeMode: 1
; LDSByteSize: 0 bytes/workgroup (compile time only)
; SGPRBlocks: 0
; VGPRBlocks: 0
; NumSGPRsForWavesPerEU: 1
; NumVGPRsForWavesPerEU: 1
; NamedBarCnt: 0
; Occupancy: 16
; WaveLimiterHint : 0
; COMPUTE_PGM_RSRC2:SCRATCH_EN: 0
; COMPUTE_PGM_RSRC2:USER_SGPR: 2
; COMPUTE_PGM_RSRC2:TRAP_HANDLER: 0
; COMPUTE_PGM_RSRC2:TGID_X_EN: 1
; COMPUTE_PGM_RSRC2:TGID_Y_EN: 0
; COMPUTE_PGM_RSRC2:TGID_Z_EN: 0
; COMPUTE_PGM_RSRC2:TIDIG_COMP_CNT: 0
	.section	.text._ZN7rocprim17ROCPRIM_400000_NS6detail17trampoline_kernelINS0_14default_configENS1_25partition_config_selectorILNS1_17partition_subalgoE9EiibEEZZNS1_14partition_implILS5_9ELb0ES3_jPKiN6thrust23THRUST_200600_302600_NS17counting_iteratorIiNSB_11use_defaultESD_SD_EEPNS0_10empty_typeENS0_5tupleIJPiSF_EEENSH_IJSI_SG_EEENS0_18inequality_wrapperIN6hipcub16HIPCUB_304000_NS8EqualityEEEPlJSF_EEE10hipError_tPvRmT3_T4_T5_T6_T7_T9_mT8_P12ihipStream_tbDpT10_ENKUlT_T0_E_clISt17integral_constantIbLb1EES1A_EEDaS15_S16_EUlS15_E_NS1_11comp_targetILNS1_3genE3ELNS1_11target_archE908ELNS1_3gpuE7ELNS1_3repE0EEENS1_30default_config_static_selectorELNS0_4arch9wavefront6targetE0EEEvT1_,"axG",@progbits,_ZN7rocprim17ROCPRIM_400000_NS6detail17trampoline_kernelINS0_14default_configENS1_25partition_config_selectorILNS1_17partition_subalgoE9EiibEEZZNS1_14partition_implILS5_9ELb0ES3_jPKiN6thrust23THRUST_200600_302600_NS17counting_iteratorIiNSB_11use_defaultESD_SD_EEPNS0_10empty_typeENS0_5tupleIJPiSF_EEENSH_IJSI_SG_EEENS0_18inequality_wrapperIN6hipcub16HIPCUB_304000_NS8EqualityEEEPlJSF_EEE10hipError_tPvRmT3_T4_T5_T6_T7_T9_mT8_P12ihipStream_tbDpT10_ENKUlT_T0_E_clISt17integral_constantIbLb1EES1A_EEDaS15_S16_EUlS15_E_NS1_11comp_targetILNS1_3genE3ELNS1_11target_archE908ELNS1_3gpuE7ELNS1_3repE0EEENS1_30default_config_static_selectorELNS0_4arch9wavefront6targetE0EEEvT1_,comdat
	.protected	_ZN7rocprim17ROCPRIM_400000_NS6detail17trampoline_kernelINS0_14default_configENS1_25partition_config_selectorILNS1_17partition_subalgoE9EiibEEZZNS1_14partition_implILS5_9ELb0ES3_jPKiN6thrust23THRUST_200600_302600_NS17counting_iteratorIiNSB_11use_defaultESD_SD_EEPNS0_10empty_typeENS0_5tupleIJPiSF_EEENSH_IJSI_SG_EEENS0_18inequality_wrapperIN6hipcub16HIPCUB_304000_NS8EqualityEEEPlJSF_EEE10hipError_tPvRmT3_T4_T5_T6_T7_T9_mT8_P12ihipStream_tbDpT10_ENKUlT_T0_E_clISt17integral_constantIbLb1EES1A_EEDaS15_S16_EUlS15_E_NS1_11comp_targetILNS1_3genE3ELNS1_11target_archE908ELNS1_3gpuE7ELNS1_3repE0EEENS1_30default_config_static_selectorELNS0_4arch9wavefront6targetE0EEEvT1_ ; -- Begin function _ZN7rocprim17ROCPRIM_400000_NS6detail17trampoline_kernelINS0_14default_configENS1_25partition_config_selectorILNS1_17partition_subalgoE9EiibEEZZNS1_14partition_implILS5_9ELb0ES3_jPKiN6thrust23THRUST_200600_302600_NS17counting_iteratorIiNSB_11use_defaultESD_SD_EEPNS0_10empty_typeENS0_5tupleIJPiSF_EEENSH_IJSI_SG_EEENS0_18inequality_wrapperIN6hipcub16HIPCUB_304000_NS8EqualityEEEPlJSF_EEE10hipError_tPvRmT3_T4_T5_T6_T7_T9_mT8_P12ihipStream_tbDpT10_ENKUlT_T0_E_clISt17integral_constantIbLb1EES1A_EEDaS15_S16_EUlS15_E_NS1_11comp_targetILNS1_3genE3ELNS1_11target_archE908ELNS1_3gpuE7ELNS1_3repE0EEENS1_30default_config_static_selectorELNS0_4arch9wavefront6targetE0EEEvT1_
	.globl	_ZN7rocprim17ROCPRIM_400000_NS6detail17trampoline_kernelINS0_14default_configENS1_25partition_config_selectorILNS1_17partition_subalgoE9EiibEEZZNS1_14partition_implILS5_9ELb0ES3_jPKiN6thrust23THRUST_200600_302600_NS17counting_iteratorIiNSB_11use_defaultESD_SD_EEPNS0_10empty_typeENS0_5tupleIJPiSF_EEENSH_IJSI_SG_EEENS0_18inequality_wrapperIN6hipcub16HIPCUB_304000_NS8EqualityEEEPlJSF_EEE10hipError_tPvRmT3_T4_T5_T6_T7_T9_mT8_P12ihipStream_tbDpT10_ENKUlT_T0_E_clISt17integral_constantIbLb1EES1A_EEDaS15_S16_EUlS15_E_NS1_11comp_targetILNS1_3genE3ELNS1_11target_archE908ELNS1_3gpuE7ELNS1_3repE0EEENS1_30default_config_static_selectorELNS0_4arch9wavefront6targetE0EEEvT1_
	.p2align	8
	.type	_ZN7rocprim17ROCPRIM_400000_NS6detail17trampoline_kernelINS0_14default_configENS1_25partition_config_selectorILNS1_17partition_subalgoE9EiibEEZZNS1_14partition_implILS5_9ELb0ES3_jPKiN6thrust23THRUST_200600_302600_NS17counting_iteratorIiNSB_11use_defaultESD_SD_EEPNS0_10empty_typeENS0_5tupleIJPiSF_EEENSH_IJSI_SG_EEENS0_18inequality_wrapperIN6hipcub16HIPCUB_304000_NS8EqualityEEEPlJSF_EEE10hipError_tPvRmT3_T4_T5_T6_T7_T9_mT8_P12ihipStream_tbDpT10_ENKUlT_T0_E_clISt17integral_constantIbLb1EES1A_EEDaS15_S16_EUlS15_E_NS1_11comp_targetILNS1_3genE3ELNS1_11target_archE908ELNS1_3gpuE7ELNS1_3repE0EEENS1_30default_config_static_selectorELNS0_4arch9wavefront6targetE0EEEvT1_,@function
_ZN7rocprim17ROCPRIM_400000_NS6detail17trampoline_kernelINS0_14default_configENS1_25partition_config_selectorILNS1_17partition_subalgoE9EiibEEZZNS1_14partition_implILS5_9ELb0ES3_jPKiN6thrust23THRUST_200600_302600_NS17counting_iteratorIiNSB_11use_defaultESD_SD_EEPNS0_10empty_typeENS0_5tupleIJPiSF_EEENSH_IJSI_SG_EEENS0_18inequality_wrapperIN6hipcub16HIPCUB_304000_NS8EqualityEEEPlJSF_EEE10hipError_tPvRmT3_T4_T5_T6_T7_T9_mT8_P12ihipStream_tbDpT10_ENKUlT_T0_E_clISt17integral_constantIbLb1EES1A_EEDaS15_S16_EUlS15_E_NS1_11comp_targetILNS1_3genE3ELNS1_11target_archE908ELNS1_3gpuE7ELNS1_3repE0EEENS1_30default_config_static_selectorELNS0_4arch9wavefront6targetE0EEEvT1_: ; @_ZN7rocprim17ROCPRIM_400000_NS6detail17trampoline_kernelINS0_14default_configENS1_25partition_config_selectorILNS1_17partition_subalgoE9EiibEEZZNS1_14partition_implILS5_9ELb0ES3_jPKiN6thrust23THRUST_200600_302600_NS17counting_iteratorIiNSB_11use_defaultESD_SD_EEPNS0_10empty_typeENS0_5tupleIJPiSF_EEENSH_IJSI_SG_EEENS0_18inequality_wrapperIN6hipcub16HIPCUB_304000_NS8EqualityEEEPlJSF_EEE10hipError_tPvRmT3_T4_T5_T6_T7_T9_mT8_P12ihipStream_tbDpT10_ENKUlT_T0_E_clISt17integral_constantIbLb1EES1A_EEDaS15_S16_EUlS15_E_NS1_11comp_targetILNS1_3genE3ELNS1_11target_archE908ELNS1_3gpuE7ELNS1_3repE0EEENS1_30default_config_static_selectorELNS0_4arch9wavefront6targetE0EEEvT1_
; %bb.0:
	.section	.rodata,"a",@progbits
	.p2align	6, 0x0
	.amdhsa_kernel _ZN7rocprim17ROCPRIM_400000_NS6detail17trampoline_kernelINS0_14default_configENS1_25partition_config_selectorILNS1_17partition_subalgoE9EiibEEZZNS1_14partition_implILS5_9ELb0ES3_jPKiN6thrust23THRUST_200600_302600_NS17counting_iteratorIiNSB_11use_defaultESD_SD_EEPNS0_10empty_typeENS0_5tupleIJPiSF_EEENSH_IJSI_SG_EEENS0_18inequality_wrapperIN6hipcub16HIPCUB_304000_NS8EqualityEEEPlJSF_EEE10hipError_tPvRmT3_T4_T5_T6_T7_T9_mT8_P12ihipStream_tbDpT10_ENKUlT_T0_E_clISt17integral_constantIbLb1EES1A_EEDaS15_S16_EUlS15_E_NS1_11comp_targetILNS1_3genE3ELNS1_11target_archE908ELNS1_3gpuE7ELNS1_3repE0EEENS1_30default_config_static_selectorELNS0_4arch9wavefront6targetE0EEEvT1_
		.amdhsa_group_segment_fixed_size 0
		.amdhsa_private_segment_fixed_size 0
		.amdhsa_kernarg_size 128
		.amdhsa_user_sgpr_count 2
		.amdhsa_user_sgpr_dispatch_ptr 0
		.amdhsa_user_sgpr_queue_ptr 0
		.amdhsa_user_sgpr_kernarg_segment_ptr 1
		.amdhsa_user_sgpr_dispatch_id 0
		.amdhsa_user_sgpr_kernarg_preload_length 0
		.amdhsa_user_sgpr_kernarg_preload_offset 0
		.amdhsa_user_sgpr_private_segment_size 0
		.amdhsa_wavefront_size32 1
		.amdhsa_uses_dynamic_stack 0
		.amdhsa_enable_private_segment 0
		.amdhsa_system_sgpr_workgroup_id_x 1
		.amdhsa_system_sgpr_workgroup_id_y 0
		.amdhsa_system_sgpr_workgroup_id_z 0
		.amdhsa_system_sgpr_workgroup_info 0
		.amdhsa_system_vgpr_workitem_id 0
		.amdhsa_next_free_vgpr 1
		.amdhsa_next_free_sgpr 1
		.amdhsa_named_barrier_count 0
		.amdhsa_reserve_vcc 0
		.amdhsa_float_round_mode_32 0
		.amdhsa_float_round_mode_16_64 0
		.amdhsa_float_denorm_mode_32 3
		.amdhsa_float_denorm_mode_16_64 3
		.amdhsa_fp16_overflow 0
		.amdhsa_memory_ordered 1
		.amdhsa_forward_progress 1
		.amdhsa_inst_pref_size 0
		.amdhsa_round_robin_scheduling 0
		.amdhsa_exception_fp_ieee_invalid_op 0
		.amdhsa_exception_fp_denorm_src 0
		.amdhsa_exception_fp_ieee_div_zero 0
		.amdhsa_exception_fp_ieee_overflow 0
		.amdhsa_exception_fp_ieee_underflow 0
		.amdhsa_exception_fp_ieee_inexact 0
		.amdhsa_exception_int_div_zero 0
	.end_amdhsa_kernel
	.section	.text._ZN7rocprim17ROCPRIM_400000_NS6detail17trampoline_kernelINS0_14default_configENS1_25partition_config_selectorILNS1_17partition_subalgoE9EiibEEZZNS1_14partition_implILS5_9ELb0ES3_jPKiN6thrust23THRUST_200600_302600_NS17counting_iteratorIiNSB_11use_defaultESD_SD_EEPNS0_10empty_typeENS0_5tupleIJPiSF_EEENSH_IJSI_SG_EEENS0_18inequality_wrapperIN6hipcub16HIPCUB_304000_NS8EqualityEEEPlJSF_EEE10hipError_tPvRmT3_T4_T5_T6_T7_T9_mT8_P12ihipStream_tbDpT10_ENKUlT_T0_E_clISt17integral_constantIbLb1EES1A_EEDaS15_S16_EUlS15_E_NS1_11comp_targetILNS1_3genE3ELNS1_11target_archE908ELNS1_3gpuE7ELNS1_3repE0EEENS1_30default_config_static_selectorELNS0_4arch9wavefront6targetE0EEEvT1_,"axG",@progbits,_ZN7rocprim17ROCPRIM_400000_NS6detail17trampoline_kernelINS0_14default_configENS1_25partition_config_selectorILNS1_17partition_subalgoE9EiibEEZZNS1_14partition_implILS5_9ELb0ES3_jPKiN6thrust23THRUST_200600_302600_NS17counting_iteratorIiNSB_11use_defaultESD_SD_EEPNS0_10empty_typeENS0_5tupleIJPiSF_EEENSH_IJSI_SG_EEENS0_18inequality_wrapperIN6hipcub16HIPCUB_304000_NS8EqualityEEEPlJSF_EEE10hipError_tPvRmT3_T4_T5_T6_T7_T9_mT8_P12ihipStream_tbDpT10_ENKUlT_T0_E_clISt17integral_constantIbLb1EES1A_EEDaS15_S16_EUlS15_E_NS1_11comp_targetILNS1_3genE3ELNS1_11target_archE908ELNS1_3gpuE7ELNS1_3repE0EEENS1_30default_config_static_selectorELNS0_4arch9wavefront6targetE0EEEvT1_,comdat
.Lfunc_end21:
	.size	_ZN7rocprim17ROCPRIM_400000_NS6detail17trampoline_kernelINS0_14default_configENS1_25partition_config_selectorILNS1_17partition_subalgoE9EiibEEZZNS1_14partition_implILS5_9ELb0ES3_jPKiN6thrust23THRUST_200600_302600_NS17counting_iteratorIiNSB_11use_defaultESD_SD_EEPNS0_10empty_typeENS0_5tupleIJPiSF_EEENSH_IJSI_SG_EEENS0_18inequality_wrapperIN6hipcub16HIPCUB_304000_NS8EqualityEEEPlJSF_EEE10hipError_tPvRmT3_T4_T5_T6_T7_T9_mT8_P12ihipStream_tbDpT10_ENKUlT_T0_E_clISt17integral_constantIbLb1EES1A_EEDaS15_S16_EUlS15_E_NS1_11comp_targetILNS1_3genE3ELNS1_11target_archE908ELNS1_3gpuE7ELNS1_3repE0EEENS1_30default_config_static_selectorELNS0_4arch9wavefront6targetE0EEEvT1_, .Lfunc_end21-_ZN7rocprim17ROCPRIM_400000_NS6detail17trampoline_kernelINS0_14default_configENS1_25partition_config_selectorILNS1_17partition_subalgoE9EiibEEZZNS1_14partition_implILS5_9ELb0ES3_jPKiN6thrust23THRUST_200600_302600_NS17counting_iteratorIiNSB_11use_defaultESD_SD_EEPNS0_10empty_typeENS0_5tupleIJPiSF_EEENSH_IJSI_SG_EEENS0_18inequality_wrapperIN6hipcub16HIPCUB_304000_NS8EqualityEEEPlJSF_EEE10hipError_tPvRmT3_T4_T5_T6_T7_T9_mT8_P12ihipStream_tbDpT10_ENKUlT_T0_E_clISt17integral_constantIbLb1EES1A_EEDaS15_S16_EUlS15_E_NS1_11comp_targetILNS1_3genE3ELNS1_11target_archE908ELNS1_3gpuE7ELNS1_3repE0EEENS1_30default_config_static_selectorELNS0_4arch9wavefront6targetE0EEEvT1_
                                        ; -- End function
	.set _ZN7rocprim17ROCPRIM_400000_NS6detail17trampoline_kernelINS0_14default_configENS1_25partition_config_selectorILNS1_17partition_subalgoE9EiibEEZZNS1_14partition_implILS5_9ELb0ES3_jPKiN6thrust23THRUST_200600_302600_NS17counting_iteratorIiNSB_11use_defaultESD_SD_EEPNS0_10empty_typeENS0_5tupleIJPiSF_EEENSH_IJSI_SG_EEENS0_18inequality_wrapperIN6hipcub16HIPCUB_304000_NS8EqualityEEEPlJSF_EEE10hipError_tPvRmT3_T4_T5_T6_T7_T9_mT8_P12ihipStream_tbDpT10_ENKUlT_T0_E_clISt17integral_constantIbLb1EES1A_EEDaS15_S16_EUlS15_E_NS1_11comp_targetILNS1_3genE3ELNS1_11target_archE908ELNS1_3gpuE7ELNS1_3repE0EEENS1_30default_config_static_selectorELNS0_4arch9wavefront6targetE0EEEvT1_.num_vgpr, 0
	.set _ZN7rocprim17ROCPRIM_400000_NS6detail17trampoline_kernelINS0_14default_configENS1_25partition_config_selectorILNS1_17partition_subalgoE9EiibEEZZNS1_14partition_implILS5_9ELb0ES3_jPKiN6thrust23THRUST_200600_302600_NS17counting_iteratorIiNSB_11use_defaultESD_SD_EEPNS0_10empty_typeENS0_5tupleIJPiSF_EEENSH_IJSI_SG_EEENS0_18inequality_wrapperIN6hipcub16HIPCUB_304000_NS8EqualityEEEPlJSF_EEE10hipError_tPvRmT3_T4_T5_T6_T7_T9_mT8_P12ihipStream_tbDpT10_ENKUlT_T0_E_clISt17integral_constantIbLb1EES1A_EEDaS15_S16_EUlS15_E_NS1_11comp_targetILNS1_3genE3ELNS1_11target_archE908ELNS1_3gpuE7ELNS1_3repE0EEENS1_30default_config_static_selectorELNS0_4arch9wavefront6targetE0EEEvT1_.num_agpr, 0
	.set _ZN7rocprim17ROCPRIM_400000_NS6detail17trampoline_kernelINS0_14default_configENS1_25partition_config_selectorILNS1_17partition_subalgoE9EiibEEZZNS1_14partition_implILS5_9ELb0ES3_jPKiN6thrust23THRUST_200600_302600_NS17counting_iteratorIiNSB_11use_defaultESD_SD_EEPNS0_10empty_typeENS0_5tupleIJPiSF_EEENSH_IJSI_SG_EEENS0_18inequality_wrapperIN6hipcub16HIPCUB_304000_NS8EqualityEEEPlJSF_EEE10hipError_tPvRmT3_T4_T5_T6_T7_T9_mT8_P12ihipStream_tbDpT10_ENKUlT_T0_E_clISt17integral_constantIbLb1EES1A_EEDaS15_S16_EUlS15_E_NS1_11comp_targetILNS1_3genE3ELNS1_11target_archE908ELNS1_3gpuE7ELNS1_3repE0EEENS1_30default_config_static_selectorELNS0_4arch9wavefront6targetE0EEEvT1_.numbered_sgpr, 0
	.set _ZN7rocprim17ROCPRIM_400000_NS6detail17trampoline_kernelINS0_14default_configENS1_25partition_config_selectorILNS1_17partition_subalgoE9EiibEEZZNS1_14partition_implILS5_9ELb0ES3_jPKiN6thrust23THRUST_200600_302600_NS17counting_iteratorIiNSB_11use_defaultESD_SD_EEPNS0_10empty_typeENS0_5tupleIJPiSF_EEENSH_IJSI_SG_EEENS0_18inequality_wrapperIN6hipcub16HIPCUB_304000_NS8EqualityEEEPlJSF_EEE10hipError_tPvRmT3_T4_T5_T6_T7_T9_mT8_P12ihipStream_tbDpT10_ENKUlT_T0_E_clISt17integral_constantIbLb1EES1A_EEDaS15_S16_EUlS15_E_NS1_11comp_targetILNS1_3genE3ELNS1_11target_archE908ELNS1_3gpuE7ELNS1_3repE0EEENS1_30default_config_static_selectorELNS0_4arch9wavefront6targetE0EEEvT1_.num_named_barrier, 0
	.set _ZN7rocprim17ROCPRIM_400000_NS6detail17trampoline_kernelINS0_14default_configENS1_25partition_config_selectorILNS1_17partition_subalgoE9EiibEEZZNS1_14partition_implILS5_9ELb0ES3_jPKiN6thrust23THRUST_200600_302600_NS17counting_iteratorIiNSB_11use_defaultESD_SD_EEPNS0_10empty_typeENS0_5tupleIJPiSF_EEENSH_IJSI_SG_EEENS0_18inequality_wrapperIN6hipcub16HIPCUB_304000_NS8EqualityEEEPlJSF_EEE10hipError_tPvRmT3_T4_T5_T6_T7_T9_mT8_P12ihipStream_tbDpT10_ENKUlT_T0_E_clISt17integral_constantIbLb1EES1A_EEDaS15_S16_EUlS15_E_NS1_11comp_targetILNS1_3genE3ELNS1_11target_archE908ELNS1_3gpuE7ELNS1_3repE0EEENS1_30default_config_static_selectorELNS0_4arch9wavefront6targetE0EEEvT1_.private_seg_size, 0
	.set _ZN7rocprim17ROCPRIM_400000_NS6detail17trampoline_kernelINS0_14default_configENS1_25partition_config_selectorILNS1_17partition_subalgoE9EiibEEZZNS1_14partition_implILS5_9ELb0ES3_jPKiN6thrust23THRUST_200600_302600_NS17counting_iteratorIiNSB_11use_defaultESD_SD_EEPNS0_10empty_typeENS0_5tupleIJPiSF_EEENSH_IJSI_SG_EEENS0_18inequality_wrapperIN6hipcub16HIPCUB_304000_NS8EqualityEEEPlJSF_EEE10hipError_tPvRmT3_T4_T5_T6_T7_T9_mT8_P12ihipStream_tbDpT10_ENKUlT_T0_E_clISt17integral_constantIbLb1EES1A_EEDaS15_S16_EUlS15_E_NS1_11comp_targetILNS1_3genE3ELNS1_11target_archE908ELNS1_3gpuE7ELNS1_3repE0EEENS1_30default_config_static_selectorELNS0_4arch9wavefront6targetE0EEEvT1_.uses_vcc, 0
	.set _ZN7rocprim17ROCPRIM_400000_NS6detail17trampoline_kernelINS0_14default_configENS1_25partition_config_selectorILNS1_17partition_subalgoE9EiibEEZZNS1_14partition_implILS5_9ELb0ES3_jPKiN6thrust23THRUST_200600_302600_NS17counting_iteratorIiNSB_11use_defaultESD_SD_EEPNS0_10empty_typeENS0_5tupleIJPiSF_EEENSH_IJSI_SG_EEENS0_18inequality_wrapperIN6hipcub16HIPCUB_304000_NS8EqualityEEEPlJSF_EEE10hipError_tPvRmT3_T4_T5_T6_T7_T9_mT8_P12ihipStream_tbDpT10_ENKUlT_T0_E_clISt17integral_constantIbLb1EES1A_EEDaS15_S16_EUlS15_E_NS1_11comp_targetILNS1_3genE3ELNS1_11target_archE908ELNS1_3gpuE7ELNS1_3repE0EEENS1_30default_config_static_selectorELNS0_4arch9wavefront6targetE0EEEvT1_.uses_flat_scratch, 0
	.set _ZN7rocprim17ROCPRIM_400000_NS6detail17trampoline_kernelINS0_14default_configENS1_25partition_config_selectorILNS1_17partition_subalgoE9EiibEEZZNS1_14partition_implILS5_9ELb0ES3_jPKiN6thrust23THRUST_200600_302600_NS17counting_iteratorIiNSB_11use_defaultESD_SD_EEPNS0_10empty_typeENS0_5tupleIJPiSF_EEENSH_IJSI_SG_EEENS0_18inequality_wrapperIN6hipcub16HIPCUB_304000_NS8EqualityEEEPlJSF_EEE10hipError_tPvRmT3_T4_T5_T6_T7_T9_mT8_P12ihipStream_tbDpT10_ENKUlT_T0_E_clISt17integral_constantIbLb1EES1A_EEDaS15_S16_EUlS15_E_NS1_11comp_targetILNS1_3genE3ELNS1_11target_archE908ELNS1_3gpuE7ELNS1_3repE0EEENS1_30default_config_static_selectorELNS0_4arch9wavefront6targetE0EEEvT1_.has_dyn_sized_stack, 0
	.set _ZN7rocprim17ROCPRIM_400000_NS6detail17trampoline_kernelINS0_14default_configENS1_25partition_config_selectorILNS1_17partition_subalgoE9EiibEEZZNS1_14partition_implILS5_9ELb0ES3_jPKiN6thrust23THRUST_200600_302600_NS17counting_iteratorIiNSB_11use_defaultESD_SD_EEPNS0_10empty_typeENS0_5tupleIJPiSF_EEENSH_IJSI_SG_EEENS0_18inequality_wrapperIN6hipcub16HIPCUB_304000_NS8EqualityEEEPlJSF_EEE10hipError_tPvRmT3_T4_T5_T6_T7_T9_mT8_P12ihipStream_tbDpT10_ENKUlT_T0_E_clISt17integral_constantIbLb1EES1A_EEDaS15_S16_EUlS15_E_NS1_11comp_targetILNS1_3genE3ELNS1_11target_archE908ELNS1_3gpuE7ELNS1_3repE0EEENS1_30default_config_static_selectorELNS0_4arch9wavefront6targetE0EEEvT1_.has_recursion, 0
	.set _ZN7rocprim17ROCPRIM_400000_NS6detail17trampoline_kernelINS0_14default_configENS1_25partition_config_selectorILNS1_17partition_subalgoE9EiibEEZZNS1_14partition_implILS5_9ELb0ES3_jPKiN6thrust23THRUST_200600_302600_NS17counting_iteratorIiNSB_11use_defaultESD_SD_EEPNS0_10empty_typeENS0_5tupleIJPiSF_EEENSH_IJSI_SG_EEENS0_18inequality_wrapperIN6hipcub16HIPCUB_304000_NS8EqualityEEEPlJSF_EEE10hipError_tPvRmT3_T4_T5_T6_T7_T9_mT8_P12ihipStream_tbDpT10_ENKUlT_T0_E_clISt17integral_constantIbLb1EES1A_EEDaS15_S16_EUlS15_E_NS1_11comp_targetILNS1_3genE3ELNS1_11target_archE908ELNS1_3gpuE7ELNS1_3repE0EEENS1_30default_config_static_selectorELNS0_4arch9wavefront6targetE0EEEvT1_.has_indirect_call, 0
	.section	.AMDGPU.csdata,"",@progbits
; Kernel info:
; codeLenInByte = 0
; TotalNumSgprs: 0
; NumVgprs: 0
; ScratchSize: 0
; MemoryBound: 0
; FloatMode: 240
; IeeeMode: 1
; LDSByteSize: 0 bytes/workgroup (compile time only)
; SGPRBlocks: 0
; VGPRBlocks: 0
; NumSGPRsForWavesPerEU: 1
; NumVGPRsForWavesPerEU: 1
; NamedBarCnt: 0
; Occupancy: 16
; WaveLimiterHint : 0
; COMPUTE_PGM_RSRC2:SCRATCH_EN: 0
; COMPUTE_PGM_RSRC2:USER_SGPR: 2
; COMPUTE_PGM_RSRC2:TRAP_HANDLER: 0
; COMPUTE_PGM_RSRC2:TGID_X_EN: 1
; COMPUTE_PGM_RSRC2:TGID_Y_EN: 0
; COMPUTE_PGM_RSRC2:TGID_Z_EN: 0
; COMPUTE_PGM_RSRC2:TIDIG_COMP_CNT: 0
	.section	.text._ZN7rocprim17ROCPRIM_400000_NS6detail17trampoline_kernelINS0_14default_configENS1_25partition_config_selectorILNS1_17partition_subalgoE9EiibEEZZNS1_14partition_implILS5_9ELb0ES3_jPKiN6thrust23THRUST_200600_302600_NS17counting_iteratorIiNSB_11use_defaultESD_SD_EEPNS0_10empty_typeENS0_5tupleIJPiSF_EEENSH_IJSI_SG_EEENS0_18inequality_wrapperIN6hipcub16HIPCUB_304000_NS8EqualityEEEPlJSF_EEE10hipError_tPvRmT3_T4_T5_T6_T7_T9_mT8_P12ihipStream_tbDpT10_ENKUlT_T0_E_clISt17integral_constantIbLb1EES1A_EEDaS15_S16_EUlS15_E_NS1_11comp_targetILNS1_3genE2ELNS1_11target_archE906ELNS1_3gpuE6ELNS1_3repE0EEENS1_30default_config_static_selectorELNS0_4arch9wavefront6targetE0EEEvT1_,"axG",@progbits,_ZN7rocprim17ROCPRIM_400000_NS6detail17trampoline_kernelINS0_14default_configENS1_25partition_config_selectorILNS1_17partition_subalgoE9EiibEEZZNS1_14partition_implILS5_9ELb0ES3_jPKiN6thrust23THRUST_200600_302600_NS17counting_iteratorIiNSB_11use_defaultESD_SD_EEPNS0_10empty_typeENS0_5tupleIJPiSF_EEENSH_IJSI_SG_EEENS0_18inequality_wrapperIN6hipcub16HIPCUB_304000_NS8EqualityEEEPlJSF_EEE10hipError_tPvRmT3_T4_T5_T6_T7_T9_mT8_P12ihipStream_tbDpT10_ENKUlT_T0_E_clISt17integral_constantIbLb1EES1A_EEDaS15_S16_EUlS15_E_NS1_11comp_targetILNS1_3genE2ELNS1_11target_archE906ELNS1_3gpuE6ELNS1_3repE0EEENS1_30default_config_static_selectorELNS0_4arch9wavefront6targetE0EEEvT1_,comdat
	.protected	_ZN7rocprim17ROCPRIM_400000_NS6detail17trampoline_kernelINS0_14default_configENS1_25partition_config_selectorILNS1_17partition_subalgoE9EiibEEZZNS1_14partition_implILS5_9ELb0ES3_jPKiN6thrust23THRUST_200600_302600_NS17counting_iteratorIiNSB_11use_defaultESD_SD_EEPNS0_10empty_typeENS0_5tupleIJPiSF_EEENSH_IJSI_SG_EEENS0_18inequality_wrapperIN6hipcub16HIPCUB_304000_NS8EqualityEEEPlJSF_EEE10hipError_tPvRmT3_T4_T5_T6_T7_T9_mT8_P12ihipStream_tbDpT10_ENKUlT_T0_E_clISt17integral_constantIbLb1EES1A_EEDaS15_S16_EUlS15_E_NS1_11comp_targetILNS1_3genE2ELNS1_11target_archE906ELNS1_3gpuE6ELNS1_3repE0EEENS1_30default_config_static_selectorELNS0_4arch9wavefront6targetE0EEEvT1_ ; -- Begin function _ZN7rocprim17ROCPRIM_400000_NS6detail17trampoline_kernelINS0_14default_configENS1_25partition_config_selectorILNS1_17partition_subalgoE9EiibEEZZNS1_14partition_implILS5_9ELb0ES3_jPKiN6thrust23THRUST_200600_302600_NS17counting_iteratorIiNSB_11use_defaultESD_SD_EEPNS0_10empty_typeENS0_5tupleIJPiSF_EEENSH_IJSI_SG_EEENS0_18inequality_wrapperIN6hipcub16HIPCUB_304000_NS8EqualityEEEPlJSF_EEE10hipError_tPvRmT3_T4_T5_T6_T7_T9_mT8_P12ihipStream_tbDpT10_ENKUlT_T0_E_clISt17integral_constantIbLb1EES1A_EEDaS15_S16_EUlS15_E_NS1_11comp_targetILNS1_3genE2ELNS1_11target_archE906ELNS1_3gpuE6ELNS1_3repE0EEENS1_30default_config_static_selectorELNS0_4arch9wavefront6targetE0EEEvT1_
	.globl	_ZN7rocprim17ROCPRIM_400000_NS6detail17trampoline_kernelINS0_14default_configENS1_25partition_config_selectorILNS1_17partition_subalgoE9EiibEEZZNS1_14partition_implILS5_9ELb0ES3_jPKiN6thrust23THRUST_200600_302600_NS17counting_iteratorIiNSB_11use_defaultESD_SD_EEPNS0_10empty_typeENS0_5tupleIJPiSF_EEENSH_IJSI_SG_EEENS0_18inequality_wrapperIN6hipcub16HIPCUB_304000_NS8EqualityEEEPlJSF_EEE10hipError_tPvRmT3_T4_T5_T6_T7_T9_mT8_P12ihipStream_tbDpT10_ENKUlT_T0_E_clISt17integral_constantIbLb1EES1A_EEDaS15_S16_EUlS15_E_NS1_11comp_targetILNS1_3genE2ELNS1_11target_archE906ELNS1_3gpuE6ELNS1_3repE0EEENS1_30default_config_static_selectorELNS0_4arch9wavefront6targetE0EEEvT1_
	.p2align	8
	.type	_ZN7rocprim17ROCPRIM_400000_NS6detail17trampoline_kernelINS0_14default_configENS1_25partition_config_selectorILNS1_17partition_subalgoE9EiibEEZZNS1_14partition_implILS5_9ELb0ES3_jPKiN6thrust23THRUST_200600_302600_NS17counting_iteratorIiNSB_11use_defaultESD_SD_EEPNS0_10empty_typeENS0_5tupleIJPiSF_EEENSH_IJSI_SG_EEENS0_18inequality_wrapperIN6hipcub16HIPCUB_304000_NS8EqualityEEEPlJSF_EEE10hipError_tPvRmT3_T4_T5_T6_T7_T9_mT8_P12ihipStream_tbDpT10_ENKUlT_T0_E_clISt17integral_constantIbLb1EES1A_EEDaS15_S16_EUlS15_E_NS1_11comp_targetILNS1_3genE2ELNS1_11target_archE906ELNS1_3gpuE6ELNS1_3repE0EEENS1_30default_config_static_selectorELNS0_4arch9wavefront6targetE0EEEvT1_,@function
_ZN7rocprim17ROCPRIM_400000_NS6detail17trampoline_kernelINS0_14default_configENS1_25partition_config_selectorILNS1_17partition_subalgoE9EiibEEZZNS1_14partition_implILS5_9ELb0ES3_jPKiN6thrust23THRUST_200600_302600_NS17counting_iteratorIiNSB_11use_defaultESD_SD_EEPNS0_10empty_typeENS0_5tupleIJPiSF_EEENSH_IJSI_SG_EEENS0_18inequality_wrapperIN6hipcub16HIPCUB_304000_NS8EqualityEEEPlJSF_EEE10hipError_tPvRmT3_T4_T5_T6_T7_T9_mT8_P12ihipStream_tbDpT10_ENKUlT_T0_E_clISt17integral_constantIbLb1EES1A_EEDaS15_S16_EUlS15_E_NS1_11comp_targetILNS1_3genE2ELNS1_11target_archE906ELNS1_3gpuE6ELNS1_3repE0EEENS1_30default_config_static_selectorELNS0_4arch9wavefront6targetE0EEEvT1_: ; @_ZN7rocprim17ROCPRIM_400000_NS6detail17trampoline_kernelINS0_14default_configENS1_25partition_config_selectorILNS1_17partition_subalgoE9EiibEEZZNS1_14partition_implILS5_9ELb0ES3_jPKiN6thrust23THRUST_200600_302600_NS17counting_iteratorIiNSB_11use_defaultESD_SD_EEPNS0_10empty_typeENS0_5tupleIJPiSF_EEENSH_IJSI_SG_EEENS0_18inequality_wrapperIN6hipcub16HIPCUB_304000_NS8EqualityEEEPlJSF_EEE10hipError_tPvRmT3_T4_T5_T6_T7_T9_mT8_P12ihipStream_tbDpT10_ENKUlT_T0_E_clISt17integral_constantIbLb1EES1A_EEDaS15_S16_EUlS15_E_NS1_11comp_targetILNS1_3genE2ELNS1_11target_archE906ELNS1_3gpuE6ELNS1_3repE0EEENS1_30default_config_static_selectorELNS0_4arch9wavefront6targetE0EEEvT1_
; %bb.0:
	.section	.rodata,"a",@progbits
	.p2align	6, 0x0
	.amdhsa_kernel _ZN7rocprim17ROCPRIM_400000_NS6detail17trampoline_kernelINS0_14default_configENS1_25partition_config_selectorILNS1_17partition_subalgoE9EiibEEZZNS1_14partition_implILS5_9ELb0ES3_jPKiN6thrust23THRUST_200600_302600_NS17counting_iteratorIiNSB_11use_defaultESD_SD_EEPNS0_10empty_typeENS0_5tupleIJPiSF_EEENSH_IJSI_SG_EEENS0_18inequality_wrapperIN6hipcub16HIPCUB_304000_NS8EqualityEEEPlJSF_EEE10hipError_tPvRmT3_T4_T5_T6_T7_T9_mT8_P12ihipStream_tbDpT10_ENKUlT_T0_E_clISt17integral_constantIbLb1EES1A_EEDaS15_S16_EUlS15_E_NS1_11comp_targetILNS1_3genE2ELNS1_11target_archE906ELNS1_3gpuE6ELNS1_3repE0EEENS1_30default_config_static_selectorELNS0_4arch9wavefront6targetE0EEEvT1_
		.amdhsa_group_segment_fixed_size 0
		.amdhsa_private_segment_fixed_size 0
		.amdhsa_kernarg_size 128
		.amdhsa_user_sgpr_count 2
		.amdhsa_user_sgpr_dispatch_ptr 0
		.amdhsa_user_sgpr_queue_ptr 0
		.amdhsa_user_sgpr_kernarg_segment_ptr 1
		.amdhsa_user_sgpr_dispatch_id 0
		.amdhsa_user_sgpr_kernarg_preload_length 0
		.amdhsa_user_sgpr_kernarg_preload_offset 0
		.amdhsa_user_sgpr_private_segment_size 0
		.amdhsa_wavefront_size32 1
		.amdhsa_uses_dynamic_stack 0
		.amdhsa_enable_private_segment 0
		.amdhsa_system_sgpr_workgroup_id_x 1
		.amdhsa_system_sgpr_workgroup_id_y 0
		.amdhsa_system_sgpr_workgroup_id_z 0
		.amdhsa_system_sgpr_workgroup_info 0
		.amdhsa_system_vgpr_workitem_id 0
		.amdhsa_next_free_vgpr 1
		.amdhsa_next_free_sgpr 1
		.amdhsa_named_barrier_count 0
		.amdhsa_reserve_vcc 0
		.amdhsa_float_round_mode_32 0
		.amdhsa_float_round_mode_16_64 0
		.amdhsa_float_denorm_mode_32 3
		.amdhsa_float_denorm_mode_16_64 3
		.amdhsa_fp16_overflow 0
		.amdhsa_memory_ordered 1
		.amdhsa_forward_progress 1
		.amdhsa_inst_pref_size 0
		.amdhsa_round_robin_scheduling 0
		.amdhsa_exception_fp_ieee_invalid_op 0
		.amdhsa_exception_fp_denorm_src 0
		.amdhsa_exception_fp_ieee_div_zero 0
		.amdhsa_exception_fp_ieee_overflow 0
		.amdhsa_exception_fp_ieee_underflow 0
		.amdhsa_exception_fp_ieee_inexact 0
		.amdhsa_exception_int_div_zero 0
	.end_amdhsa_kernel
	.section	.text._ZN7rocprim17ROCPRIM_400000_NS6detail17trampoline_kernelINS0_14default_configENS1_25partition_config_selectorILNS1_17partition_subalgoE9EiibEEZZNS1_14partition_implILS5_9ELb0ES3_jPKiN6thrust23THRUST_200600_302600_NS17counting_iteratorIiNSB_11use_defaultESD_SD_EEPNS0_10empty_typeENS0_5tupleIJPiSF_EEENSH_IJSI_SG_EEENS0_18inequality_wrapperIN6hipcub16HIPCUB_304000_NS8EqualityEEEPlJSF_EEE10hipError_tPvRmT3_T4_T5_T6_T7_T9_mT8_P12ihipStream_tbDpT10_ENKUlT_T0_E_clISt17integral_constantIbLb1EES1A_EEDaS15_S16_EUlS15_E_NS1_11comp_targetILNS1_3genE2ELNS1_11target_archE906ELNS1_3gpuE6ELNS1_3repE0EEENS1_30default_config_static_selectorELNS0_4arch9wavefront6targetE0EEEvT1_,"axG",@progbits,_ZN7rocprim17ROCPRIM_400000_NS6detail17trampoline_kernelINS0_14default_configENS1_25partition_config_selectorILNS1_17partition_subalgoE9EiibEEZZNS1_14partition_implILS5_9ELb0ES3_jPKiN6thrust23THRUST_200600_302600_NS17counting_iteratorIiNSB_11use_defaultESD_SD_EEPNS0_10empty_typeENS0_5tupleIJPiSF_EEENSH_IJSI_SG_EEENS0_18inequality_wrapperIN6hipcub16HIPCUB_304000_NS8EqualityEEEPlJSF_EEE10hipError_tPvRmT3_T4_T5_T6_T7_T9_mT8_P12ihipStream_tbDpT10_ENKUlT_T0_E_clISt17integral_constantIbLb1EES1A_EEDaS15_S16_EUlS15_E_NS1_11comp_targetILNS1_3genE2ELNS1_11target_archE906ELNS1_3gpuE6ELNS1_3repE0EEENS1_30default_config_static_selectorELNS0_4arch9wavefront6targetE0EEEvT1_,comdat
.Lfunc_end22:
	.size	_ZN7rocprim17ROCPRIM_400000_NS6detail17trampoline_kernelINS0_14default_configENS1_25partition_config_selectorILNS1_17partition_subalgoE9EiibEEZZNS1_14partition_implILS5_9ELb0ES3_jPKiN6thrust23THRUST_200600_302600_NS17counting_iteratorIiNSB_11use_defaultESD_SD_EEPNS0_10empty_typeENS0_5tupleIJPiSF_EEENSH_IJSI_SG_EEENS0_18inequality_wrapperIN6hipcub16HIPCUB_304000_NS8EqualityEEEPlJSF_EEE10hipError_tPvRmT3_T4_T5_T6_T7_T9_mT8_P12ihipStream_tbDpT10_ENKUlT_T0_E_clISt17integral_constantIbLb1EES1A_EEDaS15_S16_EUlS15_E_NS1_11comp_targetILNS1_3genE2ELNS1_11target_archE906ELNS1_3gpuE6ELNS1_3repE0EEENS1_30default_config_static_selectorELNS0_4arch9wavefront6targetE0EEEvT1_, .Lfunc_end22-_ZN7rocprim17ROCPRIM_400000_NS6detail17trampoline_kernelINS0_14default_configENS1_25partition_config_selectorILNS1_17partition_subalgoE9EiibEEZZNS1_14partition_implILS5_9ELb0ES3_jPKiN6thrust23THRUST_200600_302600_NS17counting_iteratorIiNSB_11use_defaultESD_SD_EEPNS0_10empty_typeENS0_5tupleIJPiSF_EEENSH_IJSI_SG_EEENS0_18inequality_wrapperIN6hipcub16HIPCUB_304000_NS8EqualityEEEPlJSF_EEE10hipError_tPvRmT3_T4_T5_T6_T7_T9_mT8_P12ihipStream_tbDpT10_ENKUlT_T0_E_clISt17integral_constantIbLb1EES1A_EEDaS15_S16_EUlS15_E_NS1_11comp_targetILNS1_3genE2ELNS1_11target_archE906ELNS1_3gpuE6ELNS1_3repE0EEENS1_30default_config_static_selectorELNS0_4arch9wavefront6targetE0EEEvT1_
                                        ; -- End function
	.set _ZN7rocprim17ROCPRIM_400000_NS6detail17trampoline_kernelINS0_14default_configENS1_25partition_config_selectorILNS1_17partition_subalgoE9EiibEEZZNS1_14partition_implILS5_9ELb0ES3_jPKiN6thrust23THRUST_200600_302600_NS17counting_iteratorIiNSB_11use_defaultESD_SD_EEPNS0_10empty_typeENS0_5tupleIJPiSF_EEENSH_IJSI_SG_EEENS0_18inequality_wrapperIN6hipcub16HIPCUB_304000_NS8EqualityEEEPlJSF_EEE10hipError_tPvRmT3_T4_T5_T6_T7_T9_mT8_P12ihipStream_tbDpT10_ENKUlT_T0_E_clISt17integral_constantIbLb1EES1A_EEDaS15_S16_EUlS15_E_NS1_11comp_targetILNS1_3genE2ELNS1_11target_archE906ELNS1_3gpuE6ELNS1_3repE0EEENS1_30default_config_static_selectorELNS0_4arch9wavefront6targetE0EEEvT1_.num_vgpr, 0
	.set _ZN7rocprim17ROCPRIM_400000_NS6detail17trampoline_kernelINS0_14default_configENS1_25partition_config_selectorILNS1_17partition_subalgoE9EiibEEZZNS1_14partition_implILS5_9ELb0ES3_jPKiN6thrust23THRUST_200600_302600_NS17counting_iteratorIiNSB_11use_defaultESD_SD_EEPNS0_10empty_typeENS0_5tupleIJPiSF_EEENSH_IJSI_SG_EEENS0_18inequality_wrapperIN6hipcub16HIPCUB_304000_NS8EqualityEEEPlJSF_EEE10hipError_tPvRmT3_T4_T5_T6_T7_T9_mT8_P12ihipStream_tbDpT10_ENKUlT_T0_E_clISt17integral_constantIbLb1EES1A_EEDaS15_S16_EUlS15_E_NS1_11comp_targetILNS1_3genE2ELNS1_11target_archE906ELNS1_3gpuE6ELNS1_3repE0EEENS1_30default_config_static_selectorELNS0_4arch9wavefront6targetE0EEEvT1_.num_agpr, 0
	.set _ZN7rocprim17ROCPRIM_400000_NS6detail17trampoline_kernelINS0_14default_configENS1_25partition_config_selectorILNS1_17partition_subalgoE9EiibEEZZNS1_14partition_implILS5_9ELb0ES3_jPKiN6thrust23THRUST_200600_302600_NS17counting_iteratorIiNSB_11use_defaultESD_SD_EEPNS0_10empty_typeENS0_5tupleIJPiSF_EEENSH_IJSI_SG_EEENS0_18inequality_wrapperIN6hipcub16HIPCUB_304000_NS8EqualityEEEPlJSF_EEE10hipError_tPvRmT3_T4_T5_T6_T7_T9_mT8_P12ihipStream_tbDpT10_ENKUlT_T0_E_clISt17integral_constantIbLb1EES1A_EEDaS15_S16_EUlS15_E_NS1_11comp_targetILNS1_3genE2ELNS1_11target_archE906ELNS1_3gpuE6ELNS1_3repE0EEENS1_30default_config_static_selectorELNS0_4arch9wavefront6targetE0EEEvT1_.numbered_sgpr, 0
	.set _ZN7rocprim17ROCPRIM_400000_NS6detail17trampoline_kernelINS0_14default_configENS1_25partition_config_selectorILNS1_17partition_subalgoE9EiibEEZZNS1_14partition_implILS5_9ELb0ES3_jPKiN6thrust23THRUST_200600_302600_NS17counting_iteratorIiNSB_11use_defaultESD_SD_EEPNS0_10empty_typeENS0_5tupleIJPiSF_EEENSH_IJSI_SG_EEENS0_18inequality_wrapperIN6hipcub16HIPCUB_304000_NS8EqualityEEEPlJSF_EEE10hipError_tPvRmT3_T4_T5_T6_T7_T9_mT8_P12ihipStream_tbDpT10_ENKUlT_T0_E_clISt17integral_constantIbLb1EES1A_EEDaS15_S16_EUlS15_E_NS1_11comp_targetILNS1_3genE2ELNS1_11target_archE906ELNS1_3gpuE6ELNS1_3repE0EEENS1_30default_config_static_selectorELNS0_4arch9wavefront6targetE0EEEvT1_.num_named_barrier, 0
	.set _ZN7rocprim17ROCPRIM_400000_NS6detail17trampoline_kernelINS0_14default_configENS1_25partition_config_selectorILNS1_17partition_subalgoE9EiibEEZZNS1_14partition_implILS5_9ELb0ES3_jPKiN6thrust23THRUST_200600_302600_NS17counting_iteratorIiNSB_11use_defaultESD_SD_EEPNS0_10empty_typeENS0_5tupleIJPiSF_EEENSH_IJSI_SG_EEENS0_18inequality_wrapperIN6hipcub16HIPCUB_304000_NS8EqualityEEEPlJSF_EEE10hipError_tPvRmT3_T4_T5_T6_T7_T9_mT8_P12ihipStream_tbDpT10_ENKUlT_T0_E_clISt17integral_constantIbLb1EES1A_EEDaS15_S16_EUlS15_E_NS1_11comp_targetILNS1_3genE2ELNS1_11target_archE906ELNS1_3gpuE6ELNS1_3repE0EEENS1_30default_config_static_selectorELNS0_4arch9wavefront6targetE0EEEvT1_.private_seg_size, 0
	.set _ZN7rocprim17ROCPRIM_400000_NS6detail17trampoline_kernelINS0_14default_configENS1_25partition_config_selectorILNS1_17partition_subalgoE9EiibEEZZNS1_14partition_implILS5_9ELb0ES3_jPKiN6thrust23THRUST_200600_302600_NS17counting_iteratorIiNSB_11use_defaultESD_SD_EEPNS0_10empty_typeENS0_5tupleIJPiSF_EEENSH_IJSI_SG_EEENS0_18inequality_wrapperIN6hipcub16HIPCUB_304000_NS8EqualityEEEPlJSF_EEE10hipError_tPvRmT3_T4_T5_T6_T7_T9_mT8_P12ihipStream_tbDpT10_ENKUlT_T0_E_clISt17integral_constantIbLb1EES1A_EEDaS15_S16_EUlS15_E_NS1_11comp_targetILNS1_3genE2ELNS1_11target_archE906ELNS1_3gpuE6ELNS1_3repE0EEENS1_30default_config_static_selectorELNS0_4arch9wavefront6targetE0EEEvT1_.uses_vcc, 0
	.set _ZN7rocprim17ROCPRIM_400000_NS6detail17trampoline_kernelINS0_14default_configENS1_25partition_config_selectorILNS1_17partition_subalgoE9EiibEEZZNS1_14partition_implILS5_9ELb0ES3_jPKiN6thrust23THRUST_200600_302600_NS17counting_iteratorIiNSB_11use_defaultESD_SD_EEPNS0_10empty_typeENS0_5tupleIJPiSF_EEENSH_IJSI_SG_EEENS0_18inequality_wrapperIN6hipcub16HIPCUB_304000_NS8EqualityEEEPlJSF_EEE10hipError_tPvRmT3_T4_T5_T6_T7_T9_mT8_P12ihipStream_tbDpT10_ENKUlT_T0_E_clISt17integral_constantIbLb1EES1A_EEDaS15_S16_EUlS15_E_NS1_11comp_targetILNS1_3genE2ELNS1_11target_archE906ELNS1_3gpuE6ELNS1_3repE0EEENS1_30default_config_static_selectorELNS0_4arch9wavefront6targetE0EEEvT1_.uses_flat_scratch, 0
	.set _ZN7rocprim17ROCPRIM_400000_NS6detail17trampoline_kernelINS0_14default_configENS1_25partition_config_selectorILNS1_17partition_subalgoE9EiibEEZZNS1_14partition_implILS5_9ELb0ES3_jPKiN6thrust23THRUST_200600_302600_NS17counting_iteratorIiNSB_11use_defaultESD_SD_EEPNS0_10empty_typeENS0_5tupleIJPiSF_EEENSH_IJSI_SG_EEENS0_18inequality_wrapperIN6hipcub16HIPCUB_304000_NS8EqualityEEEPlJSF_EEE10hipError_tPvRmT3_T4_T5_T6_T7_T9_mT8_P12ihipStream_tbDpT10_ENKUlT_T0_E_clISt17integral_constantIbLb1EES1A_EEDaS15_S16_EUlS15_E_NS1_11comp_targetILNS1_3genE2ELNS1_11target_archE906ELNS1_3gpuE6ELNS1_3repE0EEENS1_30default_config_static_selectorELNS0_4arch9wavefront6targetE0EEEvT1_.has_dyn_sized_stack, 0
	.set _ZN7rocprim17ROCPRIM_400000_NS6detail17trampoline_kernelINS0_14default_configENS1_25partition_config_selectorILNS1_17partition_subalgoE9EiibEEZZNS1_14partition_implILS5_9ELb0ES3_jPKiN6thrust23THRUST_200600_302600_NS17counting_iteratorIiNSB_11use_defaultESD_SD_EEPNS0_10empty_typeENS0_5tupleIJPiSF_EEENSH_IJSI_SG_EEENS0_18inequality_wrapperIN6hipcub16HIPCUB_304000_NS8EqualityEEEPlJSF_EEE10hipError_tPvRmT3_T4_T5_T6_T7_T9_mT8_P12ihipStream_tbDpT10_ENKUlT_T0_E_clISt17integral_constantIbLb1EES1A_EEDaS15_S16_EUlS15_E_NS1_11comp_targetILNS1_3genE2ELNS1_11target_archE906ELNS1_3gpuE6ELNS1_3repE0EEENS1_30default_config_static_selectorELNS0_4arch9wavefront6targetE0EEEvT1_.has_recursion, 0
	.set _ZN7rocprim17ROCPRIM_400000_NS6detail17trampoline_kernelINS0_14default_configENS1_25partition_config_selectorILNS1_17partition_subalgoE9EiibEEZZNS1_14partition_implILS5_9ELb0ES3_jPKiN6thrust23THRUST_200600_302600_NS17counting_iteratorIiNSB_11use_defaultESD_SD_EEPNS0_10empty_typeENS0_5tupleIJPiSF_EEENSH_IJSI_SG_EEENS0_18inequality_wrapperIN6hipcub16HIPCUB_304000_NS8EqualityEEEPlJSF_EEE10hipError_tPvRmT3_T4_T5_T6_T7_T9_mT8_P12ihipStream_tbDpT10_ENKUlT_T0_E_clISt17integral_constantIbLb1EES1A_EEDaS15_S16_EUlS15_E_NS1_11comp_targetILNS1_3genE2ELNS1_11target_archE906ELNS1_3gpuE6ELNS1_3repE0EEENS1_30default_config_static_selectorELNS0_4arch9wavefront6targetE0EEEvT1_.has_indirect_call, 0
	.section	.AMDGPU.csdata,"",@progbits
; Kernel info:
; codeLenInByte = 0
; TotalNumSgprs: 0
; NumVgprs: 0
; ScratchSize: 0
; MemoryBound: 0
; FloatMode: 240
; IeeeMode: 1
; LDSByteSize: 0 bytes/workgroup (compile time only)
; SGPRBlocks: 0
; VGPRBlocks: 0
; NumSGPRsForWavesPerEU: 1
; NumVGPRsForWavesPerEU: 1
; NamedBarCnt: 0
; Occupancy: 16
; WaveLimiterHint : 0
; COMPUTE_PGM_RSRC2:SCRATCH_EN: 0
; COMPUTE_PGM_RSRC2:USER_SGPR: 2
; COMPUTE_PGM_RSRC2:TRAP_HANDLER: 0
; COMPUTE_PGM_RSRC2:TGID_X_EN: 1
; COMPUTE_PGM_RSRC2:TGID_Y_EN: 0
; COMPUTE_PGM_RSRC2:TGID_Z_EN: 0
; COMPUTE_PGM_RSRC2:TIDIG_COMP_CNT: 0
	.section	.text._ZN7rocprim17ROCPRIM_400000_NS6detail17trampoline_kernelINS0_14default_configENS1_25partition_config_selectorILNS1_17partition_subalgoE9EiibEEZZNS1_14partition_implILS5_9ELb0ES3_jPKiN6thrust23THRUST_200600_302600_NS17counting_iteratorIiNSB_11use_defaultESD_SD_EEPNS0_10empty_typeENS0_5tupleIJPiSF_EEENSH_IJSI_SG_EEENS0_18inequality_wrapperIN6hipcub16HIPCUB_304000_NS8EqualityEEEPlJSF_EEE10hipError_tPvRmT3_T4_T5_T6_T7_T9_mT8_P12ihipStream_tbDpT10_ENKUlT_T0_E_clISt17integral_constantIbLb1EES1A_EEDaS15_S16_EUlS15_E_NS1_11comp_targetILNS1_3genE10ELNS1_11target_archE1200ELNS1_3gpuE4ELNS1_3repE0EEENS1_30default_config_static_selectorELNS0_4arch9wavefront6targetE0EEEvT1_,"axG",@progbits,_ZN7rocprim17ROCPRIM_400000_NS6detail17trampoline_kernelINS0_14default_configENS1_25partition_config_selectorILNS1_17partition_subalgoE9EiibEEZZNS1_14partition_implILS5_9ELb0ES3_jPKiN6thrust23THRUST_200600_302600_NS17counting_iteratorIiNSB_11use_defaultESD_SD_EEPNS0_10empty_typeENS0_5tupleIJPiSF_EEENSH_IJSI_SG_EEENS0_18inequality_wrapperIN6hipcub16HIPCUB_304000_NS8EqualityEEEPlJSF_EEE10hipError_tPvRmT3_T4_T5_T6_T7_T9_mT8_P12ihipStream_tbDpT10_ENKUlT_T0_E_clISt17integral_constantIbLb1EES1A_EEDaS15_S16_EUlS15_E_NS1_11comp_targetILNS1_3genE10ELNS1_11target_archE1200ELNS1_3gpuE4ELNS1_3repE0EEENS1_30default_config_static_selectorELNS0_4arch9wavefront6targetE0EEEvT1_,comdat
	.protected	_ZN7rocprim17ROCPRIM_400000_NS6detail17trampoline_kernelINS0_14default_configENS1_25partition_config_selectorILNS1_17partition_subalgoE9EiibEEZZNS1_14partition_implILS5_9ELb0ES3_jPKiN6thrust23THRUST_200600_302600_NS17counting_iteratorIiNSB_11use_defaultESD_SD_EEPNS0_10empty_typeENS0_5tupleIJPiSF_EEENSH_IJSI_SG_EEENS0_18inequality_wrapperIN6hipcub16HIPCUB_304000_NS8EqualityEEEPlJSF_EEE10hipError_tPvRmT3_T4_T5_T6_T7_T9_mT8_P12ihipStream_tbDpT10_ENKUlT_T0_E_clISt17integral_constantIbLb1EES1A_EEDaS15_S16_EUlS15_E_NS1_11comp_targetILNS1_3genE10ELNS1_11target_archE1200ELNS1_3gpuE4ELNS1_3repE0EEENS1_30default_config_static_selectorELNS0_4arch9wavefront6targetE0EEEvT1_ ; -- Begin function _ZN7rocprim17ROCPRIM_400000_NS6detail17trampoline_kernelINS0_14default_configENS1_25partition_config_selectorILNS1_17partition_subalgoE9EiibEEZZNS1_14partition_implILS5_9ELb0ES3_jPKiN6thrust23THRUST_200600_302600_NS17counting_iteratorIiNSB_11use_defaultESD_SD_EEPNS0_10empty_typeENS0_5tupleIJPiSF_EEENSH_IJSI_SG_EEENS0_18inequality_wrapperIN6hipcub16HIPCUB_304000_NS8EqualityEEEPlJSF_EEE10hipError_tPvRmT3_T4_T5_T6_T7_T9_mT8_P12ihipStream_tbDpT10_ENKUlT_T0_E_clISt17integral_constantIbLb1EES1A_EEDaS15_S16_EUlS15_E_NS1_11comp_targetILNS1_3genE10ELNS1_11target_archE1200ELNS1_3gpuE4ELNS1_3repE0EEENS1_30default_config_static_selectorELNS0_4arch9wavefront6targetE0EEEvT1_
	.globl	_ZN7rocprim17ROCPRIM_400000_NS6detail17trampoline_kernelINS0_14default_configENS1_25partition_config_selectorILNS1_17partition_subalgoE9EiibEEZZNS1_14partition_implILS5_9ELb0ES3_jPKiN6thrust23THRUST_200600_302600_NS17counting_iteratorIiNSB_11use_defaultESD_SD_EEPNS0_10empty_typeENS0_5tupleIJPiSF_EEENSH_IJSI_SG_EEENS0_18inequality_wrapperIN6hipcub16HIPCUB_304000_NS8EqualityEEEPlJSF_EEE10hipError_tPvRmT3_T4_T5_T6_T7_T9_mT8_P12ihipStream_tbDpT10_ENKUlT_T0_E_clISt17integral_constantIbLb1EES1A_EEDaS15_S16_EUlS15_E_NS1_11comp_targetILNS1_3genE10ELNS1_11target_archE1200ELNS1_3gpuE4ELNS1_3repE0EEENS1_30default_config_static_selectorELNS0_4arch9wavefront6targetE0EEEvT1_
	.p2align	8
	.type	_ZN7rocprim17ROCPRIM_400000_NS6detail17trampoline_kernelINS0_14default_configENS1_25partition_config_selectorILNS1_17partition_subalgoE9EiibEEZZNS1_14partition_implILS5_9ELb0ES3_jPKiN6thrust23THRUST_200600_302600_NS17counting_iteratorIiNSB_11use_defaultESD_SD_EEPNS0_10empty_typeENS0_5tupleIJPiSF_EEENSH_IJSI_SG_EEENS0_18inequality_wrapperIN6hipcub16HIPCUB_304000_NS8EqualityEEEPlJSF_EEE10hipError_tPvRmT3_T4_T5_T6_T7_T9_mT8_P12ihipStream_tbDpT10_ENKUlT_T0_E_clISt17integral_constantIbLb1EES1A_EEDaS15_S16_EUlS15_E_NS1_11comp_targetILNS1_3genE10ELNS1_11target_archE1200ELNS1_3gpuE4ELNS1_3repE0EEENS1_30default_config_static_selectorELNS0_4arch9wavefront6targetE0EEEvT1_,@function
_ZN7rocprim17ROCPRIM_400000_NS6detail17trampoline_kernelINS0_14default_configENS1_25partition_config_selectorILNS1_17partition_subalgoE9EiibEEZZNS1_14partition_implILS5_9ELb0ES3_jPKiN6thrust23THRUST_200600_302600_NS17counting_iteratorIiNSB_11use_defaultESD_SD_EEPNS0_10empty_typeENS0_5tupleIJPiSF_EEENSH_IJSI_SG_EEENS0_18inequality_wrapperIN6hipcub16HIPCUB_304000_NS8EqualityEEEPlJSF_EEE10hipError_tPvRmT3_T4_T5_T6_T7_T9_mT8_P12ihipStream_tbDpT10_ENKUlT_T0_E_clISt17integral_constantIbLb1EES1A_EEDaS15_S16_EUlS15_E_NS1_11comp_targetILNS1_3genE10ELNS1_11target_archE1200ELNS1_3gpuE4ELNS1_3repE0EEENS1_30default_config_static_selectorELNS0_4arch9wavefront6targetE0EEEvT1_: ; @_ZN7rocprim17ROCPRIM_400000_NS6detail17trampoline_kernelINS0_14default_configENS1_25partition_config_selectorILNS1_17partition_subalgoE9EiibEEZZNS1_14partition_implILS5_9ELb0ES3_jPKiN6thrust23THRUST_200600_302600_NS17counting_iteratorIiNSB_11use_defaultESD_SD_EEPNS0_10empty_typeENS0_5tupleIJPiSF_EEENSH_IJSI_SG_EEENS0_18inequality_wrapperIN6hipcub16HIPCUB_304000_NS8EqualityEEEPlJSF_EEE10hipError_tPvRmT3_T4_T5_T6_T7_T9_mT8_P12ihipStream_tbDpT10_ENKUlT_T0_E_clISt17integral_constantIbLb1EES1A_EEDaS15_S16_EUlS15_E_NS1_11comp_targetILNS1_3genE10ELNS1_11target_archE1200ELNS1_3gpuE4ELNS1_3repE0EEENS1_30default_config_static_selectorELNS0_4arch9wavefront6targetE0EEEvT1_
; %bb.0:
	.section	.rodata,"a",@progbits
	.p2align	6, 0x0
	.amdhsa_kernel _ZN7rocprim17ROCPRIM_400000_NS6detail17trampoline_kernelINS0_14default_configENS1_25partition_config_selectorILNS1_17partition_subalgoE9EiibEEZZNS1_14partition_implILS5_9ELb0ES3_jPKiN6thrust23THRUST_200600_302600_NS17counting_iteratorIiNSB_11use_defaultESD_SD_EEPNS0_10empty_typeENS0_5tupleIJPiSF_EEENSH_IJSI_SG_EEENS0_18inequality_wrapperIN6hipcub16HIPCUB_304000_NS8EqualityEEEPlJSF_EEE10hipError_tPvRmT3_T4_T5_T6_T7_T9_mT8_P12ihipStream_tbDpT10_ENKUlT_T0_E_clISt17integral_constantIbLb1EES1A_EEDaS15_S16_EUlS15_E_NS1_11comp_targetILNS1_3genE10ELNS1_11target_archE1200ELNS1_3gpuE4ELNS1_3repE0EEENS1_30default_config_static_selectorELNS0_4arch9wavefront6targetE0EEEvT1_
		.amdhsa_group_segment_fixed_size 0
		.amdhsa_private_segment_fixed_size 0
		.amdhsa_kernarg_size 128
		.amdhsa_user_sgpr_count 2
		.amdhsa_user_sgpr_dispatch_ptr 0
		.amdhsa_user_sgpr_queue_ptr 0
		.amdhsa_user_sgpr_kernarg_segment_ptr 1
		.amdhsa_user_sgpr_dispatch_id 0
		.amdhsa_user_sgpr_kernarg_preload_length 0
		.amdhsa_user_sgpr_kernarg_preload_offset 0
		.amdhsa_user_sgpr_private_segment_size 0
		.amdhsa_wavefront_size32 1
		.amdhsa_uses_dynamic_stack 0
		.amdhsa_enable_private_segment 0
		.amdhsa_system_sgpr_workgroup_id_x 1
		.amdhsa_system_sgpr_workgroup_id_y 0
		.amdhsa_system_sgpr_workgroup_id_z 0
		.amdhsa_system_sgpr_workgroup_info 0
		.amdhsa_system_vgpr_workitem_id 0
		.amdhsa_next_free_vgpr 1
		.amdhsa_next_free_sgpr 1
		.amdhsa_named_barrier_count 0
		.amdhsa_reserve_vcc 0
		.amdhsa_float_round_mode_32 0
		.amdhsa_float_round_mode_16_64 0
		.amdhsa_float_denorm_mode_32 3
		.amdhsa_float_denorm_mode_16_64 3
		.amdhsa_fp16_overflow 0
		.amdhsa_memory_ordered 1
		.amdhsa_forward_progress 1
		.amdhsa_inst_pref_size 0
		.amdhsa_round_robin_scheduling 0
		.amdhsa_exception_fp_ieee_invalid_op 0
		.amdhsa_exception_fp_denorm_src 0
		.amdhsa_exception_fp_ieee_div_zero 0
		.amdhsa_exception_fp_ieee_overflow 0
		.amdhsa_exception_fp_ieee_underflow 0
		.amdhsa_exception_fp_ieee_inexact 0
		.amdhsa_exception_int_div_zero 0
	.end_amdhsa_kernel
	.section	.text._ZN7rocprim17ROCPRIM_400000_NS6detail17trampoline_kernelINS0_14default_configENS1_25partition_config_selectorILNS1_17partition_subalgoE9EiibEEZZNS1_14partition_implILS5_9ELb0ES3_jPKiN6thrust23THRUST_200600_302600_NS17counting_iteratorIiNSB_11use_defaultESD_SD_EEPNS0_10empty_typeENS0_5tupleIJPiSF_EEENSH_IJSI_SG_EEENS0_18inequality_wrapperIN6hipcub16HIPCUB_304000_NS8EqualityEEEPlJSF_EEE10hipError_tPvRmT3_T4_T5_T6_T7_T9_mT8_P12ihipStream_tbDpT10_ENKUlT_T0_E_clISt17integral_constantIbLb1EES1A_EEDaS15_S16_EUlS15_E_NS1_11comp_targetILNS1_3genE10ELNS1_11target_archE1200ELNS1_3gpuE4ELNS1_3repE0EEENS1_30default_config_static_selectorELNS0_4arch9wavefront6targetE0EEEvT1_,"axG",@progbits,_ZN7rocprim17ROCPRIM_400000_NS6detail17trampoline_kernelINS0_14default_configENS1_25partition_config_selectorILNS1_17partition_subalgoE9EiibEEZZNS1_14partition_implILS5_9ELb0ES3_jPKiN6thrust23THRUST_200600_302600_NS17counting_iteratorIiNSB_11use_defaultESD_SD_EEPNS0_10empty_typeENS0_5tupleIJPiSF_EEENSH_IJSI_SG_EEENS0_18inequality_wrapperIN6hipcub16HIPCUB_304000_NS8EqualityEEEPlJSF_EEE10hipError_tPvRmT3_T4_T5_T6_T7_T9_mT8_P12ihipStream_tbDpT10_ENKUlT_T0_E_clISt17integral_constantIbLb1EES1A_EEDaS15_S16_EUlS15_E_NS1_11comp_targetILNS1_3genE10ELNS1_11target_archE1200ELNS1_3gpuE4ELNS1_3repE0EEENS1_30default_config_static_selectorELNS0_4arch9wavefront6targetE0EEEvT1_,comdat
.Lfunc_end23:
	.size	_ZN7rocprim17ROCPRIM_400000_NS6detail17trampoline_kernelINS0_14default_configENS1_25partition_config_selectorILNS1_17partition_subalgoE9EiibEEZZNS1_14partition_implILS5_9ELb0ES3_jPKiN6thrust23THRUST_200600_302600_NS17counting_iteratorIiNSB_11use_defaultESD_SD_EEPNS0_10empty_typeENS0_5tupleIJPiSF_EEENSH_IJSI_SG_EEENS0_18inequality_wrapperIN6hipcub16HIPCUB_304000_NS8EqualityEEEPlJSF_EEE10hipError_tPvRmT3_T4_T5_T6_T7_T9_mT8_P12ihipStream_tbDpT10_ENKUlT_T0_E_clISt17integral_constantIbLb1EES1A_EEDaS15_S16_EUlS15_E_NS1_11comp_targetILNS1_3genE10ELNS1_11target_archE1200ELNS1_3gpuE4ELNS1_3repE0EEENS1_30default_config_static_selectorELNS0_4arch9wavefront6targetE0EEEvT1_, .Lfunc_end23-_ZN7rocprim17ROCPRIM_400000_NS6detail17trampoline_kernelINS0_14default_configENS1_25partition_config_selectorILNS1_17partition_subalgoE9EiibEEZZNS1_14partition_implILS5_9ELb0ES3_jPKiN6thrust23THRUST_200600_302600_NS17counting_iteratorIiNSB_11use_defaultESD_SD_EEPNS0_10empty_typeENS0_5tupleIJPiSF_EEENSH_IJSI_SG_EEENS0_18inequality_wrapperIN6hipcub16HIPCUB_304000_NS8EqualityEEEPlJSF_EEE10hipError_tPvRmT3_T4_T5_T6_T7_T9_mT8_P12ihipStream_tbDpT10_ENKUlT_T0_E_clISt17integral_constantIbLb1EES1A_EEDaS15_S16_EUlS15_E_NS1_11comp_targetILNS1_3genE10ELNS1_11target_archE1200ELNS1_3gpuE4ELNS1_3repE0EEENS1_30default_config_static_selectorELNS0_4arch9wavefront6targetE0EEEvT1_
                                        ; -- End function
	.set _ZN7rocprim17ROCPRIM_400000_NS6detail17trampoline_kernelINS0_14default_configENS1_25partition_config_selectorILNS1_17partition_subalgoE9EiibEEZZNS1_14partition_implILS5_9ELb0ES3_jPKiN6thrust23THRUST_200600_302600_NS17counting_iteratorIiNSB_11use_defaultESD_SD_EEPNS0_10empty_typeENS0_5tupleIJPiSF_EEENSH_IJSI_SG_EEENS0_18inequality_wrapperIN6hipcub16HIPCUB_304000_NS8EqualityEEEPlJSF_EEE10hipError_tPvRmT3_T4_T5_T6_T7_T9_mT8_P12ihipStream_tbDpT10_ENKUlT_T0_E_clISt17integral_constantIbLb1EES1A_EEDaS15_S16_EUlS15_E_NS1_11comp_targetILNS1_3genE10ELNS1_11target_archE1200ELNS1_3gpuE4ELNS1_3repE0EEENS1_30default_config_static_selectorELNS0_4arch9wavefront6targetE0EEEvT1_.num_vgpr, 0
	.set _ZN7rocprim17ROCPRIM_400000_NS6detail17trampoline_kernelINS0_14default_configENS1_25partition_config_selectorILNS1_17partition_subalgoE9EiibEEZZNS1_14partition_implILS5_9ELb0ES3_jPKiN6thrust23THRUST_200600_302600_NS17counting_iteratorIiNSB_11use_defaultESD_SD_EEPNS0_10empty_typeENS0_5tupleIJPiSF_EEENSH_IJSI_SG_EEENS0_18inequality_wrapperIN6hipcub16HIPCUB_304000_NS8EqualityEEEPlJSF_EEE10hipError_tPvRmT3_T4_T5_T6_T7_T9_mT8_P12ihipStream_tbDpT10_ENKUlT_T0_E_clISt17integral_constantIbLb1EES1A_EEDaS15_S16_EUlS15_E_NS1_11comp_targetILNS1_3genE10ELNS1_11target_archE1200ELNS1_3gpuE4ELNS1_3repE0EEENS1_30default_config_static_selectorELNS0_4arch9wavefront6targetE0EEEvT1_.num_agpr, 0
	.set _ZN7rocprim17ROCPRIM_400000_NS6detail17trampoline_kernelINS0_14default_configENS1_25partition_config_selectorILNS1_17partition_subalgoE9EiibEEZZNS1_14partition_implILS5_9ELb0ES3_jPKiN6thrust23THRUST_200600_302600_NS17counting_iteratorIiNSB_11use_defaultESD_SD_EEPNS0_10empty_typeENS0_5tupleIJPiSF_EEENSH_IJSI_SG_EEENS0_18inequality_wrapperIN6hipcub16HIPCUB_304000_NS8EqualityEEEPlJSF_EEE10hipError_tPvRmT3_T4_T5_T6_T7_T9_mT8_P12ihipStream_tbDpT10_ENKUlT_T0_E_clISt17integral_constantIbLb1EES1A_EEDaS15_S16_EUlS15_E_NS1_11comp_targetILNS1_3genE10ELNS1_11target_archE1200ELNS1_3gpuE4ELNS1_3repE0EEENS1_30default_config_static_selectorELNS0_4arch9wavefront6targetE0EEEvT1_.numbered_sgpr, 0
	.set _ZN7rocprim17ROCPRIM_400000_NS6detail17trampoline_kernelINS0_14default_configENS1_25partition_config_selectorILNS1_17partition_subalgoE9EiibEEZZNS1_14partition_implILS5_9ELb0ES3_jPKiN6thrust23THRUST_200600_302600_NS17counting_iteratorIiNSB_11use_defaultESD_SD_EEPNS0_10empty_typeENS0_5tupleIJPiSF_EEENSH_IJSI_SG_EEENS0_18inequality_wrapperIN6hipcub16HIPCUB_304000_NS8EqualityEEEPlJSF_EEE10hipError_tPvRmT3_T4_T5_T6_T7_T9_mT8_P12ihipStream_tbDpT10_ENKUlT_T0_E_clISt17integral_constantIbLb1EES1A_EEDaS15_S16_EUlS15_E_NS1_11comp_targetILNS1_3genE10ELNS1_11target_archE1200ELNS1_3gpuE4ELNS1_3repE0EEENS1_30default_config_static_selectorELNS0_4arch9wavefront6targetE0EEEvT1_.num_named_barrier, 0
	.set _ZN7rocprim17ROCPRIM_400000_NS6detail17trampoline_kernelINS0_14default_configENS1_25partition_config_selectorILNS1_17partition_subalgoE9EiibEEZZNS1_14partition_implILS5_9ELb0ES3_jPKiN6thrust23THRUST_200600_302600_NS17counting_iteratorIiNSB_11use_defaultESD_SD_EEPNS0_10empty_typeENS0_5tupleIJPiSF_EEENSH_IJSI_SG_EEENS0_18inequality_wrapperIN6hipcub16HIPCUB_304000_NS8EqualityEEEPlJSF_EEE10hipError_tPvRmT3_T4_T5_T6_T7_T9_mT8_P12ihipStream_tbDpT10_ENKUlT_T0_E_clISt17integral_constantIbLb1EES1A_EEDaS15_S16_EUlS15_E_NS1_11comp_targetILNS1_3genE10ELNS1_11target_archE1200ELNS1_3gpuE4ELNS1_3repE0EEENS1_30default_config_static_selectorELNS0_4arch9wavefront6targetE0EEEvT1_.private_seg_size, 0
	.set _ZN7rocprim17ROCPRIM_400000_NS6detail17trampoline_kernelINS0_14default_configENS1_25partition_config_selectorILNS1_17partition_subalgoE9EiibEEZZNS1_14partition_implILS5_9ELb0ES3_jPKiN6thrust23THRUST_200600_302600_NS17counting_iteratorIiNSB_11use_defaultESD_SD_EEPNS0_10empty_typeENS0_5tupleIJPiSF_EEENSH_IJSI_SG_EEENS0_18inequality_wrapperIN6hipcub16HIPCUB_304000_NS8EqualityEEEPlJSF_EEE10hipError_tPvRmT3_T4_T5_T6_T7_T9_mT8_P12ihipStream_tbDpT10_ENKUlT_T0_E_clISt17integral_constantIbLb1EES1A_EEDaS15_S16_EUlS15_E_NS1_11comp_targetILNS1_3genE10ELNS1_11target_archE1200ELNS1_3gpuE4ELNS1_3repE0EEENS1_30default_config_static_selectorELNS0_4arch9wavefront6targetE0EEEvT1_.uses_vcc, 0
	.set _ZN7rocprim17ROCPRIM_400000_NS6detail17trampoline_kernelINS0_14default_configENS1_25partition_config_selectorILNS1_17partition_subalgoE9EiibEEZZNS1_14partition_implILS5_9ELb0ES3_jPKiN6thrust23THRUST_200600_302600_NS17counting_iteratorIiNSB_11use_defaultESD_SD_EEPNS0_10empty_typeENS0_5tupleIJPiSF_EEENSH_IJSI_SG_EEENS0_18inequality_wrapperIN6hipcub16HIPCUB_304000_NS8EqualityEEEPlJSF_EEE10hipError_tPvRmT3_T4_T5_T6_T7_T9_mT8_P12ihipStream_tbDpT10_ENKUlT_T0_E_clISt17integral_constantIbLb1EES1A_EEDaS15_S16_EUlS15_E_NS1_11comp_targetILNS1_3genE10ELNS1_11target_archE1200ELNS1_3gpuE4ELNS1_3repE0EEENS1_30default_config_static_selectorELNS0_4arch9wavefront6targetE0EEEvT1_.uses_flat_scratch, 0
	.set _ZN7rocprim17ROCPRIM_400000_NS6detail17trampoline_kernelINS0_14default_configENS1_25partition_config_selectorILNS1_17partition_subalgoE9EiibEEZZNS1_14partition_implILS5_9ELb0ES3_jPKiN6thrust23THRUST_200600_302600_NS17counting_iteratorIiNSB_11use_defaultESD_SD_EEPNS0_10empty_typeENS0_5tupleIJPiSF_EEENSH_IJSI_SG_EEENS0_18inequality_wrapperIN6hipcub16HIPCUB_304000_NS8EqualityEEEPlJSF_EEE10hipError_tPvRmT3_T4_T5_T6_T7_T9_mT8_P12ihipStream_tbDpT10_ENKUlT_T0_E_clISt17integral_constantIbLb1EES1A_EEDaS15_S16_EUlS15_E_NS1_11comp_targetILNS1_3genE10ELNS1_11target_archE1200ELNS1_3gpuE4ELNS1_3repE0EEENS1_30default_config_static_selectorELNS0_4arch9wavefront6targetE0EEEvT1_.has_dyn_sized_stack, 0
	.set _ZN7rocprim17ROCPRIM_400000_NS6detail17trampoline_kernelINS0_14default_configENS1_25partition_config_selectorILNS1_17partition_subalgoE9EiibEEZZNS1_14partition_implILS5_9ELb0ES3_jPKiN6thrust23THRUST_200600_302600_NS17counting_iteratorIiNSB_11use_defaultESD_SD_EEPNS0_10empty_typeENS0_5tupleIJPiSF_EEENSH_IJSI_SG_EEENS0_18inequality_wrapperIN6hipcub16HIPCUB_304000_NS8EqualityEEEPlJSF_EEE10hipError_tPvRmT3_T4_T5_T6_T7_T9_mT8_P12ihipStream_tbDpT10_ENKUlT_T0_E_clISt17integral_constantIbLb1EES1A_EEDaS15_S16_EUlS15_E_NS1_11comp_targetILNS1_3genE10ELNS1_11target_archE1200ELNS1_3gpuE4ELNS1_3repE0EEENS1_30default_config_static_selectorELNS0_4arch9wavefront6targetE0EEEvT1_.has_recursion, 0
	.set _ZN7rocprim17ROCPRIM_400000_NS6detail17trampoline_kernelINS0_14default_configENS1_25partition_config_selectorILNS1_17partition_subalgoE9EiibEEZZNS1_14partition_implILS5_9ELb0ES3_jPKiN6thrust23THRUST_200600_302600_NS17counting_iteratorIiNSB_11use_defaultESD_SD_EEPNS0_10empty_typeENS0_5tupleIJPiSF_EEENSH_IJSI_SG_EEENS0_18inequality_wrapperIN6hipcub16HIPCUB_304000_NS8EqualityEEEPlJSF_EEE10hipError_tPvRmT3_T4_T5_T6_T7_T9_mT8_P12ihipStream_tbDpT10_ENKUlT_T0_E_clISt17integral_constantIbLb1EES1A_EEDaS15_S16_EUlS15_E_NS1_11comp_targetILNS1_3genE10ELNS1_11target_archE1200ELNS1_3gpuE4ELNS1_3repE0EEENS1_30default_config_static_selectorELNS0_4arch9wavefront6targetE0EEEvT1_.has_indirect_call, 0
	.section	.AMDGPU.csdata,"",@progbits
; Kernel info:
; codeLenInByte = 0
; TotalNumSgprs: 0
; NumVgprs: 0
; ScratchSize: 0
; MemoryBound: 0
; FloatMode: 240
; IeeeMode: 1
; LDSByteSize: 0 bytes/workgroup (compile time only)
; SGPRBlocks: 0
; VGPRBlocks: 0
; NumSGPRsForWavesPerEU: 1
; NumVGPRsForWavesPerEU: 1
; NamedBarCnt: 0
; Occupancy: 16
; WaveLimiterHint : 0
; COMPUTE_PGM_RSRC2:SCRATCH_EN: 0
; COMPUTE_PGM_RSRC2:USER_SGPR: 2
; COMPUTE_PGM_RSRC2:TRAP_HANDLER: 0
; COMPUTE_PGM_RSRC2:TGID_X_EN: 1
; COMPUTE_PGM_RSRC2:TGID_Y_EN: 0
; COMPUTE_PGM_RSRC2:TGID_Z_EN: 0
; COMPUTE_PGM_RSRC2:TIDIG_COMP_CNT: 0
	.section	.text._ZN7rocprim17ROCPRIM_400000_NS6detail17trampoline_kernelINS0_14default_configENS1_25partition_config_selectorILNS1_17partition_subalgoE9EiibEEZZNS1_14partition_implILS5_9ELb0ES3_jPKiN6thrust23THRUST_200600_302600_NS17counting_iteratorIiNSB_11use_defaultESD_SD_EEPNS0_10empty_typeENS0_5tupleIJPiSF_EEENSH_IJSI_SG_EEENS0_18inequality_wrapperIN6hipcub16HIPCUB_304000_NS8EqualityEEEPlJSF_EEE10hipError_tPvRmT3_T4_T5_T6_T7_T9_mT8_P12ihipStream_tbDpT10_ENKUlT_T0_E_clISt17integral_constantIbLb1EES1A_EEDaS15_S16_EUlS15_E_NS1_11comp_targetILNS1_3genE9ELNS1_11target_archE1100ELNS1_3gpuE3ELNS1_3repE0EEENS1_30default_config_static_selectorELNS0_4arch9wavefront6targetE0EEEvT1_,"axG",@progbits,_ZN7rocprim17ROCPRIM_400000_NS6detail17trampoline_kernelINS0_14default_configENS1_25partition_config_selectorILNS1_17partition_subalgoE9EiibEEZZNS1_14partition_implILS5_9ELb0ES3_jPKiN6thrust23THRUST_200600_302600_NS17counting_iteratorIiNSB_11use_defaultESD_SD_EEPNS0_10empty_typeENS0_5tupleIJPiSF_EEENSH_IJSI_SG_EEENS0_18inequality_wrapperIN6hipcub16HIPCUB_304000_NS8EqualityEEEPlJSF_EEE10hipError_tPvRmT3_T4_T5_T6_T7_T9_mT8_P12ihipStream_tbDpT10_ENKUlT_T0_E_clISt17integral_constantIbLb1EES1A_EEDaS15_S16_EUlS15_E_NS1_11comp_targetILNS1_3genE9ELNS1_11target_archE1100ELNS1_3gpuE3ELNS1_3repE0EEENS1_30default_config_static_selectorELNS0_4arch9wavefront6targetE0EEEvT1_,comdat
	.protected	_ZN7rocprim17ROCPRIM_400000_NS6detail17trampoline_kernelINS0_14default_configENS1_25partition_config_selectorILNS1_17partition_subalgoE9EiibEEZZNS1_14partition_implILS5_9ELb0ES3_jPKiN6thrust23THRUST_200600_302600_NS17counting_iteratorIiNSB_11use_defaultESD_SD_EEPNS0_10empty_typeENS0_5tupleIJPiSF_EEENSH_IJSI_SG_EEENS0_18inequality_wrapperIN6hipcub16HIPCUB_304000_NS8EqualityEEEPlJSF_EEE10hipError_tPvRmT3_T4_T5_T6_T7_T9_mT8_P12ihipStream_tbDpT10_ENKUlT_T0_E_clISt17integral_constantIbLb1EES1A_EEDaS15_S16_EUlS15_E_NS1_11comp_targetILNS1_3genE9ELNS1_11target_archE1100ELNS1_3gpuE3ELNS1_3repE0EEENS1_30default_config_static_selectorELNS0_4arch9wavefront6targetE0EEEvT1_ ; -- Begin function _ZN7rocprim17ROCPRIM_400000_NS6detail17trampoline_kernelINS0_14default_configENS1_25partition_config_selectorILNS1_17partition_subalgoE9EiibEEZZNS1_14partition_implILS5_9ELb0ES3_jPKiN6thrust23THRUST_200600_302600_NS17counting_iteratorIiNSB_11use_defaultESD_SD_EEPNS0_10empty_typeENS0_5tupleIJPiSF_EEENSH_IJSI_SG_EEENS0_18inequality_wrapperIN6hipcub16HIPCUB_304000_NS8EqualityEEEPlJSF_EEE10hipError_tPvRmT3_T4_T5_T6_T7_T9_mT8_P12ihipStream_tbDpT10_ENKUlT_T0_E_clISt17integral_constantIbLb1EES1A_EEDaS15_S16_EUlS15_E_NS1_11comp_targetILNS1_3genE9ELNS1_11target_archE1100ELNS1_3gpuE3ELNS1_3repE0EEENS1_30default_config_static_selectorELNS0_4arch9wavefront6targetE0EEEvT1_
	.globl	_ZN7rocprim17ROCPRIM_400000_NS6detail17trampoline_kernelINS0_14default_configENS1_25partition_config_selectorILNS1_17partition_subalgoE9EiibEEZZNS1_14partition_implILS5_9ELb0ES3_jPKiN6thrust23THRUST_200600_302600_NS17counting_iteratorIiNSB_11use_defaultESD_SD_EEPNS0_10empty_typeENS0_5tupleIJPiSF_EEENSH_IJSI_SG_EEENS0_18inequality_wrapperIN6hipcub16HIPCUB_304000_NS8EqualityEEEPlJSF_EEE10hipError_tPvRmT3_T4_T5_T6_T7_T9_mT8_P12ihipStream_tbDpT10_ENKUlT_T0_E_clISt17integral_constantIbLb1EES1A_EEDaS15_S16_EUlS15_E_NS1_11comp_targetILNS1_3genE9ELNS1_11target_archE1100ELNS1_3gpuE3ELNS1_3repE0EEENS1_30default_config_static_selectorELNS0_4arch9wavefront6targetE0EEEvT1_
	.p2align	8
	.type	_ZN7rocprim17ROCPRIM_400000_NS6detail17trampoline_kernelINS0_14default_configENS1_25partition_config_selectorILNS1_17partition_subalgoE9EiibEEZZNS1_14partition_implILS5_9ELb0ES3_jPKiN6thrust23THRUST_200600_302600_NS17counting_iteratorIiNSB_11use_defaultESD_SD_EEPNS0_10empty_typeENS0_5tupleIJPiSF_EEENSH_IJSI_SG_EEENS0_18inequality_wrapperIN6hipcub16HIPCUB_304000_NS8EqualityEEEPlJSF_EEE10hipError_tPvRmT3_T4_T5_T6_T7_T9_mT8_P12ihipStream_tbDpT10_ENKUlT_T0_E_clISt17integral_constantIbLb1EES1A_EEDaS15_S16_EUlS15_E_NS1_11comp_targetILNS1_3genE9ELNS1_11target_archE1100ELNS1_3gpuE3ELNS1_3repE0EEENS1_30default_config_static_selectorELNS0_4arch9wavefront6targetE0EEEvT1_,@function
_ZN7rocprim17ROCPRIM_400000_NS6detail17trampoline_kernelINS0_14default_configENS1_25partition_config_selectorILNS1_17partition_subalgoE9EiibEEZZNS1_14partition_implILS5_9ELb0ES3_jPKiN6thrust23THRUST_200600_302600_NS17counting_iteratorIiNSB_11use_defaultESD_SD_EEPNS0_10empty_typeENS0_5tupleIJPiSF_EEENSH_IJSI_SG_EEENS0_18inequality_wrapperIN6hipcub16HIPCUB_304000_NS8EqualityEEEPlJSF_EEE10hipError_tPvRmT3_T4_T5_T6_T7_T9_mT8_P12ihipStream_tbDpT10_ENKUlT_T0_E_clISt17integral_constantIbLb1EES1A_EEDaS15_S16_EUlS15_E_NS1_11comp_targetILNS1_3genE9ELNS1_11target_archE1100ELNS1_3gpuE3ELNS1_3repE0EEENS1_30default_config_static_selectorELNS0_4arch9wavefront6targetE0EEEvT1_: ; @_ZN7rocprim17ROCPRIM_400000_NS6detail17trampoline_kernelINS0_14default_configENS1_25partition_config_selectorILNS1_17partition_subalgoE9EiibEEZZNS1_14partition_implILS5_9ELb0ES3_jPKiN6thrust23THRUST_200600_302600_NS17counting_iteratorIiNSB_11use_defaultESD_SD_EEPNS0_10empty_typeENS0_5tupleIJPiSF_EEENSH_IJSI_SG_EEENS0_18inequality_wrapperIN6hipcub16HIPCUB_304000_NS8EqualityEEEPlJSF_EEE10hipError_tPvRmT3_T4_T5_T6_T7_T9_mT8_P12ihipStream_tbDpT10_ENKUlT_T0_E_clISt17integral_constantIbLb1EES1A_EEDaS15_S16_EUlS15_E_NS1_11comp_targetILNS1_3genE9ELNS1_11target_archE1100ELNS1_3gpuE3ELNS1_3repE0EEENS1_30default_config_static_selectorELNS0_4arch9wavefront6targetE0EEEvT1_
; %bb.0:
	.section	.rodata,"a",@progbits
	.p2align	6, 0x0
	.amdhsa_kernel _ZN7rocprim17ROCPRIM_400000_NS6detail17trampoline_kernelINS0_14default_configENS1_25partition_config_selectorILNS1_17partition_subalgoE9EiibEEZZNS1_14partition_implILS5_9ELb0ES3_jPKiN6thrust23THRUST_200600_302600_NS17counting_iteratorIiNSB_11use_defaultESD_SD_EEPNS0_10empty_typeENS0_5tupleIJPiSF_EEENSH_IJSI_SG_EEENS0_18inequality_wrapperIN6hipcub16HIPCUB_304000_NS8EqualityEEEPlJSF_EEE10hipError_tPvRmT3_T4_T5_T6_T7_T9_mT8_P12ihipStream_tbDpT10_ENKUlT_T0_E_clISt17integral_constantIbLb1EES1A_EEDaS15_S16_EUlS15_E_NS1_11comp_targetILNS1_3genE9ELNS1_11target_archE1100ELNS1_3gpuE3ELNS1_3repE0EEENS1_30default_config_static_selectorELNS0_4arch9wavefront6targetE0EEEvT1_
		.amdhsa_group_segment_fixed_size 0
		.amdhsa_private_segment_fixed_size 0
		.amdhsa_kernarg_size 128
		.amdhsa_user_sgpr_count 2
		.amdhsa_user_sgpr_dispatch_ptr 0
		.amdhsa_user_sgpr_queue_ptr 0
		.amdhsa_user_sgpr_kernarg_segment_ptr 1
		.amdhsa_user_sgpr_dispatch_id 0
		.amdhsa_user_sgpr_kernarg_preload_length 0
		.amdhsa_user_sgpr_kernarg_preload_offset 0
		.amdhsa_user_sgpr_private_segment_size 0
		.amdhsa_wavefront_size32 1
		.amdhsa_uses_dynamic_stack 0
		.amdhsa_enable_private_segment 0
		.amdhsa_system_sgpr_workgroup_id_x 1
		.amdhsa_system_sgpr_workgroup_id_y 0
		.amdhsa_system_sgpr_workgroup_id_z 0
		.amdhsa_system_sgpr_workgroup_info 0
		.amdhsa_system_vgpr_workitem_id 0
		.amdhsa_next_free_vgpr 1
		.amdhsa_next_free_sgpr 1
		.amdhsa_named_barrier_count 0
		.amdhsa_reserve_vcc 0
		.amdhsa_float_round_mode_32 0
		.amdhsa_float_round_mode_16_64 0
		.amdhsa_float_denorm_mode_32 3
		.amdhsa_float_denorm_mode_16_64 3
		.amdhsa_fp16_overflow 0
		.amdhsa_memory_ordered 1
		.amdhsa_forward_progress 1
		.amdhsa_inst_pref_size 0
		.amdhsa_round_robin_scheduling 0
		.amdhsa_exception_fp_ieee_invalid_op 0
		.amdhsa_exception_fp_denorm_src 0
		.amdhsa_exception_fp_ieee_div_zero 0
		.amdhsa_exception_fp_ieee_overflow 0
		.amdhsa_exception_fp_ieee_underflow 0
		.amdhsa_exception_fp_ieee_inexact 0
		.amdhsa_exception_int_div_zero 0
	.end_amdhsa_kernel
	.section	.text._ZN7rocprim17ROCPRIM_400000_NS6detail17trampoline_kernelINS0_14default_configENS1_25partition_config_selectorILNS1_17partition_subalgoE9EiibEEZZNS1_14partition_implILS5_9ELb0ES3_jPKiN6thrust23THRUST_200600_302600_NS17counting_iteratorIiNSB_11use_defaultESD_SD_EEPNS0_10empty_typeENS0_5tupleIJPiSF_EEENSH_IJSI_SG_EEENS0_18inequality_wrapperIN6hipcub16HIPCUB_304000_NS8EqualityEEEPlJSF_EEE10hipError_tPvRmT3_T4_T5_T6_T7_T9_mT8_P12ihipStream_tbDpT10_ENKUlT_T0_E_clISt17integral_constantIbLb1EES1A_EEDaS15_S16_EUlS15_E_NS1_11comp_targetILNS1_3genE9ELNS1_11target_archE1100ELNS1_3gpuE3ELNS1_3repE0EEENS1_30default_config_static_selectorELNS0_4arch9wavefront6targetE0EEEvT1_,"axG",@progbits,_ZN7rocprim17ROCPRIM_400000_NS6detail17trampoline_kernelINS0_14default_configENS1_25partition_config_selectorILNS1_17partition_subalgoE9EiibEEZZNS1_14partition_implILS5_9ELb0ES3_jPKiN6thrust23THRUST_200600_302600_NS17counting_iteratorIiNSB_11use_defaultESD_SD_EEPNS0_10empty_typeENS0_5tupleIJPiSF_EEENSH_IJSI_SG_EEENS0_18inequality_wrapperIN6hipcub16HIPCUB_304000_NS8EqualityEEEPlJSF_EEE10hipError_tPvRmT3_T4_T5_T6_T7_T9_mT8_P12ihipStream_tbDpT10_ENKUlT_T0_E_clISt17integral_constantIbLb1EES1A_EEDaS15_S16_EUlS15_E_NS1_11comp_targetILNS1_3genE9ELNS1_11target_archE1100ELNS1_3gpuE3ELNS1_3repE0EEENS1_30default_config_static_selectorELNS0_4arch9wavefront6targetE0EEEvT1_,comdat
.Lfunc_end24:
	.size	_ZN7rocprim17ROCPRIM_400000_NS6detail17trampoline_kernelINS0_14default_configENS1_25partition_config_selectorILNS1_17partition_subalgoE9EiibEEZZNS1_14partition_implILS5_9ELb0ES3_jPKiN6thrust23THRUST_200600_302600_NS17counting_iteratorIiNSB_11use_defaultESD_SD_EEPNS0_10empty_typeENS0_5tupleIJPiSF_EEENSH_IJSI_SG_EEENS0_18inequality_wrapperIN6hipcub16HIPCUB_304000_NS8EqualityEEEPlJSF_EEE10hipError_tPvRmT3_T4_T5_T6_T7_T9_mT8_P12ihipStream_tbDpT10_ENKUlT_T0_E_clISt17integral_constantIbLb1EES1A_EEDaS15_S16_EUlS15_E_NS1_11comp_targetILNS1_3genE9ELNS1_11target_archE1100ELNS1_3gpuE3ELNS1_3repE0EEENS1_30default_config_static_selectorELNS0_4arch9wavefront6targetE0EEEvT1_, .Lfunc_end24-_ZN7rocprim17ROCPRIM_400000_NS6detail17trampoline_kernelINS0_14default_configENS1_25partition_config_selectorILNS1_17partition_subalgoE9EiibEEZZNS1_14partition_implILS5_9ELb0ES3_jPKiN6thrust23THRUST_200600_302600_NS17counting_iteratorIiNSB_11use_defaultESD_SD_EEPNS0_10empty_typeENS0_5tupleIJPiSF_EEENSH_IJSI_SG_EEENS0_18inequality_wrapperIN6hipcub16HIPCUB_304000_NS8EqualityEEEPlJSF_EEE10hipError_tPvRmT3_T4_T5_T6_T7_T9_mT8_P12ihipStream_tbDpT10_ENKUlT_T0_E_clISt17integral_constantIbLb1EES1A_EEDaS15_S16_EUlS15_E_NS1_11comp_targetILNS1_3genE9ELNS1_11target_archE1100ELNS1_3gpuE3ELNS1_3repE0EEENS1_30default_config_static_selectorELNS0_4arch9wavefront6targetE0EEEvT1_
                                        ; -- End function
	.set _ZN7rocprim17ROCPRIM_400000_NS6detail17trampoline_kernelINS0_14default_configENS1_25partition_config_selectorILNS1_17partition_subalgoE9EiibEEZZNS1_14partition_implILS5_9ELb0ES3_jPKiN6thrust23THRUST_200600_302600_NS17counting_iteratorIiNSB_11use_defaultESD_SD_EEPNS0_10empty_typeENS0_5tupleIJPiSF_EEENSH_IJSI_SG_EEENS0_18inequality_wrapperIN6hipcub16HIPCUB_304000_NS8EqualityEEEPlJSF_EEE10hipError_tPvRmT3_T4_T5_T6_T7_T9_mT8_P12ihipStream_tbDpT10_ENKUlT_T0_E_clISt17integral_constantIbLb1EES1A_EEDaS15_S16_EUlS15_E_NS1_11comp_targetILNS1_3genE9ELNS1_11target_archE1100ELNS1_3gpuE3ELNS1_3repE0EEENS1_30default_config_static_selectorELNS0_4arch9wavefront6targetE0EEEvT1_.num_vgpr, 0
	.set _ZN7rocprim17ROCPRIM_400000_NS6detail17trampoline_kernelINS0_14default_configENS1_25partition_config_selectorILNS1_17partition_subalgoE9EiibEEZZNS1_14partition_implILS5_9ELb0ES3_jPKiN6thrust23THRUST_200600_302600_NS17counting_iteratorIiNSB_11use_defaultESD_SD_EEPNS0_10empty_typeENS0_5tupleIJPiSF_EEENSH_IJSI_SG_EEENS0_18inequality_wrapperIN6hipcub16HIPCUB_304000_NS8EqualityEEEPlJSF_EEE10hipError_tPvRmT3_T4_T5_T6_T7_T9_mT8_P12ihipStream_tbDpT10_ENKUlT_T0_E_clISt17integral_constantIbLb1EES1A_EEDaS15_S16_EUlS15_E_NS1_11comp_targetILNS1_3genE9ELNS1_11target_archE1100ELNS1_3gpuE3ELNS1_3repE0EEENS1_30default_config_static_selectorELNS0_4arch9wavefront6targetE0EEEvT1_.num_agpr, 0
	.set _ZN7rocprim17ROCPRIM_400000_NS6detail17trampoline_kernelINS0_14default_configENS1_25partition_config_selectorILNS1_17partition_subalgoE9EiibEEZZNS1_14partition_implILS5_9ELb0ES3_jPKiN6thrust23THRUST_200600_302600_NS17counting_iteratorIiNSB_11use_defaultESD_SD_EEPNS0_10empty_typeENS0_5tupleIJPiSF_EEENSH_IJSI_SG_EEENS0_18inequality_wrapperIN6hipcub16HIPCUB_304000_NS8EqualityEEEPlJSF_EEE10hipError_tPvRmT3_T4_T5_T6_T7_T9_mT8_P12ihipStream_tbDpT10_ENKUlT_T0_E_clISt17integral_constantIbLb1EES1A_EEDaS15_S16_EUlS15_E_NS1_11comp_targetILNS1_3genE9ELNS1_11target_archE1100ELNS1_3gpuE3ELNS1_3repE0EEENS1_30default_config_static_selectorELNS0_4arch9wavefront6targetE0EEEvT1_.numbered_sgpr, 0
	.set _ZN7rocprim17ROCPRIM_400000_NS6detail17trampoline_kernelINS0_14default_configENS1_25partition_config_selectorILNS1_17partition_subalgoE9EiibEEZZNS1_14partition_implILS5_9ELb0ES3_jPKiN6thrust23THRUST_200600_302600_NS17counting_iteratorIiNSB_11use_defaultESD_SD_EEPNS0_10empty_typeENS0_5tupleIJPiSF_EEENSH_IJSI_SG_EEENS0_18inequality_wrapperIN6hipcub16HIPCUB_304000_NS8EqualityEEEPlJSF_EEE10hipError_tPvRmT3_T4_T5_T6_T7_T9_mT8_P12ihipStream_tbDpT10_ENKUlT_T0_E_clISt17integral_constantIbLb1EES1A_EEDaS15_S16_EUlS15_E_NS1_11comp_targetILNS1_3genE9ELNS1_11target_archE1100ELNS1_3gpuE3ELNS1_3repE0EEENS1_30default_config_static_selectorELNS0_4arch9wavefront6targetE0EEEvT1_.num_named_barrier, 0
	.set _ZN7rocprim17ROCPRIM_400000_NS6detail17trampoline_kernelINS0_14default_configENS1_25partition_config_selectorILNS1_17partition_subalgoE9EiibEEZZNS1_14partition_implILS5_9ELb0ES3_jPKiN6thrust23THRUST_200600_302600_NS17counting_iteratorIiNSB_11use_defaultESD_SD_EEPNS0_10empty_typeENS0_5tupleIJPiSF_EEENSH_IJSI_SG_EEENS0_18inequality_wrapperIN6hipcub16HIPCUB_304000_NS8EqualityEEEPlJSF_EEE10hipError_tPvRmT3_T4_T5_T6_T7_T9_mT8_P12ihipStream_tbDpT10_ENKUlT_T0_E_clISt17integral_constantIbLb1EES1A_EEDaS15_S16_EUlS15_E_NS1_11comp_targetILNS1_3genE9ELNS1_11target_archE1100ELNS1_3gpuE3ELNS1_3repE0EEENS1_30default_config_static_selectorELNS0_4arch9wavefront6targetE0EEEvT1_.private_seg_size, 0
	.set _ZN7rocprim17ROCPRIM_400000_NS6detail17trampoline_kernelINS0_14default_configENS1_25partition_config_selectorILNS1_17partition_subalgoE9EiibEEZZNS1_14partition_implILS5_9ELb0ES3_jPKiN6thrust23THRUST_200600_302600_NS17counting_iteratorIiNSB_11use_defaultESD_SD_EEPNS0_10empty_typeENS0_5tupleIJPiSF_EEENSH_IJSI_SG_EEENS0_18inequality_wrapperIN6hipcub16HIPCUB_304000_NS8EqualityEEEPlJSF_EEE10hipError_tPvRmT3_T4_T5_T6_T7_T9_mT8_P12ihipStream_tbDpT10_ENKUlT_T0_E_clISt17integral_constantIbLb1EES1A_EEDaS15_S16_EUlS15_E_NS1_11comp_targetILNS1_3genE9ELNS1_11target_archE1100ELNS1_3gpuE3ELNS1_3repE0EEENS1_30default_config_static_selectorELNS0_4arch9wavefront6targetE0EEEvT1_.uses_vcc, 0
	.set _ZN7rocprim17ROCPRIM_400000_NS6detail17trampoline_kernelINS0_14default_configENS1_25partition_config_selectorILNS1_17partition_subalgoE9EiibEEZZNS1_14partition_implILS5_9ELb0ES3_jPKiN6thrust23THRUST_200600_302600_NS17counting_iteratorIiNSB_11use_defaultESD_SD_EEPNS0_10empty_typeENS0_5tupleIJPiSF_EEENSH_IJSI_SG_EEENS0_18inequality_wrapperIN6hipcub16HIPCUB_304000_NS8EqualityEEEPlJSF_EEE10hipError_tPvRmT3_T4_T5_T6_T7_T9_mT8_P12ihipStream_tbDpT10_ENKUlT_T0_E_clISt17integral_constantIbLb1EES1A_EEDaS15_S16_EUlS15_E_NS1_11comp_targetILNS1_3genE9ELNS1_11target_archE1100ELNS1_3gpuE3ELNS1_3repE0EEENS1_30default_config_static_selectorELNS0_4arch9wavefront6targetE0EEEvT1_.uses_flat_scratch, 0
	.set _ZN7rocprim17ROCPRIM_400000_NS6detail17trampoline_kernelINS0_14default_configENS1_25partition_config_selectorILNS1_17partition_subalgoE9EiibEEZZNS1_14partition_implILS5_9ELb0ES3_jPKiN6thrust23THRUST_200600_302600_NS17counting_iteratorIiNSB_11use_defaultESD_SD_EEPNS0_10empty_typeENS0_5tupleIJPiSF_EEENSH_IJSI_SG_EEENS0_18inequality_wrapperIN6hipcub16HIPCUB_304000_NS8EqualityEEEPlJSF_EEE10hipError_tPvRmT3_T4_T5_T6_T7_T9_mT8_P12ihipStream_tbDpT10_ENKUlT_T0_E_clISt17integral_constantIbLb1EES1A_EEDaS15_S16_EUlS15_E_NS1_11comp_targetILNS1_3genE9ELNS1_11target_archE1100ELNS1_3gpuE3ELNS1_3repE0EEENS1_30default_config_static_selectorELNS0_4arch9wavefront6targetE0EEEvT1_.has_dyn_sized_stack, 0
	.set _ZN7rocprim17ROCPRIM_400000_NS6detail17trampoline_kernelINS0_14default_configENS1_25partition_config_selectorILNS1_17partition_subalgoE9EiibEEZZNS1_14partition_implILS5_9ELb0ES3_jPKiN6thrust23THRUST_200600_302600_NS17counting_iteratorIiNSB_11use_defaultESD_SD_EEPNS0_10empty_typeENS0_5tupleIJPiSF_EEENSH_IJSI_SG_EEENS0_18inequality_wrapperIN6hipcub16HIPCUB_304000_NS8EqualityEEEPlJSF_EEE10hipError_tPvRmT3_T4_T5_T6_T7_T9_mT8_P12ihipStream_tbDpT10_ENKUlT_T0_E_clISt17integral_constantIbLb1EES1A_EEDaS15_S16_EUlS15_E_NS1_11comp_targetILNS1_3genE9ELNS1_11target_archE1100ELNS1_3gpuE3ELNS1_3repE0EEENS1_30default_config_static_selectorELNS0_4arch9wavefront6targetE0EEEvT1_.has_recursion, 0
	.set _ZN7rocprim17ROCPRIM_400000_NS6detail17trampoline_kernelINS0_14default_configENS1_25partition_config_selectorILNS1_17partition_subalgoE9EiibEEZZNS1_14partition_implILS5_9ELb0ES3_jPKiN6thrust23THRUST_200600_302600_NS17counting_iteratorIiNSB_11use_defaultESD_SD_EEPNS0_10empty_typeENS0_5tupleIJPiSF_EEENSH_IJSI_SG_EEENS0_18inequality_wrapperIN6hipcub16HIPCUB_304000_NS8EqualityEEEPlJSF_EEE10hipError_tPvRmT3_T4_T5_T6_T7_T9_mT8_P12ihipStream_tbDpT10_ENKUlT_T0_E_clISt17integral_constantIbLb1EES1A_EEDaS15_S16_EUlS15_E_NS1_11comp_targetILNS1_3genE9ELNS1_11target_archE1100ELNS1_3gpuE3ELNS1_3repE0EEENS1_30default_config_static_selectorELNS0_4arch9wavefront6targetE0EEEvT1_.has_indirect_call, 0
	.section	.AMDGPU.csdata,"",@progbits
; Kernel info:
; codeLenInByte = 0
; TotalNumSgprs: 0
; NumVgprs: 0
; ScratchSize: 0
; MemoryBound: 0
; FloatMode: 240
; IeeeMode: 1
; LDSByteSize: 0 bytes/workgroup (compile time only)
; SGPRBlocks: 0
; VGPRBlocks: 0
; NumSGPRsForWavesPerEU: 1
; NumVGPRsForWavesPerEU: 1
; NamedBarCnt: 0
; Occupancy: 16
; WaveLimiterHint : 0
; COMPUTE_PGM_RSRC2:SCRATCH_EN: 0
; COMPUTE_PGM_RSRC2:USER_SGPR: 2
; COMPUTE_PGM_RSRC2:TRAP_HANDLER: 0
; COMPUTE_PGM_RSRC2:TGID_X_EN: 1
; COMPUTE_PGM_RSRC2:TGID_Y_EN: 0
; COMPUTE_PGM_RSRC2:TGID_Z_EN: 0
; COMPUTE_PGM_RSRC2:TIDIG_COMP_CNT: 0
	.section	.text._ZN7rocprim17ROCPRIM_400000_NS6detail17trampoline_kernelINS0_14default_configENS1_25partition_config_selectorILNS1_17partition_subalgoE9EiibEEZZNS1_14partition_implILS5_9ELb0ES3_jPKiN6thrust23THRUST_200600_302600_NS17counting_iteratorIiNSB_11use_defaultESD_SD_EEPNS0_10empty_typeENS0_5tupleIJPiSF_EEENSH_IJSI_SG_EEENS0_18inequality_wrapperIN6hipcub16HIPCUB_304000_NS8EqualityEEEPlJSF_EEE10hipError_tPvRmT3_T4_T5_T6_T7_T9_mT8_P12ihipStream_tbDpT10_ENKUlT_T0_E_clISt17integral_constantIbLb1EES1A_EEDaS15_S16_EUlS15_E_NS1_11comp_targetILNS1_3genE8ELNS1_11target_archE1030ELNS1_3gpuE2ELNS1_3repE0EEENS1_30default_config_static_selectorELNS0_4arch9wavefront6targetE0EEEvT1_,"axG",@progbits,_ZN7rocprim17ROCPRIM_400000_NS6detail17trampoline_kernelINS0_14default_configENS1_25partition_config_selectorILNS1_17partition_subalgoE9EiibEEZZNS1_14partition_implILS5_9ELb0ES3_jPKiN6thrust23THRUST_200600_302600_NS17counting_iteratorIiNSB_11use_defaultESD_SD_EEPNS0_10empty_typeENS0_5tupleIJPiSF_EEENSH_IJSI_SG_EEENS0_18inequality_wrapperIN6hipcub16HIPCUB_304000_NS8EqualityEEEPlJSF_EEE10hipError_tPvRmT3_T4_T5_T6_T7_T9_mT8_P12ihipStream_tbDpT10_ENKUlT_T0_E_clISt17integral_constantIbLb1EES1A_EEDaS15_S16_EUlS15_E_NS1_11comp_targetILNS1_3genE8ELNS1_11target_archE1030ELNS1_3gpuE2ELNS1_3repE0EEENS1_30default_config_static_selectorELNS0_4arch9wavefront6targetE0EEEvT1_,comdat
	.protected	_ZN7rocprim17ROCPRIM_400000_NS6detail17trampoline_kernelINS0_14default_configENS1_25partition_config_selectorILNS1_17partition_subalgoE9EiibEEZZNS1_14partition_implILS5_9ELb0ES3_jPKiN6thrust23THRUST_200600_302600_NS17counting_iteratorIiNSB_11use_defaultESD_SD_EEPNS0_10empty_typeENS0_5tupleIJPiSF_EEENSH_IJSI_SG_EEENS0_18inequality_wrapperIN6hipcub16HIPCUB_304000_NS8EqualityEEEPlJSF_EEE10hipError_tPvRmT3_T4_T5_T6_T7_T9_mT8_P12ihipStream_tbDpT10_ENKUlT_T0_E_clISt17integral_constantIbLb1EES1A_EEDaS15_S16_EUlS15_E_NS1_11comp_targetILNS1_3genE8ELNS1_11target_archE1030ELNS1_3gpuE2ELNS1_3repE0EEENS1_30default_config_static_selectorELNS0_4arch9wavefront6targetE0EEEvT1_ ; -- Begin function _ZN7rocprim17ROCPRIM_400000_NS6detail17trampoline_kernelINS0_14default_configENS1_25partition_config_selectorILNS1_17partition_subalgoE9EiibEEZZNS1_14partition_implILS5_9ELb0ES3_jPKiN6thrust23THRUST_200600_302600_NS17counting_iteratorIiNSB_11use_defaultESD_SD_EEPNS0_10empty_typeENS0_5tupleIJPiSF_EEENSH_IJSI_SG_EEENS0_18inequality_wrapperIN6hipcub16HIPCUB_304000_NS8EqualityEEEPlJSF_EEE10hipError_tPvRmT3_T4_T5_T6_T7_T9_mT8_P12ihipStream_tbDpT10_ENKUlT_T0_E_clISt17integral_constantIbLb1EES1A_EEDaS15_S16_EUlS15_E_NS1_11comp_targetILNS1_3genE8ELNS1_11target_archE1030ELNS1_3gpuE2ELNS1_3repE0EEENS1_30default_config_static_selectorELNS0_4arch9wavefront6targetE0EEEvT1_
	.globl	_ZN7rocprim17ROCPRIM_400000_NS6detail17trampoline_kernelINS0_14default_configENS1_25partition_config_selectorILNS1_17partition_subalgoE9EiibEEZZNS1_14partition_implILS5_9ELb0ES3_jPKiN6thrust23THRUST_200600_302600_NS17counting_iteratorIiNSB_11use_defaultESD_SD_EEPNS0_10empty_typeENS0_5tupleIJPiSF_EEENSH_IJSI_SG_EEENS0_18inequality_wrapperIN6hipcub16HIPCUB_304000_NS8EqualityEEEPlJSF_EEE10hipError_tPvRmT3_T4_T5_T6_T7_T9_mT8_P12ihipStream_tbDpT10_ENKUlT_T0_E_clISt17integral_constantIbLb1EES1A_EEDaS15_S16_EUlS15_E_NS1_11comp_targetILNS1_3genE8ELNS1_11target_archE1030ELNS1_3gpuE2ELNS1_3repE0EEENS1_30default_config_static_selectorELNS0_4arch9wavefront6targetE0EEEvT1_
	.p2align	8
	.type	_ZN7rocprim17ROCPRIM_400000_NS6detail17trampoline_kernelINS0_14default_configENS1_25partition_config_selectorILNS1_17partition_subalgoE9EiibEEZZNS1_14partition_implILS5_9ELb0ES3_jPKiN6thrust23THRUST_200600_302600_NS17counting_iteratorIiNSB_11use_defaultESD_SD_EEPNS0_10empty_typeENS0_5tupleIJPiSF_EEENSH_IJSI_SG_EEENS0_18inequality_wrapperIN6hipcub16HIPCUB_304000_NS8EqualityEEEPlJSF_EEE10hipError_tPvRmT3_T4_T5_T6_T7_T9_mT8_P12ihipStream_tbDpT10_ENKUlT_T0_E_clISt17integral_constantIbLb1EES1A_EEDaS15_S16_EUlS15_E_NS1_11comp_targetILNS1_3genE8ELNS1_11target_archE1030ELNS1_3gpuE2ELNS1_3repE0EEENS1_30default_config_static_selectorELNS0_4arch9wavefront6targetE0EEEvT1_,@function
_ZN7rocprim17ROCPRIM_400000_NS6detail17trampoline_kernelINS0_14default_configENS1_25partition_config_selectorILNS1_17partition_subalgoE9EiibEEZZNS1_14partition_implILS5_9ELb0ES3_jPKiN6thrust23THRUST_200600_302600_NS17counting_iteratorIiNSB_11use_defaultESD_SD_EEPNS0_10empty_typeENS0_5tupleIJPiSF_EEENSH_IJSI_SG_EEENS0_18inequality_wrapperIN6hipcub16HIPCUB_304000_NS8EqualityEEEPlJSF_EEE10hipError_tPvRmT3_T4_T5_T6_T7_T9_mT8_P12ihipStream_tbDpT10_ENKUlT_T0_E_clISt17integral_constantIbLb1EES1A_EEDaS15_S16_EUlS15_E_NS1_11comp_targetILNS1_3genE8ELNS1_11target_archE1030ELNS1_3gpuE2ELNS1_3repE0EEENS1_30default_config_static_selectorELNS0_4arch9wavefront6targetE0EEEvT1_: ; @_ZN7rocprim17ROCPRIM_400000_NS6detail17trampoline_kernelINS0_14default_configENS1_25partition_config_selectorILNS1_17partition_subalgoE9EiibEEZZNS1_14partition_implILS5_9ELb0ES3_jPKiN6thrust23THRUST_200600_302600_NS17counting_iteratorIiNSB_11use_defaultESD_SD_EEPNS0_10empty_typeENS0_5tupleIJPiSF_EEENSH_IJSI_SG_EEENS0_18inequality_wrapperIN6hipcub16HIPCUB_304000_NS8EqualityEEEPlJSF_EEE10hipError_tPvRmT3_T4_T5_T6_T7_T9_mT8_P12ihipStream_tbDpT10_ENKUlT_T0_E_clISt17integral_constantIbLb1EES1A_EEDaS15_S16_EUlS15_E_NS1_11comp_targetILNS1_3genE8ELNS1_11target_archE1030ELNS1_3gpuE2ELNS1_3repE0EEENS1_30default_config_static_selectorELNS0_4arch9wavefront6targetE0EEEvT1_
; %bb.0:
	.section	.rodata,"a",@progbits
	.p2align	6, 0x0
	.amdhsa_kernel _ZN7rocprim17ROCPRIM_400000_NS6detail17trampoline_kernelINS0_14default_configENS1_25partition_config_selectorILNS1_17partition_subalgoE9EiibEEZZNS1_14partition_implILS5_9ELb0ES3_jPKiN6thrust23THRUST_200600_302600_NS17counting_iteratorIiNSB_11use_defaultESD_SD_EEPNS0_10empty_typeENS0_5tupleIJPiSF_EEENSH_IJSI_SG_EEENS0_18inequality_wrapperIN6hipcub16HIPCUB_304000_NS8EqualityEEEPlJSF_EEE10hipError_tPvRmT3_T4_T5_T6_T7_T9_mT8_P12ihipStream_tbDpT10_ENKUlT_T0_E_clISt17integral_constantIbLb1EES1A_EEDaS15_S16_EUlS15_E_NS1_11comp_targetILNS1_3genE8ELNS1_11target_archE1030ELNS1_3gpuE2ELNS1_3repE0EEENS1_30default_config_static_selectorELNS0_4arch9wavefront6targetE0EEEvT1_
		.amdhsa_group_segment_fixed_size 0
		.amdhsa_private_segment_fixed_size 0
		.amdhsa_kernarg_size 128
		.amdhsa_user_sgpr_count 2
		.amdhsa_user_sgpr_dispatch_ptr 0
		.amdhsa_user_sgpr_queue_ptr 0
		.amdhsa_user_sgpr_kernarg_segment_ptr 1
		.amdhsa_user_sgpr_dispatch_id 0
		.amdhsa_user_sgpr_kernarg_preload_length 0
		.amdhsa_user_sgpr_kernarg_preload_offset 0
		.amdhsa_user_sgpr_private_segment_size 0
		.amdhsa_wavefront_size32 1
		.amdhsa_uses_dynamic_stack 0
		.amdhsa_enable_private_segment 0
		.amdhsa_system_sgpr_workgroup_id_x 1
		.amdhsa_system_sgpr_workgroup_id_y 0
		.amdhsa_system_sgpr_workgroup_id_z 0
		.amdhsa_system_sgpr_workgroup_info 0
		.amdhsa_system_vgpr_workitem_id 0
		.amdhsa_next_free_vgpr 1
		.amdhsa_next_free_sgpr 1
		.amdhsa_named_barrier_count 0
		.amdhsa_reserve_vcc 0
		.amdhsa_float_round_mode_32 0
		.amdhsa_float_round_mode_16_64 0
		.amdhsa_float_denorm_mode_32 3
		.amdhsa_float_denorm_mode_16_64 3
		.amdhsa_fp16_overflow 0
		.amdhsa_memory_ordered 1
		.amdhsa_forward_progress 1
		.amdhsa_inst_pref_size 0
		.amdhsa_round_robin_scheduling 0
		.amdhsa_exception_fp_ieee_invalid_op 0
		.amdhsa_exception_fp_denorm_src 0
		.amdhsa_exception_fp_ieee_div_zero 0
		.amdhsa_exception_fp_ieee_overflow 0
		.amdhsa_exception_fp_ieee_underflow 0
		.amdhsa_exception_fp_ieee_inexact 0
		.amdhsa_exception_int_div_zero 0
	.end_amdhsa_kernel
	.section	.text._ZN7rocprim17ROCPRIM_400000_NS6detail17trampoline_kernelINS0_14default_configENS1_25partition_config_selectorILNS1_17partition_subalgoE9EiibEEZZNS1_14partition_implILS5_9ELb0ES3_jPKiN6thrust23THRUST_200600_302600_NS17counting_iteratorIiNSB_11use_defaultESD_SD_EEPNS0_10empty_typeENS0_5tupleIJPiSF_EEENSH_IJSI_SG_EEENS0_18inequality_wrapperIN6hipcub16HIPCUB_304000_NS8EqualityEEEPlJSF_EEE10hipError_tPvRmT3_T4_T5_T6_T7_T9_mT8_P12ihipStream_tbDpT10_ENKUlT_T0_E_clISt17integral_constantIbLb1EES1A_EEDaS15_S16_EUlS15_E_NS1_11comp_targetILNS1_3genE8ELNS1_11target_archE1030ELNS1_3gpuE2ELNS1_3repE0EEENS1_30default_config_static_selectorELNS0_4arch9wavefront6targetE0EEEvT1_,"axG",@progbits,_ZN7rocprim17ROCPRIM_400000_NS6detail17trampoline_kernelINS0_14default_configENS1_25partition_config_selectorILNS1_17partition_subalgoE9EiibEEZZNS1_14partition_implILS5_9ELb0ES3_jPKiN6thrust23THRUST_200600_302600_NS17counting_iteratorIiNSB_11use_defaultESD_SD_EEPNS0_10empty_typeENS0_5tupleIJPiSF_EEENSH_IJSI_SG_EEENS0_18inequality_wrapperIN6hipcub16HIPCUB_304000_NS8EqualityEEEPlJSF_EEE10hipError_tPvRmT3_T4_T5_T6_T7_T9_mT8_P12ihipStream_tbDpT10_ENKUlT_T0_E_clISt17integral_constantIbLb1EES1A_EEDaS15_S16_EUlS15_E_NS1_11comp_targetILNS1_3genE8ELNS1_11target_archE1030ELNS1_3gpuE2ELNS1_3repE0EEENS1_30default_config_static_selectorELNS0_4arch9wavefront6targetE0EEEvT1_,comdat
.Lfunc_end25:
	.size	_ZN7rocprim17ROCPRIM_400000_NS6detail17trampoline_kernelINS0_14default_configENS1_25partition_config_selectorILNS1_17partition_subalgoE9EiibEEZZNS1_14partition_implILS5_9ELb0ES3_jPKiN6thrust23THRUST_200600_302600_NS17counting_iteratorIiNSB_11use_defaultESD_SD_EEPNS0_10empty_typeENS0_5tupleIJPiSF_EEENSH_IJSI_SG_EEENS0_18inequality_wrapperIN6hipcub16HIPCUB_304000_NS8EqualityEEEPlJSF_EEE10hipError_tPvRmT3_T4_T5_T6_T7_T9_mT8_P12ihipStream_tbDpT10_ENKUlT_T0_E_clISt17integral_constantIbLb1EES1A_EEDaS15_S16_EUlS15_E_NS1_11comp_targetILNS1_3genE8ELNS1_11target_archE1030ELNS1_3gpuE2ELNS1_3repE0EEENS1_30default_config_static_selectorELNS0_4arch9wavefront6targetE0EEEvT1_, .Lfunc_end25-_ZN7rocprim17ROCPRIM_400000_NS6detail17trampoline_kernelINS0_14default_configENS1_25partition_config_selectorILNS1_17partition_subalgoE9EiibEEZZNS1_14partition_implILS5_9ELb0ES3_jPKiN6thrust23THRUST_200600_302600_NS17counting_iteratorIiNSB_11use_defaultESD_SD_EEPNS0_10empty_typeENS0_5tupleIJPiSF_EEENSH_IJSI_SG_EEENS0_18inequality_wrapperIN6hipcub16HIPCUB_304000_NS8EqualityEEEPlJSF_EEE10hipError_tPvRmT3_T4_T5_T6_T7_T9_mT8_P12ihipStream_tbDpT10_ENKUlT_T0_E_clISt17integral_constantIbLb1EES1A_EEDaS15_S16_EUlS15_E_NS1_11comp_targetILNS1_3genE8ELNS1_11target_archE1030ELNS1_3gpuE2ELNS1_3repE0EEENS1_30default_config_static_selectorELNS0_4arch9wavefront6targetE0EEEvT1_
                                        ; -- End function
	.set _ZN7rocprim17ROCPRIM_400000_NS6detail17trampoline_kernelINS0_14default_configENS1_25partition_config_selectorILNS1_17partition_subalgoE9EiibEEZZNS1_14partition_implILS5_9ELb0ES3_jPKiN6thrust23THRUST_200600_302600_NS17counting_iteratorIiNSB_11use_defaultESD_SD_EEPNS0_10empty_typeENS0_5tupleIJPiSF_EEENSH_IJSI_SG_EEENS0_18inequality_wrapperIN6hipcub16HIPCUB_304000_NS8EqualityEEEPlJSF_EEE10hipError_tPvRmT3_T4_T5_T6_T7_T9_mT8_P12ihipStream_tbDpT10_ENKUlT_T0_E_clISt17integral_constantIbLb1EES1A_EEDaS15_S16_EUlS15_E_NS1_11comp_targetILNS1_3genE8ELNS1_11target_archE1030ELNS1_3gpuE2ELNS1_3repE0EEENS1_30default_config_static_selectorELNS0_4arch9wavefront6targetE0EEEvT1_.num_vgpr, 0
	.set _ZN7rocprim17ROCPRIM_400000_NS6detail17trampoline_kernelINS0_14default_configENS1_25partition_config_selectorILNS1_17partition_subalgoE9EiibEEZZNS1_14partition_implILS5_9ELb0ES3_jPKiN6thrust23THRUST_200600_302600_NS17counting_iteratorIiNSB_11use_defaultESD_SD_EEPNS0_10empty_typeENS0_5tupleIJPiSF_EEENSH_IJSI_SG_EEENS0_18inequality_wrapperIN6hipcub16HIPCUB_304000_NS8EqualityEEEPlJSF_EEE10hipError_tPvRmT3_T4_T5_T6_T7_T9_mT8_P12ihipStream_tbDpT10_ENKUlT_T0_E_clISt17integral_constantIbLb1EES1A_EEDaS15_S16_EUlS15_E_NS1_11comp_targetILNS1_3genE8ELNS1_11target_archE1030ELNS1_3gpuE2ELNS1_3repE0EEENS1_30default_config_static_selectorELNS0_4arch9wavefront6targetE0EEEvT1_.num_agpr, 0
	.set _ZN7rocprim17ROCPRIM_400000_NS6detail17trampoline_kernelINS0_14default_configENS1_25partition_config_selectorILNS1_17partition_subalgoE9EiibEEZZNS1_14partition_implILS5_9ELb0ES3_jPKiN6thrust23THRUST_200600_302600_NS17counting_iteratorIiNSB_11use_defaultESD_SD_EEPNS0_10empty_typeENS0_5tupleIJPiSF_EEENSH_IJSI_SG_EEENS0_18inequality_wrapperIN6hipcub16HIPCUB_304000_NS8EqualityEEEPlJSF_EEE10hipError_tPvRmT3_T4_T5_T6_T7_T9_mT8_P12ihipStream_tbDpT10_ENKUlT_T0_E_clISt17integral_constantIbLb1EES1A_EEDaS15_S16_EUlS15_E_NS1_11comp_targetILNS1_3genE8ELNS1_11target_archE1030ELNS1_3gpuE2ELNS1_3repE0EEENS1_30default_config_static_selectorELNS0_4arch9wavefront6targetE0EEEvT1_.numbered_sgpr, 0
	.set _ZN7rocprim17ROCPRIM_400000_NS6detail17trampoline_kernelINS0_14default_configENS1_25partition_config_selectorILNS1_17partition_subalgoE9EiibEEZZNS1_14partition_implILS5_9ELb0ES3_jPKiN6thrust23THRUST_200600_302600_NS17counting_iteratorIiNSB_11use_defaultESD_SD_EEPNS0_10empty_typeENS0_5tupleIJPiSF_EEENSH_IJSI_SG_EEENS0_18inequality_wrapperIN6hipcub16HIPCUB_304000_NS8EqualityEEEPlJSF_EEE10hipError_tPvRmT3_T4_T5_T6_T7_T9_mT8_P12ihipStream_tbDpT10_ENKUlT_T0_E_clISt17integral_constantIbLb1EES1A_EEDaS15_S16_EUlS15_E_NS1_11comp_targetILNS1_3genE8ELNS1_11target_archE1030ELNS1_3gpuE2ELNS1_3repE0EEENS1_30default_config_static_selectorELNS0_4arch9wavefront6targetE0EEEvT1_.num_named_barrier, 0
	.set _ZN7rocprim17ROCPRIM_400000_NS6detail17trampoline_kernelINS0_14default_configENS1_25partition_config_selectorILNS1_17partition_subalgoE9EiibEEZZNS1_14partition_implILS5_9ELb0ES3_jPKiN6thrust23THRUST_200600_302600_NS17counting_iteratorIiNSB_11use_defaultESD_SD_EEPNS0_10empty_typeENS0_5tupleIJPiSF_EEENSH_IJSI_SG_EEENS0_18inequality_wrapperIN6hipcub16HIPCUB_304000_NS8EqualityEEEPlJSF_EEE10hipError_tPvRmT3_T4_T5_T6_T7_T9_mT8_P12ihipStream_tbDpT10_ENKUlT_T0_E_clISt17integral_constantIbLb1EES1A_EEDaS15_S16_EUlS15_E_NS1_11comp_targetILNS1_3genE8ELNS1_11target_archE1030ELNS1_3gpuE2ELNS1_3repE0EEENS1_30default_config_static_selectorELNS0_4arch9wavefront6targetE0EEEvT1_.private_seg_size, 0
	.set _ZN7rocprim17ROCPRIM_400000_NS6detail17trampoline_kernelINS0_14default_configENS1_25partition_config_selectorILNS1_17partition_subalgoE9EiibEEZZNS1_14partition_implILS5_9ELb0ES3_jPKiN6thrust23THRUST_200600_302600_NS17counting_iteratorIiNSB_11use_defaultESD_SD_EEPNS0_10empty_typeENS0_5tupleIJPiSF_EEENSH_IJSI_SG_EEENS0_18inequality_wrapperIN6hipcub16HIPCUB_304000_NS8EqualityEEEPlJSF_EEE10hipError_tPvRmT3_T4_T5_T6_T7_T9_mT8_P12ihipStream_tbDpT10_ENKUlT_T0_E_clISt17integral_constantIbLb1EES1A_EEDaS15_S16_EUlS15_E_NS1_11comp_targetILNS1_3genE8ELNS1_11target_archE1030ELNS1_3gpuE2ELNS1_3repE0EEENS1_30default_config_static_selectorELNS0_4arch9wavefront6targetE0EEEvT1_.uses_vcc, 0
	.set _ZN7rocprim17ROCPRIM_400000_NS6detail17trampoline_kernelINS0_14default_configENS1_25partition_config_selectorILNS1_17partition_subalgoE9EiibEEZZNS1_14partition_implILS5_9ELb0ES3_jPKiN6thrust23THRUST_200600_302600_NS17counting_iteratorIiNSB_11use_defaultESD_SD_EEPNS0_10empty_typeENS0_5tupleIJPiSF_EEENSH_IJSI_SG_EEENS0_18inequality_wrapperIN6hipcub16HIPCUB_304000_NS8EqualityEEEPlJSF_EEE10hipError_tPvRmT3_T4_T5_T6_T7_T9_mT8_P12ihipStream_tbDpT10_ENKUlT_T0_E_clISt17integral_constantIbLb1EES1A_EEDaS15_S16_EUlS15_E_NS1_11comp_targetILNS1_3genE8ELNS1_11target_archE1030ELNS1_3gpuE2ELNS1_3repE0EEENS1_30default_config_static_selectorELNS0_4arch9wavefront6targetE0EEEvT1_.uses_flat_scratch, 0
	.set _ZN7rocprim17ROCPRIM_400000_NS6detail17trampoline_kernelINS0_14default_configENS1_25partition_config_selectorILNS1_17partition_subalgoE9EiibEEZZNS1_14partition_implILS5_9ELb0ES3_jPKiN6thrust23THRUST_200600_302600_NS17counting_iteratorIiNSB_11use_defaultESD_SD_EEPNS0_10empty_typeENS0_5tupleIJPiSF_EEENSH_IJSI_SG_EEENS0_18inequality_wrapperIN6hipcub16HIPCUB_304000_NS8EqualityEEEPlJSF_EEE10hipError_tPvRmT3_T4_T5_T6_T7_T9_mT8_P12ihipStream_tbDpT10_ENKUlT_T0_E_clISt17integral_constantIbLb1EES1A_EEDaS15_S16_EUlS15_E_NS1_11comp_targetILNS1_3genE8ELNS1_11target_archE1030ELNS1_3gpuE2ELNS1_3repE0EEENS1_30default_config_static_selectorELNS0_4arch9wavefront6targetE0EEEvT1_.has_dyn_sized_stack, 0
	.set _ZN7rocprim17ROCPRIM_400000_NS6detail17trampoline_kernelINS0_14default_configENS1_25partition_config_selectorILNS1_17partition_subalgoE9EiibEEZZNS1_14partition_implILS5_9ELb0ES3_jPKiN6thrust23THRUST_200600_302600_NS17counting_iteratorIiNSB_11use_defaultESD_SD_EEPNS0_10empty_typeENS0_5tupleIJPiSF_EEENSH_IJSI_SG_EEENS0_18inequality_wrapperIN6hipcub16HIPCUB_304000_NS8EqualityEEEPlJSF_EEE10hipError_tPvRmT3_T4_T5_T6_T7_T9_mT8_P12ihipStream_tbDpT10_ENKUlT_T0_E_clISt17integral_constantIbLb1EES1A_EEDaS15_S16_EUlS15_E_NS1_11comp_targetILNS1_3genE8ELNS1_11target_archE1030ELNS1_3gpuE2ELNS1_3repE0EEENS1_30default_config_static_selectorELNS0_4arch9wavefront6targetE0EEEvT1_.has_recursion, 0
	.set _ZN7rocprim17ROCPRIM_400000_NS6detail17trampoline_kernelINS0_14default_configENS1_25partition_config_selectorILNS1_17partition_subalgoE9EiibEEZZNS1_14partition_implILS5_9ELb0ES3_jPKiN6thrust23THRUST_200600_302600_NS17counting_iteratorIiNSB_11use_defaultESD_SD_EEPNS0_10empty_typeENS0_5tupleIJPiSF_EEENSH_IJSI_SG_EEENS0_18inequality_wrapperIN6hipcub16HIPCUB_304000_NS8EqualityEEEPlJSF_EEE10hipError_tPvRmT3_T4_T5_T6_T7_T9_mT8_P12ihipStream_tbDpT10_ENKUlT_T0_E_clISt17integral_constantIbLb1EES1A_EEDaS15_S16_EUlS15_E_NS1_11comp_targetILNS1_3genE8ELNS1_11target_archE1030ELNS1_3gpuE2ELNS1_3repE0EEENS1_30default_config_static_selectorELNS0_4arch9wavefront6targetE0EEEvT1_.has_indirect_call, 0
	.section	.AMDGPU.csdata,"",@progbits
; Kernel info:
; codeLenInByte = 0
; TotalNumSgprs: 0
; NumVgprs: 0
; ScratchSize: 0
; MemoryBound: 0
; FloatMode: 240
; IeeeMode: 1
; LDSByteSize: 0 bytes/workgroup (compile time only)
; SGPRBlocks: 0
; VGPRBlocks: 0
; NumSGPRsForWavesPerEU: 1
; NumVGPRsForWavesPerEU: 1
; NamedBarCnt: 0
; Occupancy: 16
; WaveLimiterHint : 0
; COMPUTE_PGM_RSRC2:SCRATCH_EN: 0
; COMPUTE_PGM_RSRC2:USER_SGPR: 2
; COMPUTE_PGM_RSRC2:TRAP_HANDLER: 0
; COMPUTE_PGM_RSRC2:TGID_X_EN: 1
; COMPUTE_PGM_RSRC2:TGID_Y_EN: 0
; COMPUTE_PGM_RSRC2:TGID_Z_EN: 0
; COMPUTE_PGM_RSRC2:TIDIG_COMP_CNT: 0
	.section	.text._ZN7rocprim17ROCPRIM_400000_NS6detail31init_lookback_scan_state_kernelINS1_19lookback_scan_stateIjLb1ELb1EEENS1_16block_id_wrapperIjLb0EEEEEvT_jT0_jPNS7_10value_typeE,"axG",@progbits,_ZN7rocprim17ROCPRIM_400000_NS6detail31init_lookback_scan_state_kernelINS1_19lookback_scan_stateIjLb1ELb1EEENS1_16block_id_wrapperIjLb0EEEEEvT_jT0_jPNS7_10value_typeE,comdat
	.protected	_ZN7rocprim17ROCPRIM_400000_NS6detail31init_lookback_scan_state_kernelINS1_19lookback_scan_stateIjLb1ELb1EEENS1_16block_id_wrapperIjLb0EEEEEvT_jT0_jPNS7_10value_typeE ; -- Begin function _ZN7rocprim17ROCPRIM_400000_NS6detail31init_lookback_scan_state_kernelINS1_19lookback_scan_stateIjLb1ELb1EEENS1_16block_id_wrapperIjLb0EEEEEvT_jT0_jPNS7_10value_typeE
	.globl	_ZN7rocprim17ROCPRIM_400000_NS6detail31init_lookback_scan_state_kernelINS1_19lookback_scan_stateIjLb1ELb1EEENS1_16block_id_wrapperIjLb0EEEEEvT_jT0_jPNS7_10value_typeE
	.p2align	8
	.type	_ZN7rocprim17ROCPRIM_400000_NS6detail31init_lookback_scan_state_kernelINS1_19lookback_scan_stateIjLb1ELb1EEENS1_16block_id_wrapperIjLb0EEEEEvT_jT0_jPNS7_10value_typeE,@function
_ZN7rocprim17ROCPRIM_400000_NS6detail31init_lookback_scan_state_kernelINS1_19lookback_scan_stateIjLb1ELb1EEENS1_16block_id_wrapperIjLb0EEEEEvT_jT0_jPNS7_10value_typeE: ; @_ZN7rocprim17ROCPRIM_400000_NS6detail31init_lookback_scan_state_kernelINS1_19lookback_scan_stateIjLb1ELb1EEENS1_16block_id_wrapperIjLb0EEEEEvT_jT0_jPNS7_10value_typeE
; %bb.0:
	s_clause 0x2
	s_load_b32 s7, s[0:1], 0x2c
	s_load_b96 s[4:6], s[0:1], 0x0
	s_load_b64 s[2:3], s[0:1], 0x18
	s_bfe_u32 s8, ttmp6, 0x4000c
	s_and_b32 s9, ttmp6, 15
	s_add_co_i32 s8, s8, 1
	s_getreg_b32 s10, hwreg(HW_REG_IB_STS2, 6, 4)
	s_mul_i32 s8, ttmp9, s8
	s_delay_alu instid0(SALU_CYCLE_1)
	s_add_co_i32 s9, s9, s8
	s_wait_kmcnt 0x0
	s_and_b32 s7, s7, 0xffff
	s_cmp_eq_u32 s10, 0
	s_cselect_b32 s8, ttmp9, s9
	s_cmp_eq_u64 s[2:3], 0
	v_mad_u32 v4, s8, s7, v0
	s_cbranch_scc1 .LBB26_9
; %bb.1:
	s_load_b32 s0, s[0:1], 0x10
	s_mov_b32 s7, exec_lo
	s_wait_kmcnt 0x0
	s_cmp_lt_u32 s0, s6
	s_cselect_b32 s1, s0, 0
	s_delay_alu instid0(VALU_DEP_1) | instid1(SALU_CYCLE_1)
	v_cmpx_eq_u32_e64 s1, v4
	s_cbranch_execz .LBB26_8
; %bb.2:
	s_add_co_i32 s0, s0, 32
	s_delay_alu instid0(SALU_CYCLE_1)
	v_mov_b32_e32 v0, s0
	global_load_b64 v[2:3], v0, s[4:5] scale_offset scope:SCOPE_DEV
	s_wait_xcnt 0x0
	v_mov_b32_e32 v0, 0
	s_wait_loadcnt 0x0
	v_and_b32_e32 v1, 0xff, v3
	s_delay_alu instid0(VALU_DEP_1)
	v_cmp_ne_u64_e32 vcc_lo, 0, v[0:1]
	s_cbranch_vccnz .LBB26_7
; %bb.3:
	s_mov_b32 s1, 0
	s_mov_b32 s8, 1
	s_lshl_b64 s[0:1], s[0:1], 3
	s_delay_alu instid0(SALU_CYCLE_1)
	s_add_nc_u64 s[0:1], s[4:5], s[0:1]
.LBB26_4:                               ; =>This Loop Header: Depth=1
                                        ;     Child Loop BB26_5 Depth 2
	s_mov_b32 s9, s8
.LBB26_5:                               ;   Parent Loop BB26_4 Depth=1
                                        ; =>  This Inner Loop Header: Depth=2
	s_delay_alu instid0(SALU_CYCLE_1)
	s_add_co_i32 s9, s9, -1
	s_sleep 1
	s_cmp_eq_u32 s9, 0
	s_cbranch_scc0 .LBB26_5
; %bb.6:                                ;   in Loop: Header=BB26_4 Depth=1
	global_load_b64 v[2:3], v0, s[0:1] scope:SCOPE_DEV
	s_cmp_lt_u32 s8, 32
	s_cselect_b32 s9, -1, 0
	s_delay_alu instid0(SALU_CYCLE_1) | instskip(SKIP_3) | instid1(VALU_DEP_1)
	s_cmp_lg_u32 s9, 0
	s_add_co_ci_u32 s8, s8, 0
	s_wait_loadcnt 0x0
	v_and_b32_e32 v1, 0xff, v3
	v_cmp_ne_u64_e32 vcc_lo, 0, v[0:1]
	s_cbranch_vccz .LBB26_4
.LBB26_7:
	v_mov_b32_e32 v0, 0
	global_store_b32 v0, v2, s[2:3]
.LBB26_8:
	s_wait_xcnt 0x0
	s_or_b32 exec_lo, exec_lo, s7
.LBB26_9:
	s_delay_alu instid0(SALU_CYCLE_1) | instskip(NEXT) | instid1(VALU_DEP_1)
	s_mov_b32 s0, exec_lo
	v_cmpx_gt_u32_e64 s6, v4
	s_cbranch_execz .LBB26_11
; %bb.10:
	v_mov_b64_e32 v[0:1], 0
	v_add_nc_u32_e32 v2, 32, v4
	global_store_b64 v2, v[0:1], s[4:5] scale_offset
.LBB26_11:
	s_wait_xcnt 0x0
	s_or_b32 exec_lo, exec_lo, s0
	s_delay_alu instid0(SALU_CYCLE_1)
	s_mov_b32 s0, exec_lo
	v_cmpx_gt_u32_e32 32, v4
	s_cbranch_execz .LBB26_13
; %bb.12:
	v_mov_b64_e32 v[0:1], 0xff00000000
	global_store_b64 v4, v[0:1], s[4:5] scale_offset
.LBB26_13:
	s_endpgm
	.section	.rodata,"a",@progbits
	.p2align	6, 0x0
	.amdhsa_kernel _ZN7rocprim17ROCPRIM_400000_NS6detail31init_lookback_scan_state_kernelINS1_19lookback_scan_stateIjLb1ELb1EEENS1_16block_id_wrapperIjLb0EEEEEvT_jT0_jPNS7_10value_typeE
		.amdhsa_group_segment_fixed_size 0
		.amdhsa_private_segment_fixed_size 0
		.amdhsa_kernarg_size 288
		.amdhsa_user_sgpr_count 2
		.amdhsa_user_sgpr_dispatch_ptr 0
		.amdhsa_user_sgpr_queue_ptr 0
		.amdhsa_user_sgpr_kernarg_segment_ptr 1
		.amdhsa_user_sgpr_dispatch_id 0
		.amdhsa_user_sgpr_kernarg_preload_length 0
		.amdhsa_user_sgpr_kernarg_preload_offset 0
		.amdhsa_user_sgpr_private_segment_size 0
		.amdhsa_wavefront_size32 1
		.amdhsa_uses_dynamic_stack 0
		.amdhsa_enable_private_segment 0
		.amdhsa_system_sgpr_workgroup_id_x 1
		.amdhsa_system_sgpr_workgroup_id_y 0
		.amdhsa_system_sgpr_workgroup_id_z 0
		.amdhsa_system_sgpr_workgroup_info 0
		.amdhsa_system_vgpr_workitem_id 0
		.amdhsa_next_free_vgpr 5
		.amdhsa_next_free_sgpr 11
		.amdhsa_named_barrier_count 0
		.amdhsa_reserve_vcc 1
		.amdhsa_float_round_mode_32 0
		.amdhsa_float_round_mode_16_64 0
		.amdhsa_float_denorm_mode_32 3
		.amdhsa_float_denorm_mode_16_64 3
		.amdhsa_fp16_overflow 0
		.amdhsa_memory_ordered 1
		.amdhsa_forward_progress 1
		.amdhsa_inst_pref_size 4
		.amdhsa_round_robin_scheduling 0
		.amdhsa_exception_fp_ieee_invalid_op 0
		.amdhsa_exception_fp_denorm_src 0
		.amdhsa_exception_fp_ieee_div_zero 0
		.amdhsa_exception_fp_ieee_overflow 0
		.amdhsa_exception_fp_ieee_underflow 0
		.amdhsa_exception_fp_ieee_inexact 0
		.amdhsa_exception_int_div_zero 0
	.end_amdhsa_kernel
	.section	.text._ZN7rocprim17ROCPRIM_400000_NS6detail31init_lookback_scan_state_kernelINS1_19lookback_scan_stateIjLb1ELb1EEENS1_16block_id_wrapperIjLb0EEEEEvT_jT0_jPNS7_10value_typeE,"axG",@progbits,_ZN7rocprim17ROCPRIM_400000_NS6detail31init_lookback_scan_state_kernelINS1_19lookback_scan_stateIjLb1ELb1EEENS1_16block_id_wrapperIjLb0EEEEEvT_jT0_jPNS7_10value_typeE,comdat
.Lfunc_end26:
	.size	_ZN7rocprim17ROCPRIM_400000_NS6detail31init_lookback_scan_state_kernelINS1_19lookback_scan_stateIjLb1ELb1EEENS1_16block_id_wrapperIjLb0EEEEEvT_jT0_jPNS7_10value_typeE, .Lfunc_end26-_ZN7rocprim17ROCPRIM_400000_NS6detail31init_lookback_scan_state_kernelINS1_19lookback_scan_stateIjLb1ELb1EEENS1_16block_id_wrapperIjLb0EEEEEvT_jT0_jPNS7_10value_typeE
                                        ; -- End function
	.set _ZN7rocprim17ROCPRIM_400000_NS6detail31init_lookback_scan_state_kernelINS1_19lookback_scan_stateIjLb1ELb1EEENS1_16block_id_wrapperIjLb0EEEEEvT_jT0_jPNS7_10value_typeE.num_vgpr, 5
	.set _ZN7rocprim17ROCPRIM_400000_NS6detail31init_lookback_scan_state_kernelINS1_19lookback_scan_stateIjLb1ELb1EEENS1_16block_id_wrapperIjLb0EEEEEvT_jT0_jPNS7_10value_typeE.num_agpr, 0
	.set _ZN7rocprim17ROCPRIM_400000_NS6detail31init_lookback_scan_state_kernelINS1_19lookback_scan_stateIjLb1ELb1EEENS1_16block_id_wrapperIjLb0EEEEEvT_jT0_jPNS7_10value_typeE.numbered_sgpr, 11
	.set _ZN7rocprim17ROCPRIM_400000_NS6detail31init_lookback_scan_state_kernelINS1_19lookback_scan_stateIjLb1ELb1EEENS1_16block_id_wrapperIjLb0EEEEEvT_jT0_jPNS7_10value_typeE.num_named_barrier, 0
	.set _ZN7rocprim17ROCPRIM_400000_NS6detail31init_lookback_scan_state_kernelINS1_19lookback_scan_stateIjLb1ELb1EEENS1_16block_id_wrapperIjLb0EEEEEvT_jT0_jPNS7_10value_typeE.private_seg_size, 0
	.set _ZN7rocprim17ROCPRIM_400000_NS6detail31init_lookback_scan_state_kernelINS1_19lookback_scan_stateIjLb1ELb1EEENS1_16block_id_wrapperIjLb0EEEEEvT_jT0_jPNS7_10value_typeE.uses_vcc, 1
	.set _ZN7rocprim17ROCPRIM_400000_NS6detail31init_lookback_scan_state_kernelINS1_19lookback_scan_stateIjLb1ELb1EEENS1_16block_id_wrapperIjLb0EEEEEvT_jT0_jPNS7_10value_typeE.uses_flat_scratch, 0
	.set _ZN7rocprim17ROCPRIM_400000_NS6detail31init_lookback_scan_state_kernelINS1_19lookback_scan_stateIjLb1ELb1EEENS1_16block_id_wrapperIjLb0EEEEEvT_jT0_jPNS7_10value_typeE.has_dyn_sized_stack, 0
	.set _ZN7rocprim17ROCPRIM_400000_NS6detail31init_lookback_scan_state_kernelINS1_19lookback_scan_stateIjLb1ELb1EEENS1_16block_id_wrapperIjLb0EEEEEvT_jT0_jPNS7_10value_typeE.has_recursion, 0
	.set _ZN7rocprim17ROCPRIM_400000_NS6detail31init_lookback_scan_state_kernelINS1_19lookback_scan_stateIjLb1ELb1EEENS1_16block_id_wrapperIjLb0EEEEEvT_jT0_jPNS7_10value_typeE.has_indirect_call, 0
	.section	.AMDGPU.csdata,"",@progbits
; Kernel info:
; codeLenInByte = 404
; TotalNumSgprs: 13
; NumVgprs: 5
; ScratchSize: 0
; MemoryBound: 0
; FloatMode: 240
; IeeeMode: 1
; LDSByteSize: 0 bytes/workgroup (compile time only)
; SGPRBlocks: 0
; VGPRBlocks: 0
; NumSGPRsForWavesPerEU: 13
; NumVGPRsForWavesPerEU: 5
; NamedBarCnt: 0
; Occupancy: 16
; WaveLimiterHint : 0
; COMPUTE_PGM_RSRC2:SCRATCH_EN: 0
; COMPUTE_PGM_RSRC2:USER_SGPR: 2
; COMPUTE_PGM_RSRC2:TRAP_HANDLER: 0
; COMPUTE_PGM_RSRC2:TGID_X_EN: 1
; COMPUTE_PGM_RSRC2:TGID_Y_EN: 0
; COMPUTE_PGM_RSRC2:TGID_Z_EN: 0
; COMPUTE_PGM_RSRC2:TIDIG_COMP_CNT: 0
	.section	.text._ZN7rocprim17ROCPRIM_400000_NS6detail17trampoline_kernelINS0_14default_configENS1_25partition_config_selectorILNS1_17partition_subalgoE9EiibEEZZNS1_14partition_implILS5_9ELb0ES3_jPKiN6thrust23THRUST_200600_302600_NS17counting_iteratorIiNSB_11use_defaultESD_SD_EEPNS0_10empty_typeENS0_5tupleIJPiSF_EEENSH_IJSI_SG_EEENS0_18inequality_wrapperIN6hipcub16HIPCUB_304000_NS8EqualityEEEPlJSF_EEE10hipError_tPvRmT3_T4_T5_T6_T7_T9_mT8_P12ihipStream_tbDpT10_ENKUlT_T0_E_clISt17integral_constantIbLb1EES19_IbLb0EEEEDaS15_S16_EUlS15_E_NS1_11comp_targetILNS1_3genE0ELNS1_11target_archE4294967295ELNS1_3gpuE0ELNS1_3repE0EEENS1_30default_config_static_selectorELNS0_4arch9wavefront6targetE0EEEvT1_,"axG",@progbits,_ZN7rocprim17ROCPRIM_400000_NS6detail17trampoline_kernelINS0_14default_configENS1_25partition_config_selectorILNS1_17partition_subalgoE9EiibEEZZNS1_14partition_implILS5_9ELb0ES3_jPKiN6thrust23THRUST_200600_302600_NS17counting_iteratorIiNSB_11use_defaultESD_SD_EEPNS0_10empty_typeENS0_5tupleIJPiSF_EEENSH_IJSI_SG_EEENS0_18inequality_wrapperIN6hipcub16HIPCUB_304000_NS8EqualityEEEPlJSF_EEE10hipError_tPvRmT3_T4_T5_T6_T7_T9_mT8_P12ihipStream_tbDpT10_ENKUlT_T0_E_clISt17integral_constantIbLb1EES19_IbLb0EEEEDaS15_S16_EUlS15_E_NS1_11comp_targetILNS1_3genE0ELNS1_11target_archE4294967295ELNS1_3gpuE0ELNS1_3repE0EEENS1_30default_config_static_selectorELNS0_4arch9wavefront6targetE0EEEvT1_,comdat
	.protected	_ZN7rocprim17ROCPRIM_400000_NS6detail17trampoline_kernelINS0_14default_configENS1_25partition_config_selectorILNS1_17partition_subalgoE9EiibEEZZNS1_14partition_implILS5_9ELb0ES3_jPKiN6thrust23THRUST_200600_302600_NS17counting_iteratorIiNSB_11use_defaultESD_SD_EEPNS0_10empty_typeENS0_5tupleIJPiSF_EEENSH_IJSI_SG_EEENS0_18inequality_wrapperIN6hipcub16HIPCUB_304000_NS8EqualityEEEPlJSF_EEE10hipError_tPvRmT3_T4_T5_T6_T7_T9_mT8_P12ihipStream_tbDpT10_ENKUlT_T0_E_clISt17integral_constantIbLb1EES19_IbLb0EEEEDaS15_S16_EUlS15_E_NS1_11comp_targetILNS1_3genE0ELNS1_11target_archE4294967295ELNS1_3gpuE0ELNS1_3repE0EEENS1_30default_config_static_selectorELNS0_4arch9wavefront6targetE0EEEvT1_ ; -- Begin function _ZN7rocprim17ROCPRIM_400000_NS6detail17trampoline_kernelINS0_14default_configENS1_25partition_config_selectorILNS1_17partition_subalgoE9EiibEEZZNS1_14partition_implILS5_9ELb0ES3_jPKiN6thrust23THRUST_200600_302600_NS17counting_iteratorIiNSB_11use_defaultESD_SD_EEPNS0_10empty_typeENS0_5tupleIJPiSF_EEENSH_IJSI_SG_EEENS0_18inequality_wrapperIN6hipcub16HIPCUB_304000_NS8EqualityEEEPlJSF_EEE10hipError_tPvRmT3_T4_T5_T6_T7_T9_mT8_P12ihipStream_tbDpT10_ENKUlT_T0_E_clISt17integral_constantIbLb1EES19_IbLb0EEEEDaS15_S16_EUlS15_E_NS1_11comp_targetILNS1_3genE0ELNS1_11target_archE4294967295ELNS1_3gpuE0ELNS1_3repE0EEENS1_30default_config_static_selectorELNS0_4arch9wavefront6targetE0EEEvT1_
	.globl	_ZN7rocprim17ROCPRIM_400000_NS6detail17trampoline_kernelINS0_14default_configENS1_25partition_config_selectorILNS1_17partition_subalgoE9EiibEEZZNS1_14partition_implILS5_9ELb0ES3_jPKiN6thrust23THRUST_200600_302600_NS17counting_iteratorIiNSB_11use_defaultESD_SD_EEPNS0_10empty_typeENS0_5tupleIJPiSF_EEENSH_IJSI_SG_EEENS0_18inequality_wrapperIN6hipcub16HIPCUB_304000_NS8EqualityEEEPlJSF_EEE10hipError_tPvRmT3_T4_T5_T6_T7_T9_mT8_P12ihipStream_tbDpT10_ENKUlT_T0_E_clISt17integral_constantIbLb1EES19_IbLb0EEEEDaS15_S16_EUlS15_E_NS1_11comp_targetILNS1_3genE0ELNS1_11target_archE4294967295ELNS1_3gpuE0ELNS1_3repE0EEENS1_30default_config_static_selectorELNS0_4arch9wavefront6targetE0EEEvT1_
	.p2align	8
	.type	_ZN7rocprim17ROCPRIM_400000_NS6detail17trampoline_kernelINS0_14default_configENS1_25partition_config_selectorILNS1_17partition_subalgoE9EiibEEZZNS1_14partition_implILS5_9ELb0ES3_jPKiN6thrust23THRUST_200600_302600_NS17counting_iteratorIiNSB_11use_defaultESD_SD_EEPNS0_10empty_typeENS0_5tupleIJPiSF_EEENSH_IJSI_SG_EEENS0_18inequality_wrapperIN6hipcub16HIPCUB_304000_NS8EqualityEEEPlJSF_EEE10hipError_tPvRmT3_T4_T5_T6_T7_T9_mT8_P12ihipStream_tbDpT10_ENKUlT_T0_E_clISt17integral_constantIbLb1EES19_IbLb0EEEEDaS15_S16_EUlS15_E_NS1_11comp_targetILNS1_3genE0ELNS1_11target_archE4294967295ELNS1_3gpuE0ELNS1_3repE0EEENS1_30default_config_static_selectorELNS0_4arch9wavefront6targetE0EEEvT1_,@function
_ZN7rocprim17ROCPRIM_400000_NS6detail17trampoline_kernelINS0_14default_configENS1_25partition_config_selectorILNS1_17partition_subalgoE9EiibEEZZNS1_14partition_implILS5_9ELb0ES3_jPKiN6thrust23THRUST_200600_302600_NS17counting_iteratorIiNSB_11use_defaultESD_SD_EEPNS0_10empty_typeENS0_5tupleIJPiSF_EEENSH_IJSI_SG_EEENS0_18inequality_wrapperIN6hipcub16HIPCUB_304000_NS8EqualityEEEPlJSF_EEE10hipError_tPvRmT3_T4_T5_T6_T7_T9_mT8_P12ihipStream_tbDpT10_ENKUlT_T0_E_clISt17integral_constantIbLb1EES19_IbLb0EEEEDaS15_S16_EUlS15_E_NS1_11comp_targetILNS1_3genE0ELNS1_11target_archE4294967295ELNS1_3gpuE0ELNS1_3repE0EEENS1_30default_config_static_selectorELNS0_4arch9wavefront6targetE0EEEvT1_: ; @_ZN7rocprim17ROCPRIM_400000_NS6detail17trampoline_kernelINS0_14default_configENS1_25partition_config_selectorILNS1_17partition_subalgoE9EiibEEZZNS1_14partition_implILS5_9ELb0ES3_jPKiN6thrust23THRUST_200600_302600_NS17counting_iteratorIiNSB_11use_defaultESD_SD_EEPNS0_10empty_typeENS0_5tupleIJPiSF_EEENSH_IJSI_SG_EEENS0_18inequality_wrapperIN6hipcub16HIPCUB_304000_NS8EqualityEEEPlJSF_EEE10hipError_tPvRmT3_T4_T5_T6_T7_T9_mT8_P12ihipStream_tbDpT10_ENKUlT_T0_E_clISt17integral_constantIbLb1EES19_IbLb0EEEEDaS15_S16_EUlS15_E_NS1_11comp_targetILNS1_3genE0ELNS1_11target_archE4294967295ELNS1_3gpuE0ELNS1_3repE0EEENS1_30default_config_static_selectorELNS0_4arch9wavefront6targetE0EEEvT1_
; %bb.0:
	s_endpgm
	.section	.rodata,"a",@progbits
	.p2align	6, 0x0
	.amdhsa_kernel _ZN7rocprim17ROCPRIM_400000_NS6detail17trampoline_kernelINS0_14default_configENS1_25partition_config_selectorILNS1_17partition_subalgoE9EiibEEZZNS1_14partition_implILS5_9ELb0ES3_jPKiN6thrust23THRUST_200600_302600_NS17counting_iteratorIiNSB_11use_defaultESD_SD_EEPNS0_10empty_typeENS0_5tupleIJPiSF_EEENSH_IJSI_SG_EEENS0_18inequality_wrapperIN6hipcub16HIPCUB_304000_NS8EqualityEEEPlJSF_EEE10hipError_tPvRmT3_T4_T5_T6_T7_T9_mT8_P12ihipStream_tbDpT10_ENKUlT_T0_E_clISt17integral_constantIbLb1EES19_IbLb0EEEEDaS15_S16_EUlS15_E_NS1_11comp_targetILNS1_3genE0ELNS1_11target_archE4294967295ELNS1_3gpuE0ELNS1_3repE0EEENS1_30default_config_static_selectorELNS0_4arch9wavefront6targetE0EEEvT1_
		.amdhsa_group_segment_fixed_size 0
		.amdhsa_private_segment_fixed_size 0
		.amdhsa_kernarg_size 112
		.amdhsa_user_sgpr_count 2
		.amdhsa_user_sgpr_dispatch_ptr 0
		.amdhsa_user_sgpr_queue_ptr 0
		.amdhsa_user_sgpr_kernarg_segment_ptr 1
		.amdhsa_user_sgpr_dispatch_id 0
		.amdhsa_user_sgpr_kernarg_preload_length 0
		.amdhsa_user_sgpr_kernarg_preload_offset 0
		.amdhsa_user_sgpr_private_segment_size 0
		.amdhsa_wavefront_size32 1
		.amdhsa_uses_dynamic_stack 0
		.amdhsa_enable_private_segment 0
		.amdhsa_system_sgpr_workgroup_id_x 1
		.amdhsa_system_sgpr_workgroup_id_y 0
		.amdhsa_system_sgpr_workgroup_id_z 0
		.amdhsa_system_sgpr_workgroup_info 0
		.amdhsa_system_vgpr_workitem_id 0
		.amdhsa_next_free_vgpr 1
		.amdhsa_next_free_sgpr 1
		.amdhsa_named_barrier_count 0
		.amdhsa_reserve_vcc 0
		.amdhsa_float_round_mode_32 0
		.amdhsa_float_round_mode_16_64 0
		.amdhsa_float_denorm_mode_32 3
		.amdhsa_float_denorm_mode_16_64 3
		.amdhsa_fp16_overflow 0
		.amdhsa_memory_ordered 1
		.amdhsa_forward_progress 1
		.amdhsa_inst_pref_size 1
		.amdhsa_round_robin_scheduling 0
		.amdhsa_exception_fp_ieee_invalid_op 0
		.amdhsa_exception_fp_denorm_src 0
		.amdhsa_exception_fp_ieee_div_zero 0
		.amdhsa_exception_fp_ieee_overflow 0
		.amdhsa_exception_fp_ieee_underflow 0
		.amdhsa_exception_fp_ieee_inexact 0
		.amdhsa_exception_int_div_zero 0
	.end_amdhsa_kernel
	.section	.text._ZN7rocprim17ROCPRIM_400000_NS6detail17trampoline_kernelINS0_14default_configENS1_25partition_config_selectorILNS1_17partition_subalgoE9EiibEEZZNS1_14partition_implILS5_9ELb0ES3_jPKiN6thrust23THRUST_200600_302600_NS17counting_iteratorIiNSB_11use_defaultESD_SD_EEPNS0_10empty_typeENS0_5tupleIJPiSF_EEENSH_IJSI_SG_EEENS0_18inequality_wrapperIN6hipcub16HIPCUB_304000_NS8EqualityEEEPlJSF_EEE10hipError_tPvRmT3_T4_T5_T6_T7_T9_mT8_P12ihipStream_tbDpT10_ENKUlT_T0_E_clISt17integral_constantIbLb1EES19_IbLb0EEEEDaS15_S16_EUlS15_E_NS1_11comp_targetILNS1_3genE0ELNS1_11target_archE4294967295ELNS1_3gpuE0ELNS1_3repE0EEENS1_30default_config_static_selectorELNS0_4arch9wavefront6targetE0EEEvT1_,"axG",@progbits,_ZN7rocprim17ROCPRIM_400000_NS6detail17trampoline_kernelINS0_14default_configENS1_25partition_config_selectorILNS1_17partition_subalgoE9EiibEEZZNS1_14partition_implILS5_9ELb0ES3_jPKiN6thrust23THRUST_200600_302600_NS17counting_iteratorIiNSB_11use_defaultESD_SD_EEPNS0_10empty_typeENS0_5tupleIJPiSF_EEENSH_IJSI_SG_EEENS0_18inequality_wrapperIN6hipcub16HIPCUB_304000_NS8EqualityEEEPlJSF_EEE10hipError_tPvRmT3_T4_T5_T6_T7_T9_mT8_P12ihipStream_tbDpT10_ENKUlT_T0_E_clISt17integral_constantIbLb1EES19_IbLb0EEEEDaS15_S16_EUlS15_E_NS1_11comp_targetILNS1_3genE0ELNS1_11target_archE4294967295ELNS1_3gpuE0ELNS1_3repE0EEENS1_30default_config_static_selectorELNS0_4arch9wavefront6targetE0EEEvT1_,comdat
.Lfunc_end27:
	.size	_ZN7rocprim17ROCPRIM_400000_NS6detail17trampoline_kernelINS0_14default_configENS1_25partition_config_selectorILNS1_17partition_subalgoE9EiibEEZZNS1_14partition_implILS5_9ELb0ES3_jPKiN6thrust23THRUST_200600_302600_NS17counting_iteratorIiNSB_11use_defaultESD_SD_EEPNS0_10empty_typeENS0_5tupleIJPiSF_EEENSH_IJSI_SG_EEENS0_18inequality_wrapperIN6hipcub16HIPCUB_304000_NS8EqualityEEEPlJSF_EEE10hipError_tPvRmT3_T4_T5_T6_T7_T9_mT8_P12ihipStream_tbDpT10_ENKUlT_T0_E_clISt17integral_constantIbLb1EES19_IbLb0EEEEDaS15_S16_EUlS15_E_NS1_11comp_targetILNS1_3genE0ELNS1_11target_archE4294967295ELNS1_3gpuE0ELNS1_3repE0EEENS1_30default_config_static_selectorELNS0_4arch9wavefront6targetE0EEEvT1_, .Lfunc_end27-_ZN7rocprim17ROCPRIM_400000_NS6detail17trampoline_kernelINS0_14default_configENS1_25partition_config_selectorILNS1_17partition_subalgoE9EiibEEZZNS1_14partition_implILS5_9ELb0ES3_jPKiN6thrust23THRUST_200600_302600_NS17counting_iteratorIiNSB_11use_defaultESD_SD_EEPNS0_10empty_typeENS0_5tupleIJPiSF_EEENSH_IJSI_SG_EEENS0_18inequality_wrapperIN6hipcub16HIPCUB_304000_NS8EqualityEEEPlJSF_EEE10hipError_tPvRmT3_T4_T5_T6_T7_T9_mT8_P12ihipStream_tbDpT10_ENKUlT_T0_E_clISt17integral_constantIbLb1EES19_IbLb0EEEEDaS15_S16_EUlS15_E_NS1_11comp_targetILNS1_3genE0ELNS1_11target_archE4294967295ELNS1_3gpuE0ELNS1_3repE0EEENS1_30default_config_static_selectorELNS0_4arch9wavefront6targetE0EEEvT1_
                                        ; -- End function
	.set _ZN7rocprim17ROCPRIM_400000_NS6detail17trampoline_kernelINS0_14default_configENS1_25partition_config_selectorILNS1_17partition_subalgoE9EiibEEZZNS1_14partition_implILS5_9ELb0ES3_jPKiN6thrust23THRUST_200600_302600_NS17counting_iteratorIiNSB_11use_defaultESD_SD_EEPNS0_10empty_typeENS0_5tupleIJPiSF_EEENSH_IJSI_SG_EEENS0_18inequality_wrapperIN6hipcub16HIPCUB_304000_NS8EqualityEEEPlJSF_EEE10hipError_tPvRmT3_T4_T5_T6_T7_T9_mT8_P12ihipStream_tbDpT10_ENKUlT_T0_E_clISt17integral_constantIbLb1EES19_IbLb0EEEEDaS15_S16_EUlS15_E_NS1_11comp_targetILNS1_3genE0ELNS1_11target_archE4294967295ELNS1_3gpuE0ELNS1_3repE0EEENS1_30default_config_static_selectorELNS0_4arch9wavefront6targetE0EEEvT1_.num_vgpr, 0
	.set _ZN7rocprim17ROCPRIM_400000_NS6detail17trampoline_kernelINS0_14default_configENS1_25partition_config_selectorILNS1_17partition_subalgoE9EiibEEZZNS1_14partition_implILS5_9ELb0ES3_jPKiN6thrust23THRUST_200600_302600_NS17counting_iteratorIiNSB_11use_defaultESD_SD_EEPNS0_10empty_typeENS0_5tupleIJPiSF_EEENSH_IJSI_SG_EEENS0_18inequality_wrapperIN6hipcub16HIPCUB_304000_NS8EqualityEEEPlJSF_EEE10hipError_tPvRmT3_T4_T5_T6_T7_T9_mT8_P12ihipStream_tbDpT10_ENKUlT_T0_E_clISt17integral_constantIbLb1EES19_IbLb0EEEEDaS15_S16_EUlS15_E_NS1_11comp_targetILNS1_3genE0ELNS1_11target_archE4294967295ELNS1_3gpuE0ELNS1_3repE0EEENS1_30default_config_static_selectorELNS0_4arch9wavefront6targetE0EEEvT1_.num_agpr, 0
	.set _ZN7rocprim17ROCPRIM_400000_NS6detail17trampoline_kernelINS0_14default_configENS1_25partition_config_selectorILNS1_17partition_subalgoE9EiibEEZZNS1_14partition_implILS5_9ELb0ES3_jPKiN6thrust23THRUST_200600_302600_NS17counting_iteratorIiNSB_11use_defaultESD_SD_EEPNS0_10empty_typeENS0_5tupleIJPiSF_EEENSH_IJSI_SG_EEENS0_18inequality_wrapperIN6hipcub16HIPCUB_304000_NS8EqualityEEEPlJSF_EEE10hipError_tPvRmT3_T4_T5_T6_T7_T9_mT8_P12ihipStream_tbDpT10_ENKUlT_T0_E_clISt17integral_constantIbLb1EES19_IbLb0EEEEDaS15_S16_EUlS15_E_NS1_11comp_targetILNS1_3genE0ELNS1_11target_archE4294967295ELNS1_3gpuE0ELNS1_3repE0EEENS1_30default_config_static_selectorELNS0_4arch9wavefront6targetE0EEEvT1_.numbered_sgpr, 0
	.set _ZN7rocprim17ROCPRIM_400000_NS6detail17trampoline_kernelINS0_14default_configENS1_25partition_config_selectorILNS1_17partition_subalgoE9EiibEEZZNS1_14partition_implILS5_9ELb0ES3_jPKiN6thrust23THRUST_200600_302600_NS17counting_iteratorIiNSB_11use_defaultESD_SD_EEPNS0_10empty_typeENS0_5tupleIJPiSF_EEENSH_IJSI_SG_EEENS0_18inequality_wrapperIN6hipcub16HIPCUB_304000_NS8EqualityEEEPlJSF_EEE10hipError_tPvRmT3_T4_T5_T6_T7_T9_mT8_P12ihipStream_tbDpT10_ENKUlT_T0_E_clISt17integral_constantIbLb1EES19_IbLb0EEEEDaS15_S16_EUlS15_E_NS1_11comp_targetILNS1_3genE0ELNS1_11target_archE4294967295ELNS1_3gpuE0ELNS1_3repE0EEENS1_30default_config_static_selectorELNS0_4arch9wavefront6targetE0EEEvT1_.num_named_barrier, 0
	.set _ZN7rocprim17ROCPRIM_400000_NS6detail17trampoline_kernelINS0_14default_configENS1_25partition_config_selectorILNS1_17partition_subalgoE9EiibEEZZNS1_14partition_implILS5_9ELb0ES3_jPKiN6thrust23THRUST_200600_302600_NS17counting_iteratorIiNSB_11use_defaultESD_SD_EEPNS0_10empty_typeENS0_5tupleIJPiSF_EEENSH_IJSI_SG_EEENS0_18inequality_wrapperIN6hipcub16HIPCUB_304000_NS8EqualityEEEPlJSF_EEE10hipError_tPvRmT3_T4_T5_T6_T7_T9_mT8_P12ihipStream_tbDpT10_ENKUlT_T0_E_clISt17integral_constantIbLb1EES19_IbLb0EEEEDaS15_S16_EUlS15_E_NS1_11comp_targetILNS1_3genE0ELNS1_11target_archE4294967295ELNS1_3gpuE0ELNS1_3repE0EEENS1_30default_config_static_selectorELNS0_4arch9wavefront6targetE0EEEvT1_.private_seg_size, 0
	.set _ZN7rocprim17ROCPRIM_400000_NS6detail17trampoline_kernelINS0_14default_configENS1_25partition_config_selectorILNS1_17partition_subalgoE9EiibEEZZNS1_14partition_implILS5_9ELb0ES3_jPKiN6thrust23THRUST_200600_302600_NS17counting_iteratorIiNSB_11use_defaultESD_SD_EEPNS0_10empty_typeENS0_5tupleIJPiSF_EEENSH_IJSI_SG_EEENS0_18inequality_wrapperIN6hipcub16HIPCUB_304000_NS8EqualityEEEPlJSF_EEE10hipError_tPvRmT3_T4_T5_T6_T7_T9_mT8_P12ihipStream_tbDpT10_ENKUlT_T0_E_clISt17integral_constantIbLb1EES19_IbLb0EEEEDaS15_S16_EUlS15_E_NS1_11comp_targetILNS1_3genE0ELNS1_11target_archE4294967295ELNS1_3gpuE0ELNS1_3repE0EEENS1_30default_config_static_selectorELNS0_4arch9wavefront6targetE0EEEvT1_.uses_vcc, 0
	.set _ZN7rocprim17ROCPRIM_400000_NS6detail17trampoline_kernelINS0_14default_configENS1_25partition_config_selectorILNS1_17partition_subalgoE9EiibEEZZNS1_14partition_implILS5_9ELb0ES3_jPKiN6thrust23THRUST_200600_302600_NS17counting_iteratorIiNSB_11use_defaultESD_SD_EEPNS0_10empty_typeENS0_5tupleIJPiSF_EEENSH_IJSI_SG_EEENS0_18inequality_wrapperIN6hipcub16HIPCUB_304000_NS8EqualityEEEPlJSF_EEE10hipError_tPvRmT3_T4_T5_T6_T7_T9_mT8_P12ihipStream_tbDpT10_ENKUlT_T0_E_clISt17integral_constantIbLb1EES19_IbLb0EEEEDaS15_S16_EUlS15_E_NS1_11comp_targetILNS1_3genE0ELNS1_11target_archE4294967295ELNS1_3gpuE0ELNS1_3repE0EEENS1_30default_config_static_selectorELNS0_4arch9wavefront6targetE0EEEvT1_.uses_flat_scratch, 0
	.set _ZN7rocprim17ROCPRIM_400000_NS6detail17trampoline_kernelINS0_14default_configENS1_25partition_config_selectorILNS1_17partition_subalgoE9EiibEEZZNS1_14partition_implILS5_9ELb0ES3_jPKiN6thrust23THRUST_200600_302600_NS17counting_iteratorIiNSB_11use_defaultESD_SD_EEPNS0_10empty_typeENS0_5tupleIJPiSF_EEENSH_IJSI_SG_EEENS0_18inequality_wrapperIN6hipcub16HIPCUB_304000_NS8EqualityEEEPlJSF_EEE10hipError_tPvRmT3_T4_T5_T6_T7_T9_mT8_P12ihipStream_tbDpT10_ENKUlT_T0_E_clISt17integral_constantIbLb1EES19_IbLb0EEEEDaS15_S16_EUlS15_E_NS1_11comp_targetILNS1_3genE0ELNS1_11target_archE4294967295ELNS1_3gpuE0ELNS1_3repE0EEENS1_30default_config_static_selectorELNS0_4arch9wavefront6targetE0EEEvT1_.has_dyn_sized_stack, 0
	.set _ZN7rocprim17ROCPRIM_400000_NS6detail17trampoline_kernelINS0_14default_configENS1_25partition_config_selectorILNS1_17partition_subalgoE9EiibEEZZNS1_14partition_implILS5_9ELb0ES3_jPKiN6thrust23THRUST_200600_302600_NS17counting_iteratorIiNSB_11use_defaultESD_SD_EEPNS0_10empty_typeENS0_5tupleIJPiSF_EEENSH_IJSI_SG_EEENS0_18inequality_wrapperIN6hipcub16HIPCUB_304000_NS8EqualityEEEPlJSF_EEE10hipError_tPvRmT3_T4_T5_T6_T7_T9_mT8_P12ihipStream_tbDpT10_ENKUlT_T0_E_clISt17integral_constantIbLb1EES19_IbLb0EEEEDaS15_S16_EUlS15_E_NS1_11comp_targetILNS1_3genE0ELNS1_11target_archE4294967295ELNS1_3gpuE0ELNS1_3repE0EEENS1_30default_config_static_selectorELNS0_4arch9wavefront6targetE0EEEvT1_.has_recursion, 0
	.set _ZN7rocprim17ROCPRIM_400000_NS6detail17trampoline_kernelINS0_14default_configENS1_25partition_config_selectorILNS1_17partition_subalgoE9EiibEEZZNS1_14partition_implILS5_9ELb0ES3_jPKiN6thrust23THRUST_200600_302600_NS17counting_iteratorIiNSB_11use_defaultESD_SD_EEPNS0_10empty_typeENS0_5tupleIJPiSF_EEENSH_IJSI_SG_EEENS0_18inequality_wrapperIN6hipcub16HIPCUB_304000_NS8EqualityEEEPlJSF_EEE10hipError_tPvRmT3_T4_T5_T6_T7_T9_mT8_P12ihipStream_tbDpT10_ENKUlT_T0_E_clISt17integral_constantIbLb1EES19_IbLb0EEEEDaS15_S16_EUlS15_E_NS1_11comp_targetILNS1_3genE0ELNS1_11target_archE4294967295ELNS1_3gpuE0ELNS1_3repE0EEENS1_30default_config_static_selectorELNS0_4arch9wavefront6targetE0EEEvT1_.has_indirect_call, 0
	.section	.AMDGPU.csdata,"",@progbits
; Kernel info:
; codeLenInByte = 4
; TotalNumSgprs: 0
; NumVgprs: 0
; ScratchSize: 0
; MemoryBound: 0
; FloatMode: 240
; IeeeMode: 1
; LDSByteSize: 0 bytes/workgroup (compile time only)
; SGPRBlocks: 0
; VGPRBlocks: 0
; NumSGPRsForWavesPerEU: 1
; NumVGPRsForWavesPerEU: 1
; NamedBarCnt: 0
; Occupancy: 16
; WaveLimiterHint : 0
; COMPUTE_PGM_RSRC2:SCRATCH_EN: 0
; COMPUTE_PGM_RSRC2:USER_SGPR: 2
; COMPUTE_PGM_RSRC2:TRAP_HANDLER: 0
; COMPUTE_PGM_RSRC2:TGID_X_EN: 1
; COMPUTE_PGM_RSRC2:TGID_Y_EN: 0
; COMPUTE_PGM_RSRC2:TGID_Z_EN: 0
; COMPUTE_PGM_RSRC2:TIDIG_COMP_CNT: 0
	.section	.text._ZN7rocprim17ROCPRIM_400000_NS6detail17trampoline_kernelINS0_14default_configENS1_25partition_config_selectorILNS1_17partition_subalgoE9EiibEEZZNS1_14partition_implILS5_9ELb0ES3_jPKiN6thrust23THRUST_200600_302600_NS17counting_iteratorIiNSB_11use_defaultESD_SD_EEPNS0_10empty_typeENS0_5tupleIJPiSF_EEENSH_IJSI_SG_EEENS0_18inequality_wrapperIN6hipcub16HIPCUB_304000_NS8EqualityEEEPlJSF_EEE10hipError_tPvRmT3_T4_T5_T6_T7_T9_mT8_P12ihipStream_tbDpT10_ENKUlT_T0_E_clISt17integral_constantIbLb1EES19_IbLb0EEEEDaS15_S16_EUlS15_E_NS1_11comp_targetILNS1_3genE5ELNS1_11target_archE942ELNS1_3gpuE9ELNS1_3repE0EEENS1_30default_config_static_selectorELNS0_4arch9wavefront6targetE0EEEvT1_,"axG",@progbits,_ZN7rocprim17ROCPRIM_400000_NS6detail17trampoline_kernelINS0_14default_configENS1_25partition_config_selectorILNS1_17partition_subalgoE9EiibEEZZNS1_14partition_implILS5_9ELb0ES3_jPKiN6thrust23THRUST_200600_302600_NS17counting_iteratorIiNSB_11use_defaultESD_SD_EEPNS0_10empty_typeENS0_5tupleIJPiSF_EEENSH_IJSI_SG_EEENS0_18inequality_wrapperIN6hipcub16HIPCUB_304000_NS8EqualityEEEPlJSF_EEE10hipError_tPvRmT3_T4_T5_T6_T7_T9_mT8_P12ihipStream_tbDpT10_ENKUlT_T0_E_clISt17integral_constantIbLb1EES19_IbLb0EEEEDaS15_S16_EUlS15_E_NS1_11comp_targetILNS1_3genE5ELNS1_11target_archE942ELNS1_3gpuE9ELNS1_3repE0EEENS1_30default_config_static_selectorELNS0_4arch9wavefront6targetE0EEEvT1_,comdat
	.protected	_ZN7rocprim17ROCPRIM_400000_NS6detail17trampoline_kernelINS0_14default_configENS1_25partition_config_selectorILNS1_17partition_subalgoE9EiibEEZZNS1_14partition_implILS5_9ELb0ES3_jPKiN6thrust23THRUST_200600_302600_NS17counting_iteratorIiNSB_11use_defaultESD_SD_EEPNS0_10empty_typeENS0_5tupleIJPiSF_EEENSH_IJSI_SG_EEENS0_18inequality_wrapperIN6hipcub16HIPCUB_304000_NS8EqualityEEEPlJSF_EEE10hipError_tPvRmT3_T4_T5_T6_T7_T9_mT8_P12ihipStream_tbDpT10_ENKUlT_T0_E_clISt17integral_constantIbLb1EES19_IbLb0EEEEDaS15_S16_EUlS15_E_NS1_11comp_targetILNS1_3genE5ELNS1_11target_archE942ELNS1_3gpuE9ELNS1_3repE0EEENS1_30default_config_static_selectorELNS0_4arch9wavefront6targetE0EEEvT1_ ; -- Begin function _ZN7rocprim17ROCPRIM_400000_NS6detail17trampoline_kernelINS0_14default_configENS1_25partition_config_selectorILNS1_17partition_subalgoE9EiibEEZZNS1_14partition_implILS5_9ELb0ES3_jPKiN6thrust23THRUST_200600_302600_NS17counting_iteratorIiNSB_11use_defaultESD_SD_EEPNS0_10empty_typeENS0_5tupleIJPiSF_EEENSH_IJSI_SG_EEENS0_18inequality_wrapperIN6hipcub16HIPCUB_304000_NS8EqualityEEEPlJSF_EEE10hipError_tPvRmT3_T4_T5_T6_T7_T9_mT8_P12ihipStream_tbDpT10_ENKUlT_T0_E_clISt17integral_constantIbLb1EES19_IbLb0EEEEDaS15_S16_EUlS15_E_NS1_11comp_targetILNS1_3genE5ELNS1_11target_archE942ELNS1_3gpuE9ELNS1_3repE0EEENS1_30default_config_static_selectorELNS0_4arch9wavefront6targetE0EEEvT1_
	.globl	_ZN7rocprim17ROCPRIM_400000_NS6detail17trampoline_kernelINS0_14default_configENS1_25partition_config_selectorILNS1_17partition_subalgoE9EiibEEZZNS1_14partition_implILS5_9ELb0ES3_jPKiN6thrust23THRUST_200600_302600_NS17counting_iteratorIiNSB_11use_defaultESD_SD_EEPNS0_10empty_typeENS0_5tupleIJPiSF_EEENSH_IJSI_SG_EEENS0_18inequality_wrapperIN6hipcub16HIPCUB_304000_NS8EqualityEEEPlJSF_EEE10hipError_tPvRmT3_T4_T5_T6_T7_T9_mT8_P12ihipStream_tbDpT10_ENKUlT_T0_E_clISt17integral_constantIbLb1EES19_IbLb0EEEEDaS15_S16_EUlS15_E_NS1_11comp_targetILNS1_3genE5ELNS1_11target_archE942ELNS1_3gpuE9ELNS1_3repE0EEENS1_30default_config_static_selectorELNS0_4arch9wavefront6targetE0EEEvT1_
	.p2align	8
	.type	_ZN7rocprim17ROCPRIM_400000_NS6detail17trampoline_kernelINS0_14default_configENS1_25partition_config_selectorILNS1_17partition_subalgoE9EiibEEZZNS1_14partition_implILS5_9ELb0ES3_jPKiN6thrust23THRUST_200600_302600_NS17counting_iteratorIiNSB_11use_defaultESD_SD_EEPNS0_10empty_typeENS0_5tupleIJPiSF_EEENSH_IJSI_SG_EEENS0_18inequality_wrapperIN6hipcub16HIPCUB_304000_NS8EqualityEEEPlJSF_EEE10hipError_tPvRmT3_T4_T5_T6_T7_T9_mT8_P12ihipStream_tbDpT10_ENKUlT_T0_E_clISt17integral_constantIbLb1EES19_IbLb0EEEEDaS15_S16_EUlS15_E_NS1_11comp_targetILNS1_3genE5ELNS1_11target_archE942ELNS1_3gpuE9ELNS1_3repE0EEENS1_30default_config_static_selectorELNS0_4arch9wavefront6targetE0EEEvT1_,@function
_ZN7rocprim17ROCPRIM_400000_NS6detail17trampoline_kernelINS0_14default_configENS1_25partition_config_selectorILNS1_17partition_subalgoE9EiibEEZZNS1_14partition_implILS5_9ELb0ES3_jPKiN6thrust23THRUST_200600_302600_NS17counting_iteratorIiNSB_11use_defaultESD_SD_EEPNS0_10empty_typeENS0_5tupleIJPiSF_EEENSH_IJSI_SG_EEENS0_18inequality_wrapperIN6hipcub16HIPCUB_304000_NS8EqualityEEEPlJSF_EEE10hipError_tPvRmT3_T4_T5_T6_T7_T9_mT8_P12ihipStream_tbDpT10_ENKUlT_T0_E_clISt17integral_constantIbLb1EES19_IbLb0EEEEDaS15_S16_EUlS15_E_NS1_11comp_targetILNS1_3genE5ELNS1_11target_archE942ELNS1_3gpuE9ELNS1_3repE0EEENS1_30default_config_static_selectorELNS0_4arch9wavefront6targetE0EEEvT1_: ; @_ZN7rocprim17ROCPRIM_400000_NS6detail17trampoline_kernelINS0_14default_configENS1_25partition_config_selectorILNS1_17partition_subalgoE9EiibEEZZNS1_14partition_implILS5_9ELb0ES3_jPKiN6thrust23THRUST_200600_302600_NS17counting_iteratorIiNSB_11use_defaultESD_SD_EEPNS0_10empty_typeENS0_5tupleIJPiSF_EEENSH_IJSI_SG_EEENS0_18inequality_wrapperIN6hipcub16HIPCUB_304000_NS8EqualityEEEPlJSF_EEE10hipError_tPvRmT3_T4_T5_T6_T7_T9_mT8_P12ihipStream_tbDpT10_ENKUlT_T0_E_clISt17integral_constantIbLb1EES19_IbLb0EEEEDaS15_S16_EUlS15_E_NS1_11comp_targetILNS1_3genE5ELNS1_11target_archE942ELNS1_3gpuE9ELNS1_3repE0EEENS1_30default_config_static_selectorELNS0_4arch9wavefront6targetE0EEEvT1_
; %bb.0:
	.section	.rodata,"a",@progbits
	.p2align	6, 0x0
	.amdhsa_kernel _ZN7rocprim17ROCPRIM_400000_NS6detail17trampoline_kernelINS0_14default_configENS1_25partition_config_selectorILNS1_17partition_subalgoE9EiibEEZZNS1_14partition_implILS5_9ELb0ES3_jPKiN6thrust23THRUST_200600_302600_NS17counting_iteratorIiNSB_11use_defaultESD_SD_EEPNS0_10empty_typeENS0_5tupleIJPiSF_EEENSH_IJSI_SG_EEENS0_18inequality_wrapperIN6hipcub16HIPCUB_304000_NS8EqualityEEEPlJSF_EEE10hipError_tPvRmT3_T4_T5_T6_T7_T9_mT8_P12ihipStream_tbDpT10_ENKUlT_T0_E_clISt17integral_constantIbLb1EES19_IbLb0EEEEDaS15_S16_EUlS15_E_NS1_11comp_targetILNS1_3genE5ELNS1_11target_archE942ELNS1_3gpuE9ELNS1_3repE0EEENS1_30default_config_static_selectorELNS0_4arch9wavefront6targetE0EEEvT1_
		.amdhsa_group_segment_fixed_size 0
		.amdhsa_private_segment_fixed_size 0
		.amdhsa_kernarg_size 112
		.amdhsa_user_sgpr_count 2
		.amdhsa_user_sgpr_dispatch_ptr 0
		.amdhsa_user_sgpr_queue_ptr 0
		.amdhsa_user_sgpr_kernarg_segment_ptr 1
		.amdhsa_user_sgpr_dispatch_id 0
		.amdhsa_user_sgpr_kernarg_preload_length 0
		.amdhsa_user_sgpr_kernarg_preload_offset 0
		.amdhsa_user_sgpr_private_segment_size 0
		.amdhsa_wavefront_size32 1
		.amdhsa_uses_dynamic_stack 0
		.amdhsa_enable_private_segment 0
		.amdhsa_system_sgpr_workgroup_id_x 1
		.amdhsa_system_sgpr_workgroup_id_y 0
		.amdhsa_system_sgpr_workgroup_id_z 0
		.amdhsa_system_sgpr_workgroup_info 0
		.amdhsa_system_vgpr_workitem_id 0
		.amdhsa_next_free_vgpr 1
		.amdhsa_next_free_sgpr 1
		.amdhsa_named_barrier_count 0
		.amdhsa_reserve_vcc 0
		.amdhsa_float_round_mode_32 0
		.amdhsa_float_round_mode_16_64 0
		.amdhsa_float_denorm_mode_32 3
		.amdhsa_float_denorm_mode_16_64 3
		.amdhsa_fp16_overflow 0
		.amdhsa_memory_ordered 1
		.amdhsa_forward_progress 1
		.amdhsa_inst_pref_size 0
		.amdhsa_round_robin_scheduling 0
		.amdhsa_exception_fp_ieee_invalid_op 0
		.amdhsa_exception_fp_denorm_src 0
		.amdhsa_exception_fp_ieee_div_zero 0
		.amdhsa_exception_fp_ieee_overflow 0
		.amdhsa_exception_fp_ieee_underflow 0
		.amdhsa_exception_fp_ieee_inexact 0
		.amdhsa_exception_int_div_zero 0
	.end_amdhsa_kernel
	.section	.text._ZN7rocprim17ROCPRIM_400000_NS6detail17trampoline_kernelINS0_14default_configENS1_25partition_config_selectorILNS1_17partition_subalgoE9EiibEEZZNS1_14partition_implILS5_9ELb0ES3_jPKiN6thrust23THRUST_200600_302600_NS17counting_iteratorIiNSB_11use_defaultESD_SD_EEPNS0_10empty_typeENS0_5tupleIJPiSF_EEENSH_IJSI_SG_EEENS0_18inequality_wrapperIN6hipcub16HIPCUB_304000_NS8EqualityEEEPlJSF_EEE10hipError_tPvRmT3_T4_T5_T6_T7_T9_mT8_P12ihipStream_tbDpT10_ENKUlT_T0_E_clISt17integral_constantIbLb1EES19_IbLb0EEEEDaS15_S16_EUlS15_E_NS1_11comp_targetILNS1_3genE5ELNS1_11target_archE942ELNS1_3gpuE9ELNS1_3repE0EEENS1_30default_config_static_selectorELNS0_4arch9wavefront6targetE0EEEvT1_,"axG",@progbits,_ZN7rocprim17ROCPRIM_400000_NS6detail17trampoline_kernelINS0_14default_configENS1_25partition_config_selectorILNS1_17partition_subalgoE9EiibEEZZNS1_14partition_implILS5_9ELb0ES3_jPKiN6thrust23THRUST_200600_302600_NS17counting_iteratorIiNSB_11use_defaultESD_SD_EEPNS0_10empty_typeENS0_5tupleIJPiSF_EEENSH_IJSI_SG_EEENS0_18inequality_wrapperIN6hipcub16HIPCUB_304000_NS8EqualityEEEPlJSF_EEE10hipError_tPvRmT3_T4_T5_T6_T7_T9_mT8_P12ihipStream_tbDpT10_ENKUlT_T0_E_clISt17integral_constantIbLb1EES19_IbLb0EEEEDaS15_S16_EUlS15_E_NS1_11comp_targetILNS1_3genE5ELNS1_11target_archE942ELNS1_3gpuE9ELNS1_3repE0EEENS1_30default_config_static_selectorELNS0_4arch9wavefront6targetE0EEEvT1_,comdat
.Lfunc_end28:
	.size	_ZN7rocprim17ROCPRIM_400000_NS6detail17trampoline_kernelINS0_14default_configENS1_25partition_config_selectorILNS1_17partition_subalgoE9EiibEEZZNS1_14partition_implILS5_9ELb0ES3_jPKiN6thrust23THRUST_200600_302600_NS17counting_iteratorIiNSB_11use_defaultESD_SD_EEPNS0_10empty_typeENS0_5tupleIJPiSF_EEENSH_IJSI_SG_EEENS0_18inequality_wrapperIN6hipcub16HIPCUB_304000_NS8EqualityEEEPlJSF_EEE10hipError_tPvRmT3_T4_T5_T6_T7_T9_mT8_P12ihipStream_tbDpT10_ENKUlT_T0_E_clISt17integral_constantIbLb1EES19_IbLb0EEEEDaS15_S16_EUlS15_E_NS1_11comp_targetILNS1_3genE5ELNS1_11target_archE942ELNS1_3gpuE9ELNS1_3repE0EEENS1_30default_config_static_selectorELNS0_4arch9wavefront6targetE0EEEvT1_, .Lfunc_end28-_ZN7rocprim17ROCPRIM_400000_NS6detail17trampoline_kernelINS0_14default_configENS1_25partition_config_selectorILNS1_17partition_subalgoE9EiibEEZZNS1_14partition_implILS5_9ELb0ES3_jPKiN6thrust23THRUST_200600_302600_NS17counting_iteratorIiNSB_11use_defaultESD_SD_EEPNS0_10empty_typeENS0_5tupleIJPiSF_EEENSH_IJSI_SG_EEENS0_18inequality_wrapperIN6hipcub16HIPCUB_304000_NS8EqualityEEEPlJSF_EEE10hipError_tPvRmT3_T4_T5_T6_T7_T9_mT8_P12ihipStream_tbDpT10_ENKUlT_T0_E_clISt17integral_constantIbLb1EES19_IbLb0EEEEDaS15_S16_EUlS15_E_NS1_11comp_targetILNS1_3genE5ELNS1_11target_archE942ELNS1_3gpuE9ELNS1_3repE0EEENS1_30default_config_static_selectorELNS0_4arch9wavefront6targetE0EEEvT1_
                                        ; -- End function
	.set _ZN7rocprim17ROCPRIM_400000_NS6detail17trampoline_kernelINS0_14default_configENS1_25partition_config_selectorILNS1_17partition_subalgoE9EiibEEZZNS1_14partition_implILS5_9ELb0ES3_jPKiN6thrust23THRUST_200600_302600_NS17counting_iteratorIiNSB_11use_defaultESD_SD_EEPNS0_10empty_typeENS0_5tupleIJPiSF_EEENSH_IJSI_SG_EEENS0_18inequality_wrapperIN6hipcub16HIPCUB_304000_NS8EqualityEEEPlJSF_EEE10hipError_tPvRmT3_T4_T5_T6_T7_T9_mT8_P12ihipStream_tbDpT10_ENKUlT_T0_E_clISt17integral_constantIbLb1EES19_IbLb0EEEEDaS15_S16_EUlS15_E_NS1_11comp_targetILNS1_3genE5ELNS1_11target_archE942ELNS1_3gpuE9ELNS1_3repE0EEENS1_30default_config_static_selectorELNS0_4arch9wavefront6targetE0EEEvT1_.num_vgpr, 0
	.set _ZN7rocprim17ROCPRIM_400000_NS6detail17trampoline_kernelINS0_14default_configENS1_25partition_config_selectorILNS1_17partition_subalgoE9EiibEEZZNS1_14partition_implILS5_9ELb0ES3_jPKiN6thrust23THRUST_200600_302600_NS17counting_iteratorIiNSB_11use_defaultESD_SD_EEPNS0_10empty_typeENS0_5tupleIJPiSF_EEENSH_IJSI_SG_EEENS0_18inequality_wrapperIN6hipcub16HIPCUB_304000_NS8EqualityEEEPlJSF_EEE10hipError_tPvRmT3_T4_T5_T6_T7_T9_mT8_P12ihipStream_tbDpT10_ENKUlT_T0_E_clISt17integral_constantIbLb1EES19_IbLb0EEEEDaS15_S16_EUlS15_E_NS1_11comp_targetILNS1_3genE5ELNS1_11target_archE942ELNS1_3gpuE9ELNS1_3repE0EEENS1_30default_config_static_selectorELNS0_4arch9wavefront6targetE0EEEvT1_.num_agpr, 0
	.set _ZN7rocprim17ROCPRIM_400000_NS6detail17trampoline_kernelINS0_14default_configENS1_25partition_config_selectorILNS1_17partition_subalgoE9EiibEEZZNS1_14partition_implILS5_9ELb0ES3_jPKiN6thrust23THRUST_200600_302600_NS17counting_iteratorIiNSB_11use_defaultESD_SD_EEPNS0_10empty_typeENS0_5tupleIJPiSF_EEENSH_IJSI_SG_EEENS0_18inequality_wrapperIN6hipcub16HIPCUB_304000_NS8EqualityEEEPlJSF_EEE10hipError_tPvRmT3_T4_T5_T6_T7_T9_mT8_P12ihipStream_tbDpT10_ENKUlT_T0_E_clISt17integral_constantIbLb1EES19_IbLb0EEEEDaS15_S16_EUlS15_E_NS1_11comp_targetILNS1_3genE5ELNS1_11target_archE942ELNS1_3gpuE9ELNS1_3repE0EEENS1_30default_config_static_selectorELNS0_4arch9wavefront6targetE0EEEvT1_.numbered_sgpr, 0
	.set _ZN7rocprim17ROCPRIM_400000_NS6detail17trampoline_kernelINS0_14default_configENS1_25partition_config_selectorILNS1_17partition_subalgoE9EiibEEZZNS1_14partition_implILS5_9ELb0ES3_jPKiN6thrust23THRUST_200600_302600_NS17counting_iteratorIiNSB_11use_defaultESD_SD_EEPNS0_10empty_typeENS0_5tupleIJPiSF_EEENSH_IJSI_SG_EEENS0_18inequality_wrapperIN6hipcub16HIPCUB_304000_NS8EqualityEEEPlJSF_EEE10hipError_tPvRmT3_T4_T5_T6_T7_T9_mT8_P12ihipStream_tbDpT10_ENKUlT_T0_E_clISt17integral_constantIbLb1EES19_IbLb0EEEEDaS15_S16_EUlS15_E_NS1_11comp_targetILNS1_3genE5ELNS1_11target_archE942ELNS1_3gpuE9ELNS1_3repE0EEENS1_30default_config_static_selectorELNS0_4arch9wavefront6targetE0EEEvT1_.num_named_barrier, 0
	.set _ZN7rocprim17ROCPRIM_400000_NS6detail17trampoline_kernelINS0_14default_configENS1_25partition_config_selectorILNS1_17partition_subalgoE9EiibEEZZNS1_14partition_implILS5_9ELb0ES3_jPKiN6thrust23THRUST_200600_302600_NS17counting_iteratorIiNSB_11use_defaultESD_SD_EEPNS0_10empty_typeENS0_5tupleIJPiSF_EEENSH_IJSI_SG_EEENS0_18inequality_wrapperIN6hipcub16HIPCUB_304000_NS8EqualityEEEPlJSF_EEE10hipError_tPvRmT3_T4_T5_T6_T7_T9_mT8_P12ihipStream_tbDpT10_ENKUlT_T0_E_clISt17integral_constantIbLb1EES19_IbLb0EEEEDaS15_S16_EUlS15_E_NS1_11comp_targetILNS1_3genE5ELNS1_11target_archE942ELNS1_3gpuE9ELNS1_3repE0EEENS1_30default_config_static_selectorELNS0_4arch9wavefront6targetE0EEEvT1_.private_seg_size, 0
	.set _ZN7rocprim17ROCPRIM_400000_NS6detail17trampoline_kernelINS0_14default_configENS1_25partition_config_selectorILNS1_17partition_subalgoE9EiibEEZZNS1_14partition_implILS5_9ELb0ES3_jPKiN6thrust23THRUST_200600_302600_NS17counting_iteratorIiNSB_11use_defaultESD_SD_EEPNS0_10empty_typeENS0_5tupleIJPiSF_EEENSH_IJSI_SG_EEENS0_18inequality_wrapperIN6hipcub16HIPCUB_304000_NS8EqualityEEEPlJSF_EEE10hipError_tPvRmT3_T4_T5_T6_T7_T9_mT8_P12ihipStream_tbDpT10_ENKUlT_T0_E_clISt17integral_constantIbLb1EES19_IbLb0EEEEDaS15_S16_EUlS15_E_NS1_11comp_targetILNS1_3genE5ELNS1_11target_archE942ELNS1_3gpuE9ELNS1_3repE0EEENS1_30default_config_static_selectorELNS0_4arch9wavefront6targetE0EEEvT1_.uses_vcc, 0
	.set _ZN7rocprim17ROCPRIM_400000_NS6detail17trampoline_kernelINS0_14default_configENS1_25partition_config_selectorILNS1_17partition_subalgoE9EiibEEZZNS1_14partition_implILS5_9ELb0ES3_jPKiN6thrust23THRUST_200600_302600_NS17counting_iteratorIiNSB_11use_defaultESD_SD_EEPNS0_10empty_typeENS0_5tupleIJPiSF_EEENSH_IJSI_SG_EEENS0_18inequality_wrapperIN6hipcub16HIPCUB_304000_NS8EqualityEEEPlJSF_EEE10hipError_tPvRmT3_T4_T5_T6_T7_T9_mT8_P12ihipStream_tbDpT10_ENKUlT_T0_E_clISt17integral_constantIbLb1EES19_IbLb0EEEEDaS15_S16_EUlS15_E_NS1_11comp_targetILNS1_3genE5ELNS1_11target_archE942ELNS1_3gpuE9ELNS1_3repE0EEENS1_30default_config_static_selectorELNS0_4arch9wavefront6targetE0EEEvT1_.uses_flat_scratch, 0
	.set _ZN7rocprim17ROCPRIM_400000_NS6detail17trampoline_kernelINS0_14default_configENS1_25partition_config_selectorILNS1_17partition_subalgoE9EiibEEZZNS1_14partition_implILS5_9ELb0ES3_jPKiN6thrust23THRUST_200600_302600_NS17counting_iteratorIiNSB_11use_defaultESD_SD_EEPNS0_10empty_typeENS0_5tupleIJPiSF_EEENSH_IJSI_SG_EEENS0_18inequality_wrapperIN6hipcub16HIPCUB_304000_NS8EqualityEEEPlJSF_EEE10hipError_tPvRmT3_T4_T5_T6_T7_T9_mT8_P12ihipStream_tbDpT10_ENKUlT_T0_E_clISt17integral_constantIbLb1EES19_IbLb0EEEEDaS15_S16_EUlS15_E_NS1_11comp_targetILNS1_3genE5ELNS1_11target_archE942ELNS1_3gpuE9ELNS1_3repE0EEENS1_30default_config_static_selectorELNS0_4arch9wavefront6targetE0EEEvT1_.has_dyn_sized_stack, 0
	.set _ZN7rocprim17ROCPRIM_400000_NS6detail17trampoline_kernelINS0_14default_configENS1_25partition_config_selectorILNS1_17partition_subalgoE9EiibEEZZNS1_14partition_implILS5_9ELb0ES3_jPKiN6thrust23THRUST_200600_302600_NS17counting_iteratorIiNSB_11use_defaultESD_SD_EEPNS0_10empty_typeENS0_5tupleIJPiSF_EEENSH_IJSI_SG_EEENS0_18inequality_wrapperIN6hipcub16HIPCUB_304000_NS8EqualityEEEPlJSF_EEE10hipError_tPvRmT3_T4_T5_T6_T7_T9_mT8_P12ihipStream_tbDpT10_ENKUlT_T0_E_clISt17integral_constantIbLb1EES19_IbLb0EEEEDaS15_S16_EUlS15_E_NS1_11comp_targetILNS1_3genE5ELNS1_11target_archE942ELNS1_3gpuE9ELNS1_3repE0EEENS1_30default_config_static_selectorELNS0_4arch9wavefront6targetE0EEEvT1_.has_recursion, 0
	.set _ZN7rocprim17ROCPRIM_400000_NS6detail17trampoline_kernelINS0_14default_configENS1_25partition_config_selectorILNS1_17partition_subalgoE9EiibEEZZNS1_14partition_implILS5_9ELb0ES3_jPKiN6thrust23THRUST_200600_302600_NS17counting_iteratorIiNSB_11use_defaultESD_SD_EEPNS0_10empty_typeENS0_5tupleIJPiSF_EEENSH_IJSI_SG_EEENS0_18inequality_wrapperIN6hipcub16HIPCUB_304000_NS8EqualityEEEPlJSF_EEE10hipError_tPvRmT3_T4_T5_T6_T7_T9_mT8_P12ihipStream_tbDpT10_ENKUlT_T0_E_clISt17integral_constantIbLb1EES19_IbLb0EEEEDaS15_S16_EUlS15_E_NS1_11comp_targetILNS1_3genE5ELNS1_11target_archE942ELNS1_3gpuE9ELNS1_3repE0EEENS1_30default_config_static_selectorELNS0_4arch9wavefront6targetE0EEEvT1_.has_indirect_call, 0
	.section	.AMDGPU.csdata,"",@progbits
; Kernel info:
; codeLenInByte = 0
; TotalNumSgprs: 0
; NumVgprs: 0
; ScratchSize: 0
; MemoryBound: 0
; FloatMode: 240
; IeeeMode: 1
; LDSByteSize: 0 bytes/workgroup (compile time only)
; SGPRBlocks: 0
; VGPRBlocks: 0
; NumSGPRsForWavesPerEU: 1
; NumVGPRsForWavesPerEU: 1
; NamedBarCnt: 0
; Occupancy: 16
; WaveLimiterHint : 0
; COMPUTE_PGM_RSRC2:SCRATCH_EN: 0
; COMPUTE_PGM_RSRC2:USER_SGPR: 2
; COMPUTE_PGM_RSRC2:TRAP_HANDLER: 0
; COMPUTE_PGM_RSRC2:TGID_X_EN: 1
; COMPUTE_PGM_RSRC2:TGID_Y_EN: 0
; COMPUTE_PGM_RSRC2:TGID_Z_EN: 0
; COMPUTE_PGM_RSRC2:TIDIG_COMP_CNT: 0
	.section	.text._ZN7rocprim17ROCPRIM_400000_NS6detail17trampoline_kernelINS0_14default_configENS1_25partition_config_selectorILNS1_17partition_subalgoE9EiibEEZZNS1_14partition_implILS5_9ELb0ES3_jPKiN6thrust23THRUST_200600_302600_NS17counting_iteratorIiNSB_11use_defaultESD_SD_EEPNS0_10empty_typeENS0_5tupleIJPiSF_EEENSH_IJSI_SG_EEENS0_18inequality_wrapperIN6hipcub16HIPCUB_304000_NS8EqualityEEEPlJSF_EEE10hipError_tPvRmT3_T4_T5_T6_T7_T9_mT8_P12ihipStream_tbDpT10_ENKUlT_T0_E_clISt17integral_constantIbLb1EES19_IbLb0EEEEDaS15_S16_EUlS15_E_NS1_11comp_targetILNS1_3genE4ELNS1_11target_archE910ELNS1_3gpuE8ELNS1_3repE0EEENS1_30default_config_static_selectorELNS0_4arch9wavefront6targetE0EEEvT1_,"axG",@progbits,_ZN7rocprim17ROCPRIM_400000_NS6detail17trampoline_kernelINS0_14default_configENS1_25partition_config_selectorILNS1_17partition_subalgoE9EiibEEZZNS1_14partition_implILS5_9ELb0ES3_jPKiN6thrust23THRUST_200600_302600_NS17counting_iteratorIiNSB_11use_defaultESD_SD_EEPNS0_10empty_typeENS0_5tupleIJPiSF_EEENSH_IJSI_SG_EEENS0_18inequality_wrapperIN6hipcub16HIPCUB_304000_NS8EqualityEEEPlJSF_EEE10hipError_tPvRmT3_T4_T5_T6_T7_T9_mT8_P12ihipStream_tbDpT10_ENKUlT_T0_E_clISt17integral_constantIbLb1EES19_IbLb0EEEEDaS15_S16_EUlS15_E_NS1_11comp_targetILNS1_3genE4ELNS1_11target_archE910ELNS1_3gpuE8ELNS1_3repE0EEENS1_30default_config_static_selectorELNS0_4arch9wavefront6targetE0EEEvT1_,comdat
	.protected	_ZN7rocprim17ROCPRIM_400000_NS6detail17trampoline_kernelINS0_14default_configENS1_25partition_config_selectorILNS1_17partition_subalgoE9EiibEEZZNS1_14partition_implILS5_9ELb0ES3_jPKiN6thrust23THRUST_200600_302600_NS17counting_iteratorIiNSB_11use_defaultESD_SD_EEPNS0_10empty_typeENS0_5tupleIJPiSF_EEENSH_IJSI_SG_EEENS0_18inequality_wrapperIN6hipcub16HIPCUB_304000_NS8EqualityEEEPlJSF_EEE10hipError_tPvRmT3_T4_T5_T6_T7_T9_mT8_P12ihipStream_tbDpT10_ENKUlT_T0_E_clISt17integral_constantIbLb1EES19_IbLb0EEEEDaS15_S16_EUlS15_E_NS1_11comp_targetILNS1_3genE4ELNS1_11target_archE910ELNS1_3gpuE8ELNS1_3repE0EEENS1_30default_config_static_selectorELNS0_4arch9wavefront6targetE0EEEvT1_ ; -- Begin function _ZN7rocprim17ROCPRIM_400000_NS6detail17trampoline_kernelINS0_14default_configENS1_25partition_config_selectorILNS1_17partition_subalgoE9EiibEEZZNS1_14partition_implILS5_9ELb0ES3_jPKiN6thrust23THRUST_200600_302600_NS17counting_iteratorIiNSB_11use_defaultESD_SD_EEPNS0_10empty_typeENS0_5tupleIJPiSF_EEENSH_IJSI_SG_EEENS0_18inequality_wrapperIN6hipcub16HIPCUB_304000_NS8EqualityEEEPlJSF_EEE10hipError_tPvRmT3_T4_T5_T6_T7_T9_mT8_P12ihipStream_tbDpT10_ENKUlT_T0_E_clISt17integral_constantIbLb1EES19_IbLb0EEEEDaS15_S16_EUlS15_E_NS1_11comp_targetILNS1_3genE4ELNS1_11target_archE910ELNS1_3gpuE8ELNS1_3repE0EEENS1_30default_config_static_selectorELNS0_4arch9wavefront6targetE0EEEvT1_
	.globl	_ZN7rocprim17ROCPRIM_400000_NS6detail17trampoline_kernelINS0_14default_configENS1_25partition_config_selectorILNS1_17partition_subalgoE9EiibEEZZNS1_14partition_implILS5_9ELb0ES3_jPKiN6thrust23THRUST_200600_302600_NS17counting_iteratorIiNSB_11use_defaultESD_SD_EEPNS0_10empty_typeENS0_5tupleIJPiSF_EEENSH_IJSI_SG_EEENS0_18inequality_wrapperIN6hipcub16HIPCUB_304000_NS8EqualityEEEPlJSF_EEE10hipError_tPvRmT3_T4_T5_T6_T7_T9_mT8_P12ihipStream_tbDpT10_ENKUlT_T0_E_clISt17integral_constantIbLb1EES19_IbLb0EEEEDaS15_S16_EUlS15_E_NS1_11comp_targetILNS1_3genE4ELNS1_11target_archE910ELNS1_3gpuE8ELNS1_3repE0EEENS1_30default_config_static_selectorELNS0_4arch9wavefront6targetE0EEEvT1_
	.p2align	8
	.type	_ZN7rocprim17ROCPRIM_400000_NS6detail17trampoline_kernelINS0_14default_configENS1_25partition_config_selectorILNS1_17partition_subalgoE9EiibEEZZNS1_14partition_implILS5_9ELb0ES3_jPKiN6thrust23THRUST_200600_302600_NS17counting_iteratorIiNSB_11use_defaultESD_SD_EEPNS0_10empty_typeENS0_5tupleIJPiSF_EEENSH_IJSI_SG_EEENS0_18inequality_wrapperIN6hipcub16HIPCUB_304000_NS8EqualityEEEPlJSF_EEE10hipError_tPvRmT3_T4_T5_T6_T7_T9_mT8_P12ihipStream_tbDpT10_ENKUlT_T0_E_clISt17integral_constantIbLb1EES19_IbLb0EEEEDaS15_S16_EUlS15_E_NS1_11comp_targetILNS1_3genE4ELNS1_11target_archE910ELNS1_3gpuE8ELNS1_3repE0EEENS1_30default_config_static_selectorELNS0_4arch9wavefront6targetE0EEEvT1_,@function
_ZN7rocprim17ROCPRIM_400000_NS6detail17trampoline_kernelINS0_14default_configENS1_25partition_config_selectorILNS1_17partition_subalgoE9EiibEEZZNS1_14partition_implILS5_9ELb0ES3_jPKiN6thrust23THRUST_200600_302600_NS17counting_iteratorIiNSB_11use_defaultESD_SD_EEPNS0_10empty_typeENS0_5tupleIJPiSF_EEENSH_IJSI_SG_EEENS0_18inequality_wrapperIN6hipcub16HIPCUB_304000_NS8EqualityEEEPlJSF_EEE10hipError_tPvRmT3_T4_T5_T6_T7_T9_mT8_P12ihipStream_tbDpT10_ENKUlT_T0_E_clISt17integral_constantIbLb1EES19_IbLb0EEEEDaS15_S16_EUlS15_E_NS1_11comp_targetILNS1_3genE4ELNS1_11target_archE910ELNS1_3gpuE8ELNS1_3repE0EEENS1_30default_config_static_selectorELNS0_4arch9wavefront6targetE0EEEvT1_: ; @_ZN7rocprim17ROCPRIM_400000_NS6detail17trampoline_kernelINS0_14default_configENS1_25partition_config_selectorILNS1_17partition_subalgoE9EiibEEZZNS1_14partition_implILS5_9ELb0ES3_jPKiN6thrust23THRUST_200600_302600_NS17counting_iteratorIiNSB_11use_defaultESD_SD_EEPNS0_10empty_typeENS0_5tupleIJPiSF_EEENSH_IJSI_SG_EEENS0_18inequality_wrapperIN6hipcub16HIPCUB_304000_NS8EqualityEEEPlJSF_EEE10hipError_tPvRmT3_T4_T5_T6_T7_T9_mT8_P12ihipStream_tbDpT10_ENKUlT_T0_E_clISt17integral_constantIbLb1EES19_IbLb0EEEEDaS15_S16_EUlS15_E_NS1_11comp_targetILNS1_3genE4ELNS1_11target_archE910ELNS1_3gpuE8ELNS1_3repE0EEENS1_30default_config_static_selectorELNS0_4arch9wavefront6targetE0EEEvT1_
; %bb.0:
	.section	.rodata,"a",@progbits
	.p2align	6, 0x0
	.amdhsa_kernel _ZN7rocprim17ROCPRIM_400000_NS6detail17trampoline_kernelINS0_14default_configENS1_25partition_config_selectorILNS1_17partition_subalgoE9EiibEEZZNS1_14partition_implILS5_9ELb0ES3_jPKiN6thrust23THRUST_200600_302600_NS17counting_iteratorIiNSB_11use_defaultESD_SD_EEPNS0_10empty_typeENS0_5tupleIJPiSF_EEENSH_IJSI_SG_EEENS0_18inequality_wrapperIN6hipcub16HIPCUB_304000_NS8EqualityEEEPlJSF_EEE10hipError_tPvRmT3_T4_T5_T6_T7_T9_mT8_P12ihipStream_tbDpT10_ENKUlT_T0_E_clISt17integral_constantIbLb1EES19_IbLb0EEEEDaS15_S16_EUlS15_E_NS1_11comp_targetILNS1_3genE4ELNS1_11target_archE910ELNS1_3gpuE8ELNS1_3repE0EEENS1_30default_config_static_selectorELNS0_4arch9wavefront6targetE0EEEvT1_
		.amdhsa_group_segment_fixed_size 0
		.amdhsa_private_segment_fixed_size 0
		.amdhsa_kernarg_size 112
		.amdhsa_user_sgpr_count 2
		.amdhsa_user_sgpr_dispatch_ptr 0
		.amdhsa_user_sgpr_queue_ptr 0
		.amdhsa_user_sgpr_kernarg_segment_ptr 1
		.amdhsa_user_sgpr_dispatch_id 0
		.amdhsa_user_sgpr_kernarg_preload_length 0
		.amdhsa_user_sgpr_kernarg_preload_offset 0
		.amdhsa_user_sgpr_private_segment_size 0
		.amdhsa_wavefront_size32 1
		.amdhsa_uses_dynamic_stack 0
		.amdhsa_enable_private_segment 0
		.amdhsa_system_sgpr_workgroup_id_x 1
		.amdhsa_system_sgpr_workgroup_id_y 0
		.amdhsa_system_sgpr_workgroup_id_z 0
		.amdhsa_system_sgpr_workgroup_info 0
		.amdhsa_system_vgpr_workitem_id 0
		.amdhsa_next_free_vgpr 1
		.amdhsa_next_free_sgpr 1
		.amdhsa_named_barrier_count 0
		.amdhsa_reserve_vcc 0
		.amdhsa_float_round_mode_32 0
		.amdhsa_float_round_mode_16_64 0
		.amdhsa_float_denorm_mode_32 3
		.amdhsa_float_denorm_mode_16_64 3
		.amdhsa_fp16_overflow 0
		.amdhsa_memory_ordered 1
		.amdhsa_forward_progress 1
		.amdhsa_inst_pref_size 0
		.amdhsa_round_robin_scheduling 0
		.amdhsa_exception_fp_ieee_invalid_op 0
		.amdhsa_exception_fp_denorm_src 0
		.amdhsa_exception_fp_ieee_div_zero 0
		.amdhsa_exception_fp_ieee_overflow 0
		.amdhsa_exception_fp_ieee_underflow 0
		.amdhsa_exception_fp_ieee_inexact 0
		.amdhsa_exception_int_div_zero 0
	.end_amdhsa_kernel
	.section	.text._ZN7rocprim17ROCPRIM_400000_NS6detail17trampoline_kernelINS0_14default_configENS1_25partition_config_selectorILNS1_17partition_subalgoE9EiibEEZZNS1_14partition_implILS5_9ELb0ES3_jPKiN6thrust23THRUST_200600_302600_NS17counting_iteratorIiNSB_11use_defaultESD_SD_EEPNS0_10empty_typeENS0_5tupleIJPiSF_EEENSH_IJSI_SG_EEENS0_18inequality_wrapperIN6hipcub16HIPCUB_304000_NS8EqualityEEEPlJSF_EEE10hipError_tPvRmT3_T4_T5_T6_T7_T9_mT8_P12ihipStream_tbDpT10_ENKUlT_T0_E_clISt17integral_constantIbLb1EES19_IbLb0EEEEDaS15_S16_EUlS15_E_NS1_11comp_targetILNS1_3genE4ELNS1_11target_archE910ELNS1_3gpuE8ELNS1_3repE0EEENS1_30default_config_static_selectorELNS0_4arch9wavefront6targetE0EEEvT1_,"axG",@progbits,_ZN7rocprim17ROCPRIM_400000_NS6detail17trampoline_kernelINS0_14default_configENS1_25partition_config_selectorILNS1_17partition_subalgoE9EiibEEZZNS1_14partition_implILS5_9ELb0ES3_jPKiN6thrust23THRUST_200600_302600_NS17counting_iteratorIiNSB_11use_defaultESD_SD_EEPNS0_10empty_typeENS0_5tupleIJPiSF_EEENSH_IJSI_SG_EEENS0_18inequality_wrapperIN6hipcub16HIPCUB_304000_NS8EqualityEEEPlJSF_EEE10hipError_tPvRmT3_T4_T5_T6_T7_T9_mT8_P12ihipStream_tbDpT10_ENKUlT_T0_E_clISt17integral_constantIbLb1EES19_IbLb0EEEEDaS15_S16_EUlS15_E_NS1_11comp_targetILNS1_3genE4ELNS1_11target_archE910ELNS1_3gpuE8ELNS1_3repE0EEENS1_30default_config_static_selectorELNS0_4arch9wavefront6targetE0EEEvT1_,comdat
.Lfunc_end29:
	.size	_ZN7rocprim17ROCPRIM_400000_NS6detail17trampoline_kernelINS0_14default_configENS1_25partition_config_selectorILNS1_17partition_subalgoE9EiibEEZZNS1_14partition_implILS5_9ELb0ES3_jPKiN6thrust23THRUST_200600_302600_NS17counting_iteratorIiNSB_11use_defaultESD_SD_EEPNS0_10empty_typeENS0_5tupleIJPiSF_EEENSH_IJSI_SG_EEENS0_18inequality_wrapperIN6hipcub16HIPCUB_304000_NS8EqualityEEEPlJSF_EEE10hipError_tPvRmT3_T4_T5_T6_T7_T9_mT8_P12ihipStream_tbDpT10_ENKUlT_T0_E_clISt17integral_constantIbLb1EES19_IbLb0EEEEDaS15_S16_EUlS15_E_NS1_11comp_targetILNS1_3genE4ELNS1_11target_archE910ELNS1_3gpuE8ELNS1_3repE0EEENS1_30default_config_static_selectorELNS0_4arch9wavefront6targetE0EEEvT1_, .Lfunc_end29-_ZN7rocprim17ROCPRIM_400000_NS6detail17trampoline_kernelINS0_14default_configENS1_25partition_config_selectorILNS1_17partition_subalgoE9EiibEEZZNS1_14partition_implILS5_9ELb0ES3_jPKiN6thrust23THRUST_200600_302600_NS17counting_iteratorIiNSB_11use_defaultESD_SD_EEPNS0_10empty_typeENS0_5tupleIJPiSF_EEENSH_IJSI_SG_EEENS0_18inequality_wrapperIN6hipcub16HIPCUB_304000_NS8EqualityEEEPlJSF_EEE10hipError_tPvRmT3_T4_T5_T6_T7_T9_mT8_P12ihipStream_tbDpT10_ENKUlT_T0_E_clISt17integral_constantIbLb1EES19_IbLb0EEEEDaS15_S16_EUlS15_E_NS1_11comp_targetILNS1_3genE4ELNS1_11target_archE910ELNS1_3gpuE8ELNS1_3repE0EEENS1_30default_config_static_selectorELNS0_4arch9wavefront6targetE0EEEvT1_
                                        ; -- End function
	.set _ZN7rocprim17ROCPRIM_400000_NS6detail17trampoline_kernelINS0_14default_configENS1_25partition_config_selectorILNS1_17partition_subalgoE9EiibEEZZNS1_14partition_implILS5_9ELb0ES3_jPKiN6thrust23THRUST_200600_302600_NS17counting_iteratorIiNSB_11use_defaultESD_SD_EEPNS0_10empty_typeENS0_5tupleIJPiSF_EEENSH_IJSI_SG_EEENS0_18inequality_wrapperIN6hipcub16HIPCUB_304000_NS8EqualityEEEPlJSF_EEE10hipError_tPvRmT3_T4_T5_T6_T7_T9_mT8_P12ihipStream_tbDpT10_ENKUlT_T0_E_clISt17integral_constantIbLb1EES19_IbLb0EEEEDaS15_S16_EUlS15_E_NS1_11comp_targetILNS1_3genE4ELNS1_11target_archE910ELNS1_3gpuE8ELNS1_3repE0EEENS1_30default_config_static_selectorELNS0_4arch9wavefront6targetE0EEEvT1_.num_vgpr, 0
	.set _ZN7rocprim17ROCPRIM_400000_NS6detail17trampoline_kernelINS0_14default_configENS1_25partition_config_selectorILNS1_17partition_subalgoE9EiibEEZZNS1_14partition_implILS5_9ELb0ES3_jPKiN6thrust23THRUST_200600_302600_NS17counting_iteratorIiNSB_11use_defaultESD_SD_EEPNS0_10empty_typeENS0_5tupleIJPiSF_EEENSH_IJSI_SG_EEENS0_18inequality_wrapperIN6hipcub16HIPCUB_304000_NS8EqualityEEEPlJSF_EEE10hipError_tPvRmT3_T4_T5_T6_T7_T9_mT8_P12ihipStream_tbDpT10_ENKUlT_T0_E_clISt17integral_constantIbLb1EES19_IbLb0EEEEDaS15_S16_EUlS15_E_NS1_11comp_targetILNS1_3genE4ELNS1_11target_archE910ELNS1_3gpuE8ELNS1_3repE0EEENS1_30default_config_static_selectorELNS0_4arch9wavefront6targetE0EEEvT1_.num_agpr, 0
	.set _ZN7rocprim17ROCPRIM_400000_NS6detail17trampoline_kernelINS0_14default_configENS1_25partition_config_selectorILNS1_17partition_subalgoE9EiibEEZZNS1_14partition_implILS5_9ELb0ES3_jPKiN6thrust23THRUST_200600_302600_NS17counting_iteratorIiNSB_11use_defaultESD_SD_EEPNS0_10empty_typeENS0_5tupleIJPiSF_EEENSH_IJSI_SG_EEENS0_18inequality_wrapperIN6hipcub16HIPCUB_304000_NS8EqualityEEEPlJSF_EEE10hipError_tPvRmT3_T4_T5_T6_T7_T9_mT8_P12ihipStream_tbDpT10_ENKUlT_T0_E_clISt17integral_constantIbLb1EES19_IbLb0EEEEDaS15_S16_EUlS15_E_NS1_11comp_targetILNS1_3genE4ELNS1_11target_archE910ELNS1_3gpuE8ELNS1_3repE0EEENS1_30default_config_static_selectorELNS0_4arch9wavefront6targetE0EEEvT1_.numbered_sgpr, 0
	.set _ZN7rocprim17ROCPRIM_400000_NS6detail17trampoline_kernelINS0_14default_configENS1_25partition_config_selectorILNS1_17partition_subalgoE9EiibEEZZNS1_14partition_implILS5_9ELb0ES3_jPKiN6thrust23THRUST_200600_302600_NS17counting_iteratorIiNSB_11use_defaultESD_SD_EEPNS0_10empty_typeENS0_5tupleIJPiSF_EEENSH_IJSI_SG_EEENS0_18inequality_wrapperIN6hipcub16HIPCUB_304000_NS8EqualityEEEPlJSF_EEE10hipError_tPvRmT3_T4_T5_T6_T7_T9_mT8_P12ihipStream_tbDpT10_ENKUlT_T0_E_clISt17integral_constantIbLb1EES19_IbLb0EEEEDaS15_S16_EUlS15_E_NS1_11comp_targetILNS1_3genE4ELNS1_11target_archE910ELNS1_3gpuE8ELNS1_3repE0EEENS1_30default_config_static_selectorELNS0_4arch9wavefront6targetE0EEEvT1_.num_named_barrier, 0
	.set _ZN7rocprim17ROCPRIM_400000_NS6detail17trampoline_kernelINS0_14default_configENS1_25partition_config_selectorILNS1_17partition_subalgoE9EiibEEZZNS1_14partition_implILS5_9ELb0ES3_jPKiN6thrust23THRUST_200600_302600_NS17counting_iteratorIiNSB_11use_defaultESD_SD_EEPNS0_10empty_typeENS0_5tupleIJPiSF_EEENSH_IJSI_SG_EEENS0_18inequality_wrapperIN6hipcub16HIPCUB_304000_NS8EqualityEEEPlJSF_EEE10hipError_tPvRmT3_T4_T5_T6_T7_T9_mT8_P12ihipStream_tbDpT10_ENKUlT_T0_E_clISt17integral_constantIbLb1EES19_IbLb0EEEEDaS15_S16_EUlS15_E_NS1_11comp_targetILNS1_3genE4ELNS1_11target_archE910ELNS1_3gpuE8ELNS1_3repE0EEENS1_30default_config_static_selectorELNS0_4arch9wavefront6targetE0EEEvT1_.private_seg_size, 0
	.set _ZN7rocprim17ROCPRIM_400000_NS6detail17trampoline_kernelINS0_14default_configENS1_25partition_config_selectorILNS1_17partition_subalgoE9EiibEEZZNS1_14partition_implILS5_9ELb0ES3_jPKiN6thrust23THRUST_200600_302600_NS17counting_iteratorIiNSB_11use_defaultESD_SD_EEPNS0_10empty_typeENS0_5tupleIJPiSF_EEENSH_IJSI_SG_EEENS0_18inequality_wrapperIN6hipcub16HIPCUB_304000_NS8EqualityEEEPlJSF_EEE10hipError_tPvRmT3_T4_T5_T6_T7_T9_mT8_P12ihipStream_tbDpT10_ENKUlT_T0_E_clISt17integral_constantIbLb1EES19_IbLb0EEEEDaS15_S16_EUlS15_E_NS1_11comp_targetILNS1_3genE4ELNS1_11target_archE910ELNS1_3gpuE8ELNS1_3repE0EEENS1_30default_config_static_selectorELNS0_4arch9wavefront6targetE0EEEvT1_.uses_vcc, 0
	.set _ZN7rocprim17ROCPRIM_400000_NS6detail17trampoline_kernelINS0_14default_configENS1_25partition_config_selectorILNS1_17partition_subalgoE9EiibEEZZNS1_14partition_implILS5_9ELb0ES3_jPKiN6thrust23THRUST_200600_302600_NS17counting_iteratorIiNSB_11use_defaultESD_SD_EEPNS0_10empty_typeENS0_5tupleIJPiSF_EEENSH_IJSI_SG_EEENS0_18inequality_wrapperIN6hipcub16HIPCUB_304000_NS8EqualityEEEPlJSF_EEE10hipError_tPvRmT3_T4_T5_T6_T7_T9_mT8_P12ihipStream_tbDpT10_ENKUlT_T0_E_clISt17integral_constantIbLb1EES19_IbLb0EEEEDaS15_S16_EUlS15_E_NS1_11comp_targetILNS1_3genE4ELNS1_11target_archE910ELNS1_3gpuE8ELNS1_3repE0EEENS1_30default_config_static_selectorELNS0_4arch9wavefront6targetE0EEEvT1_.uses_flat_scratch, 0
	.set _ZN7rocprim17ROCPRIM_400000_NS6detail17trampoline_kernelINS0_14default_configENS1_25partition_config_selectorILNS1_17partition_subalgoE9EiibEEZZNS1_14partition_implILS5_9ELb0ES3_jPKiN6thrust23THRUST_200600_302600_NS17counting_iteratorIiNSB_11use_defaultESD_SD_EEPNS0_10empty_typeENS0_5tupleIJPiSF_EEENSH_IJSI_SG_EEENS0_18inequality_wrapperIN6hipcub16HIPCUB_304000_NS8EqualityEEEPlJSF_EEE10hipError_tPvRmT3_T4_T5_T6_T7_T9_mT8_P12ihipStream_tbDpT10_ENKUlT_T0_E_clISt17integral_constantIbLb1EES19_IbLb0EEEEDaS15_S16_EUlS15_E_NS1_11comp_targetILNS1_3genE4ELNS1_11target_archE910ELNS1_3gpuE8ELNS1_3repE0EEENS1_30default_config_static_selectorELNS0_4arch9wavefront6targetE0EEEvT1_.has_dyn_sized_stack, 0
	.set _ZN7rocprim17ROCPRIM_400000_NS6detail17trampoline_kernelINS0_14default_configENS1_25partition_config_selectorILNS1_17partition_subalgoE9EiibEEZZNS1_14partition_implILS5_9ELb0ES3_jPKiN6thrust23THRUST_200600_302600_NS17counting_iteratorIiNSB_11use_defaultESD_SD_EEPNS0_10empty_typeENS0_5tupleIJPiSF_EEENSH_IJSI_SG_EEENS0_18inequality_wrapperIN6hipcub16HIPCUB_304000_NS8EqualityEEEPlJSF_EEE10hipError_tPvRmT3_T4_T5_T6_T7_T9_mT8_P12ihipStream_tbDpT10_ENKUlT_T0_E_clISt17integral_constantIbLb1EES19_IbLb0EEEEDaS15_S16_EUlS15_E_NS1_11comp_targetILNS1_3genE4ELNS1_11target_archE910ELNS1_3gpuE8ELNS1_3repE0EEENS1_30default_config_static_selectorELNS0_4arch9wavefront6targetE0EEEvT1_.has_recursion, 0
	.set _ZN7rocprim17ROCPRIM_400000_NS6detail17trampoline_kernelINS0_14default_configENS1_25partition_config_selectorILNS1_17partition_subalgoE9EiibEEZZNS1_14partition_implILS5_9ELb0ES3_jPKiN6thrust23THRUST_200600_302600_NS17counting_iteratorIiNSB_11use_defaultESD_SD_EEPNS0_10empty_typeENS0_5tupleIJPiSF_EEENSH_IJSI_SG_EEENS0_18inequality_wrapperIN6hipcub16HIPCUB_304000_NS8EqualityEEEPlJSF_EEE10hipError_tPvRmT3_T4_T5_T6_T7_T9_mT8_P12ihipStream_tbDpT10_ENKUlT_T0_E_clISt17integral_constantIbLb1EES19_IbLb0EEEEDaS15_S16_EUlS15_E_NS1_11comp_targetILNS1_3genE4ELNS1_11target_archE910ELNS1_3gpuE8ELNS1_3repE0EEENS1_30default_config_static_selectorELNS0_4arch9wavefront6targetE0EEEvT1_.has_indirect_call, 0
	.section	.AMDGPU.csdata,"",@progbits
; Kernel info:
; codeLenInByte = 0
; TotalNumSgprs: 0
; NumVgprs: 0
; ScratchSize: 0
; MemoryBound: 0
; FloatMode: 240
; IeeeMode: 1
; LDSByteSize: 0 bytes/workgroup (compile time only)
; SGPRBlocks: 0
; VGPRBlocks: 0
; NumSGPRsForWavesPerEU: 1
; NumVGPRsForWavesPerEU: 1
; NamedBarCnt: 0
; Occupancy: 16
; WaveLimiterHint : 0
; COMPUTE_PGM_RSRC2:SCRATCH_EN: 0
; COMPUTE_PGM_RSRC2:USER_SGPR: 2
; COMPUTE_PGM_RSRC2:TRAP_HANDLER: 0
; COMPUTE_PGM_RSRC2:TGID_X_EN: 1
; COMPUTE_PGM_RSRC2:TGID_Y_EN: 0
; COMPUTE_PGM_RSRC2:TGID_Z_EN: 0
; COMPUTE_PGM_RSRC2:TIDIG_COMP_CNT: 0
	.section	.text._ZN7rocprim17ROCPRIM_400000_NS6detail17trampoline_kernelINS0_14default_configENS1_25partition_config_selectorILNS1_17partition_subalgoE9EiibEEZZNS1_14partition_implILS5_9ELb0ES3_jPKiN6thrust23THRUST_200600_302600_NS17counting_iteratorIiNSB_11use_defaultESD_SD_EEPNS0_10empty_typeENS0_5tupleIJPiSF_EEENSH_IJSI_SG_EEENS0_18inequality_wrapperIN6hipcub16HIPCUB_304000_NS8EqualityEEEPlJSF_EEE10hipError_tPvRmT3_T4_T5_T6_T7_T9_mT8_P12ihipStream_tbDpT10_ENKUlT_T0_E_clISt17integral_constantIbLb1EES19_IbLb0EEEEDaS15_S16_EUlS15_E_NS1_11comp_targetILNS1_3genE3ELNS1_11target_archE908ELNS1_3gpuE7ELNS1_3repE0EEENS1_30default_config_static_selectorELNS0_4arch9wavefront6targetE0EEEvT1_,"axG",@progbits,_ZN7rocprim17ROCPRIM_400000_NS6detail17trampoline_kernelINS0_14default_configENS1_25partition_config_selectorILNS1_17partition_subalgoE9EiibEEZZNS1_14partition_implILS5_9ELb0ES3_jPKiN6thrust23THRUST_200600_302600_NS17counting_iteratorIiNSB_11use_defaultESD_SD_EEPNS0_10empty_typeENS0_5tupleIJPiSF_EEENSH_IJSI_SG_EEENS0_18inequality_wrapperIN6hipcub16HIPCUB_304000_NS8EqualityEEEPlJSF_EEE10hipError_tPvRmT3_T4_T5_T6_T7_T9_mT8_P12ihipStream_tbDpT10_ENKUlT_T0_E_clISt17integral_constantIbLb1EES19_IbLb0EEEEDaS15_S16_EUlS15_E_NS1_11comp_targetILNS1_3genE3ELNS1_11target_archE908ELNS1_3gpuE7ELNS1_3repE0EEENS1_30default_config_static_selectorELNS0_4arch9wavefront6targetE0EEEvT1_,comdat
	.protected	_ZN7rocprim17ROCPRIM_400000_NS6detail17trampoline_kernelINS0_14default_configENS1_25partition_config_selectorILNS1_17partition_subalgoE9EiibEEZZNS1_14partition_implILS5_9ELb0ES3_jPKiN6thrust23THRUST_200600_302600_NS17counting_iteratorIiNSB_11use_defaultESD_SD_EEPNS0_10empty_typeENS0_5tupleIJPiSF_EEENSH_IJSI_SG_EEENS0_18inequality_wrapperIN6hipcub16HIPCUB_304000_NS8EqualityEEEPlJSF_EEE10hipError_tPvRmT3_T4_T5_T6_T7_T9_mT8_P12ihipStream_tbDpT10_ENKUlT_T0_E_clISt17integral_constantIbLb1EES19_IbLb0EEEEDaS15_S16_EUlS15_E_NS1_11comp_targetILNS1_3genE3ELNS1_11target_archE908ELNS1_3gpuE7ELNS1_3repE0EEENS1_30default_config_static_selectorELNS0_4arch9wavefront6targetE0EEEvT1_ ; -- Begin function _ZN7rocprim17ROCPRIM_400000_NS6detail17trampoline_kernelINS0_14default_configENS1_25partition_config_selectorILNS1_17partition_subalgoE9EiibEEZZNS1_14partition_implILS5_9ELb0ES3_jPKiN6thrust23THRUST_200600_302600_NS17counting_iteratorIiNSB_11use_defaultESD_SD_EEPNS0_10empty_typeENS0_5tupleIJPiSF_EEENSH_IJSI_SG_EEENS0_18inequality_wrapperIN6hipcub16HIPCUB_304000_NS8EqualityEEEPlJSF_EEE10hipError_tPvRmT3_T4_T5_T6_T7_T9_mT8_P12ihipStream_tbDpT10_ENKUlT_T0_E_clISt17integral_constantIbLb1EES19_IbLb0EEEEDaS15_S16_EUlS15_E_NS1_11comp_targetILNS1_3genE3ELNS1_11target_archE908ELNS1_3gpuE7ELNS1_3repE0EEENS1_30default_config_static_selectorELNS0_4arch9wavefront6targetE0EEEvT1_
	.globl	_ZN7rocprim17ROCPRIM_400000_NS6detail17trampoline_kernelINS0_14default_configENS1_25partition_config_selectorILNS1_17partition_subalgoE9EiibEEZZNS1_14partition_implILS5_9ELb0ES3_jPKiN6thrust23THRUST_200600_302600_NS17counting_iteratorIiNSB_11use_defaultESD_SD_EEPNS0_10empty_typeENS0_5tupleIJPiSF_EEENSH_IJSI_SG_EEENS0_18inequality_wrapperIN6hipcub16HIPCUB_304000_NS8EqualityEEEPlJSF_EEE10hipError_tPvRmT3_T4_T5_T6_T7_T9_mT8_P12ihipStream_tbDpT10_ENKUlT_T0_E_clISt17integral_constantIbLb1EES19_IbLb0EEEEDaS15_S16_EUlS15_E_NS1_11comp_targetILNS1_3genE3ELNS1_11target_archE908ELNS1_3gpuE7ELNS1_3repE0EEENS1_30default_config_static_selectorELNS0_4arch9wavefront6targetE0EEEvT1_
	.p2align	8
	.type	_ZN7rocprim17ROCPRIM_400000_NS6detail17trampoline_kernelINS0_14default_configENS1_25partition_config_selectorILNS1_17partition_subalgoE9EiibEEZZNS1_14partition_implILS5_9ELb0ES3_jPKiN6thrust23THRUST_200600_302600_NS17counting_iteratorIiNSB_11use_defaultESD_SD_EEPNS0_10empty_typeENS0_5tupleIJPiSF_EEENSH_IJSI_SG_EEENS0_18inequality_wrapperIN6hipcub16HIPCUB_304000_NS8EqualityEEEPlJSF_EEE10hipError_tPvRmT3_T4_T5_T6_T7_T9_mT8_P12ihipStream_tbDpT10_ENKUlT_T0_E_clISt17integral_constantIbLb1EES19_IbLb0EEEEDaS15_S16_EUlS15_E_NS1_11comp_targetILNS1_3genE3ELNS1_11target_archE908ELNS1_3gpuE7ELNS1_3repE0EEENS1_30default_config_static_selectorELNS0_4arch9wavefront6targetE0EEEvT1_,@function
_ZN7rocprim17ROCPRIM_400000_NS6detail17trampoline_kernelINS0_14default_configENS1_25partition_config_selectorILNS1_17partition_subalgoE9EiibEEZZNS1_14partition_implILS5_9ELb0ES3_jPKiN6thrust23THRUST_200600_302600_NS17counting_iteratorIiNSB_11use_defaultESD_SD_EEPNS0_10empty_typeENS0_5tupleIJPiSF_EEENSH_IJSI_SG_EEENS0_18inequality_wrapperIN6hipcub16HIPCUB_304000_NS8EqualityEEEPlJSF_EEE10hipError_tPvRmT3_T4_T5_T6_T7_T9_mT8_P12ihipStream_tbDpT10_ENKUlT_T0_E_clISt17integral_constantIbLb1EES19_IbLb0EEEEDaS15_S16_EUlS15_E_NS1_11comp_targetILNS1_3genE3ELNS1_11target_archE908ELNS1_3gpuE7ELNS1_3repE0EEENS1_30default_config_static_selectorELNS0_4arch9wavefront6targetE0EEEvT1_: ; @_ZN7rocprim17ROCPRIM_400000_NS6detail17trampoline_kernelINS0_14default_configENS1_25partition_config_selectorILNS1_17partition_subalgoE9EiibEEZZNS1_14partition_implILS5_9ELb0ES3_jPKiN6thrust23THRUST_200600_302600_NS17counting_iteratorIiNSB_11use_defaultESD_SD_EEPNS0_10empty_typeENS0_5tupleIJPiSF_EEENSH_IJSI_SG_EEENS0_18inequality_wrapperIN6hipcub16HIPCUB_304000_NS8EqualityEEEPlJSF_EEE10hipError_tPvRmT3_T4_T5_T6_T7_T9_mT8_P12ihipStream_tbDpT10_ENKUlT_T0_E_clISt17integral_constantIbLb1EES19_IbLb0EEEEDaS15_S16_EUlS15_E_NS1_11comp_targetILNS1_3genE3ELNS1_11target_archE908ELNS1_3gpuE7ELNS1_3repE0EEENS1_30default_config_static_selectorELNS0_4arch9wavefront6targetE0EEEvT1_
; %bb.0:
	.section	.rodata,"a",@progbits
	.p2align	6, 0x0
	.amdhsa_kernel _ZN7rocprim17ROCPRIM_400000_NS6detail17trampoline_kernelINS0_14default_configENS1_25partition_config_selectorILNS1_17partition_subalgoE9EiibEEZZNS1_14partition_implILS5_9ELb0ES3_jPKiN6thrust23THRUST_200600_302600_NS17counting_iteratorIiNSB_11use_defaultESD_SD_EEPNS0_10empty_typeENS0_5tupleIJPiSF_EEENSH_IJSI_SG_EEENS0_18inequality_wrapperIN6hipcub16HIPCUB_304000_NS8EqualityEEEPlJSF_EEE10hipError_tPvRmT3_T4_T5_T6_T7_T9_mT8_P12ihipStream_tbDpT10_ENKUlT_T0_E_clISt17integral_constantIbLb1EES19_IbLb0EEEEDaS15_S16_EUlS15_E_NS1_11comp_targetILNS1_3genE3ELNS1_11target_archE908ELNS1_3gpuE7ELNS1_3repE0EEENS1_30default_config_static_selectorELNS0_4arch9wavefront6targetE0EEEvT1_
		.amdhsa_group_segment_fixed_size 0
		.amdhsa_private_segment_fixed_size 0
		.amdhsa_kernarg_size 112
		.amdhsa_user_sgpr_count 2
		.amdhsa_user_sgpr_dispatch_ptr 0
		.amdhsa_user_sgpr_queue_ptr 0
		.amdhsa_user_sgpr_kernarg_segment_ptr 1
		.amdhsa_user_sgpr_dispatch_id 0
		.amdhsa_user_sgpr_kernarg_preload_length 0
		.amdhsa_user_sgpr_kernarg_preload_offset 0
		.amdhsa_user_sgpr_private_segment_size 0
		.amdhsa_wavefront_size32 1
		.amdhsa_uses_dynamic_stack 0
		.amdhsa_enable_private_segment 0
		.amdhsa_system_sgpr_workgroup_id_x 1
		.amdhsa_system_sgpr_workgroup_id_y 0
		.amdhsa_system_sgpr_workgroup_id_z 0
		.amdhsa_system_sgpr_workgroup_info 0
		.amdhsa_system_vgpr_workitem_id 0
		.amdhsa_next_free_vgpr 1
		.amdhsa_next_free_sgpr 1
		.amdhsa_named_barrier_count 0
		.amdhsa_reserve_vcc 0
		.amdhsa_float_round_mode_32 0
		.amdhsa_float_round_mode_16_64 0
		.amdhsa_float_denorm_mode_32 3
		.amdhsa_float_denorm_mode_16_64 3
		.amdhsa_fp16_overflow 0
		.amdhsa_memory_ordered 1
		.amdhsa_forward_progress 1
		.amdhsa_inst_pref_size 0
		.amdhsa_round_robin_scheduling 0
		.amdhsa_exception_fp_ieee_invalid_op 0
		.amdhsa_exception_fp_denorm_src 0
		.amdhsa_exception_fp_ieee_div_zero 0
		.amdhsa_exception_fp_ieee_overflow 0
		.amdhsa_exception_fp_ieee_underflow 0
		.amdhsa_exception_fp_ieee_inexact 0
		.amdhsa_exception_int_div_zero 0
	.end_amdhsa_kernel
	.section	.text._ZN7rocprim17ROCPRIM_400000_NS6detail17trampoline_kernelINS0_14default_configENS1_25partition_config_selectorILNS1_17partition_subalgoE9EiibEEZZNS1_14partition_implILS5_9ELb0ES3_jPKiN6thrust23THRUST_200600_302600_NS17counting_iteratorIiNSB_11use_defaultESD_SD_EEPNS0_10empty_typeENS0_5tupleIJPiSF_EEENSH_IJSI_SG_EEENS0_18inequality_wrapperIN6hipcub16HIPCUB_304000_NS8EqualityEEEPlJSF_EEE10hipError_tPvRmT3_T4_T5_T6_T7_T9_mT8_P12ihipStream_tbDpT10_ENKUlT_T0_E_clISt17integral_constantIbLb1EES19_IbLb0EEEEDaS15_S16_EUlS15_E_NS1_11comp_targetILNS1_3genE3ELNS1_11target_archE908ELNS1_3gpuE7ELNS1_3repE0EEENS1_30default_config_static_selectorELNS0_4arch9wavefront6targetE0EEEvT1_,"axG",@progbits,_ZN7rocprim17ROCPRIM_400000_NS6detail17trampoline_kernelINS0_14default_configENS1_25partition_config_selectorILNS1_17partition_subalgoE9EiibEEZZNS1_14partition_implILS5_9ELb0ES3_jPKiN6thrust23THRUST_200600_302600_NS17counting_iteratorIiNSB_11use_defaultESD_SD_EEPNS0_10empty_typeENS0_5tupleIJPiSF_EEENSH_IJSI_SG_EEENS0_18inequality_wrapperIN6hipcub16HIPCUB_304000_NS8EqualityEEEPlJSF_EEE10hipError_tPvRmT3_T4_T5_T6_T7_T9_mT8_P12ihipStream_tbDpT10_ENKUlT_T0_E_clISt17integral_constantIbLb1EES19_IbLb0EEEEDaS15_S16_EUlS15_E_NS1_11comp_targetILNS1_3genE3ELNS1_11target_archE908ELNS1_3gpuE7ELNS1_3repE0EEENS1_30default_config_static_selectorELNS0_4arch9wavefront6targetE0EEEvT1_,comdat
.Lfunc_end30:
	.size	_ZN7rocprim17ROCPRIM_400000_NS6detail17trampoline_kernelINS0_14default_configENS1_25partition_config_selectorILNS1_17partition_subalgoE9EiibEEZZNS1_14partition_implILS5_9ELb0ES3_jPKiN6thrust23THRUST_200600_302600_NS17counting_iteratorIiNSB_11use_defaultESD_SD_EEPNS0_10empty_typeENS0_5tupleIJPiSF_EEENSH_IJSI_SG_EEENS0_18inequality_wrapperIN6hipcub16HIPCUB_304000_NS8EqualityEEEPlJSF_EEE10hipError_tPvRmT3_T4_T5_T6_T7_T9_mT8_P12ihipStream_tbDpT10_ENKUlT_T0_E_clISt17integral_constantIbLb1EES19_IbLb0EEEEDaS15_S16_EUlS15_E_NS1_11comp_targetILNS1_3genE3ELNS1_11target_archE908ELNS1_3gpuE7ELNS1_3repE0EEENS1_30default_config_static_selectorELNS0_4arch9wavefront6targetE0EEEvT1_, .Lfunc_end30-_ZN7rocprim17ROCPRIM_400000_NS6detail17trampoline_kernelINS0_14default_configENS1_25partition_config_selectorILNS1_17partition_subalgoE9EiibEEZZNS1_14partition_implILS5_9ELb0ES3_jPKiN6thrust23THRUST_200600_302600_NS17counting_iteratorIiNSB_11use_defaultESD_SD_EEPNS0_10empty_typeENS0_5tupleIJPiSF_EEENSH_IJSI_SG_EEENS0_18inequality_wrapperIN6hipcub16HIPCUB_304000_NS8EqualityEEEPlJSF_EEE10hipError_tPvRmT3_T4_T5_T6_T7_T9_mT8_P12ihipStream_tbDpT10_ENKUlT_T0_E_clISt17integral_constantIbLb1EES19_IbLb0EEEEDaS15_S16_EUlS15_E_NS1_11comp_targetILNS1_3genE3ELNS1_11target_archE908ELNS1_3gpuE7ELNS1_3repE0EEENS1_30default_config_static_selectorELNS0_4arch9wavefront6targetE0EEEvT1_
                                        ; -- End function
	.set _ZN7rocprim17ROCPRIM_400000_NS6detail17trampoline_kernelINS0_14default_configENS1_25partition_config_selectorILNS1_17partition_subalgoE9EiibEEZZNS1_14partition_implILS5_9ELb0ES3_jPKiN6thrust23THRUST_200600_302600_NS17counting_iteratorIiNSB_11use_defaultESD_SD_EEPNS0_10empty_typeENS0_5tupleIJPiSF_EEENSH_IJSI_SG_EEENS0_18inequality_wrapperIN6hipcub16HIPCUB_304000_NS8EqualityEEEPlJSF_EEE10hipError_tPvRmT3_T4_T5_T6_T7_T9_mT8_P12ihipStream_tbDpT10_ENKUlT_T0_E_clISt17integral_constantIbLb1EES19_IbLb0EEEEDaS15_S16_EUlS15_E_NS1_11comp_targetILNS1_3genE3ELNS1_11target_archE908ELNS1_3gpuE7ELNS1_3repE0EEENS1_30default_config_static_selectorELNS0_4arch9wavefront6targetE0EEEvT1_.num_vgpr, 0
	.set _ZN7rocprim17ROCPRIM_400000_NS6detail17trampoline_kernelINS0_14default_configENS1_25partition_config_selectorILNS1_17partition_subalgoE9EiibEEZZNS1_14partition_implILS5_9ELb0ES3_jPKiN6thrust23THRUST_200600_302600_NS17counting_iteratorIiNSB_11use_defaultESD_SD_EEPNS0_10empty_typeENS0_5tupleIJPiSF_EEENSH_IJSI_SG_EEENS0_18inequality_wrapperIN6hipcub16HIPCUB_304000_NS8EqualityEEEPlJSF_EEE10hipError_tPvRmT3_T4_T5_T6_T7_T9_mT8_P12ihipStream_tbDpT10_ENKUlT_T0_E_clISt17integral_constantIbLb1EES19_IbLb0EEEEDaS15_S16_EUlS15_E_NS1_11comp_targetILNS1_3genE3ELNS1_11target_archE908ELNS1_3gpuE7ELNS1_3repE0EEENS1_30default_config_static_selectorELNS0_4arch9wavefront6targetE0EEEvT1_.num_agpr, 0
	.set _ZN7rocprim17ROCPRIM_400000_NS6detail17trampoline_kernelINS0_14default_configENS1_25partition_config_selectorILNS1_17partition_subalgoE9EiibEEZZNS1_14partition_implILS5_9ELb0ES3_jPKiN6thrust23THRUST_200600_302600_NS17counting_iteratorIiNSB_11use_defaultESD_SD_EEPNS0_10empty_typeENS0_5tupleIJPiSF_EEENSH_IJSI_SG_EEENS0_18inequality_wrapperIN6hipcub16HIPCUB_304000_NS8EqualityEEEPlJSF_EEE10hipError_tPvRmT3_T4_T5_T6_T7_T9_mT8_P12ihipStream_tbDpT10_ENKUlT_T0_E_clISt17integral_constantIbLb1EES19_IbLb0EEEEDaS15_S16_EUlS15_E_NS1_11comp_targetILNS1_3genE3ELNS1_11target_archE908ELNS1_3gpuE7ELNS1_3repE0EEENS1_30default_config_static_selectorELNS0_4arch9wavefront6targetE0EEEvT1_.numbered_sgpr, 0
	.set _ZN7rocprim17ROCPRIM_400000_NS6detail17trampoline_kernelINS0_14default_configENS1_25partition_config_selectorILNS1_17partition_subalgoE9EiibEEZZNS1_14partition_implILS5_9ELb0ES3_jPKiN6thrust23THRUST_200600_302600_NS17counting_iteratorIiNSB_11use_defaultESD_SD_EEPNS0_10empty_typeENS0_5tupleIJPiSF_EEENSH_IJSI_SG_EEENS0_18inequality_wrapperIN6hipcub16HIPCUB_304000_NS8EqualityEEEPlJSF_EEE10hipError_tPvRmT3_T4_T5_T6_T7_T9_mT8_P12ihipStream_tbDpT10_ENKUlT_T0_E_clISt17integral_constantIbLb1EES19_IbLb0EEEEDaS15_S16_EUlS15_E_NS1_11comp_targetILNS1_3genE3ELNS1_11target_archE908ELNS1_3gpuE7ELNS1_3repE0EEENS1_30default_config_static_selectorELNS0_4arch9wavefront6targetE0EEEvT1_.num_named_barrier, 0
	.set _ZN7rocprim17ROCPRIM_400000_NS6detail17trampoline_kernelINS0_14default_configENS1_25partition_config_selectorILNS1_17partition_subalgoE9EiibEEZZNS1_14partition_implILS5_9ELb0ES3_jPKiN6thrust23THRUST_200600_302600_NS17counting_iteratorIiNSB_11use_defaultESD_SD_EEPNS0_10empty_typeENS0_5tupleIJPiSF_EEENSH_IJSI_SG_EEENS0_18inequality_wrapperIN6hipcub16HIPCUB_304000_NS8EqualityEEEPlJSF_EEE10hipError_tPvRmT3_T4_T5_T6_T7_T9_mT8_P12ihipStream_tbDpT10_ENKUlT_T0_E_clISt17integral_constantIbLb1EES19_IbLb0EEEEDaS15_S16_EUlS15_E_NS1_11comp_targetILNS1_3genE3ELNS1_11target_archE908ELNS1_3gpuE7ELNS1_3repE0EEENS1_30default_config_static_selectorELNS0_4arch9wavefront6targetE0EEEvT1_.private_seg_size, 0
	.set _ZN7rocprim17ROCPRIM_400000_NS6detail17trampoline_kernelINS0_14default_configENS1_25partition_config_selectorILNS1_17partition_subalgoE9EiibEEZZNS1_14partition_implILS5_9ELb0ES3_jPKiN6thrust23THRUST_200600_302600_NS17counting_iteratorIiNSB_11use_defaultESD_SD_EEPNS0_10empty_typeENS0_5tupleIJPiSF_EEENSH_IJSI_SG_EEENS0_18inequality_wrapperIN6hipcub16HIPCUB_304000_NS8EqualityEEEPlJSF_EEE10hipError_tPvRmT3_T4_T5_T6_T7_T9_mT8_P12ihipStream_tbDpT10_ENKUlT_T0_E_clISt17integral_constantIbLb1EES19_IbLb0EEEEDaS15_S16_EUlS15_E_NS1_11comp_targetILNS1_3genE3ELNS1_11target_archE908ELNS1_3gpuE7ELNS1_3repE0EEENS1_30default_config_static_selectorELNS0_4arch9wavefront6targetE0EEEvT1_.uses_vcc, 0
	.set _ZN7rocprim17ROCPRIM_400000_NS6detail17trampoline_kernelINS0_14default_configENS1_25partition_config_selectorILNS1_17partition_subalgoE9EiibEEZZNS1_14partition_implILS5_9ELb0ES3_jPKiN6thrust23THRUST_200600_302600_NS17counting_iteratorIiNSB_11use_defaultESD_SD_EEPNS0_10empty_typeENS0_5tupleIJPiSF_EEENSH_IJSI_SG_EEENS0_18inequality_wrapperIN6hipcub16HIPCUB_304000_NS8EqualityEEEPlJSF_EEE10hipError_tPvRmT3_T4_T5_T6_T7_T9_mT8_P12ihipStream_tbDpT10_ENKUlT_T0_E_clISt17integral_constantIbLb1EES19_IbLb0EEEEDaS15_S16_EUlS15_E_NS1_11comp_targetILNS1_3genE3ELNS1_11target_archE908ELNS1_3gpuE7ELNS1_3repE0EEENS1_30default_config_static_selectorELNS0_4arch9wavefront6targetE0EEEvT1_.uses_flat_scratch, 0
	.set _ZN7rocprim17ROCPRIM_400000_NS6detail17trampoline_kernelINS0_14default_configENS1_25partition_config_selectorILNS1_17partition_subalgoE9EiibEEZZNS1_14partition_implILS5_9ELb0ES3_jPKiN6thrust23THRUST_200600_302600_NS17counting_iteratorIiNSB_11use_defaultESD_SD_EEPNS0_10empty_typeENS0_5tupleIJPiSF_EEENSH_IJSI_SG_EEENS0_18inequality_wrapperIN6hipcub16HIPCUB_304000_NS8EqualityEEEPlJSF_EEE10hipError_tPvRmT3_T4_T5_T6_T7_T9_mT8_P12ihipStream_tbDpT10_ENKUlT_T0_E_clISt17integral_constantIbLb1EES19_IbLb0EEEEDaS15_S16_EUlS15_E_NS1_11comp_targetILNS1_3genE3ELNS1_11target_archE908ELNS1_3gpuE7ELNS1_3repE0EEENS1_30default_config_static_selectorELNS0_4arch9wavefront6targetE0EEEvT1_.has_dyn_sized_stack, 0
	.set _ZN7rocprim17ROCPRIM_400000_NS6detail17trampoline_kernelINS0_14default_configENS1_25partition_config_selectorILNS1_17partition_subalgoE9EiibEEZZNS1_14partition_implILS5_9ELb0ES3_jPKiN6thrust23THRUST_200600_302600_NS17counting_iteratorIiNSB_11use_defaultESD_SD_EEPNS0_10empty_typeENS0_5tupleIJPiSF_EEENSH_IJSI_SG_EEENS0_18inequality_wrapperIN6hipcub16HIPCUB_304000_NS8EqualityEEEPlJSF_EEE10hipError_tPvRmT3_T4_T5_T6_T7_T9_mT8_P12ihipStream_tbDpT10_ENKUlT_T0_E_clISt17integral_constantIbLb1EES19_IbLb0EEEEDaS15_S16_EUlS15_E_NS1_11comp_targetILNS1_3genE3ELNS1_11target_archE908ELNS1_3gpuE7ELNS1_3repE0EEENS1_30default_config_static_selectorELNS0_4arch9wavefront6targetE0EEEvT1_.has_recursion, 0
	.set _ZN7rocprim17ROCPRIM_400000_NS6detail17trampoline_kernelINS0_14default_configENS1_25partition_config_selectorILNS1_17partition_subalgoE9EiibEEZZNS1_14partition_implILS5_9ELb0ES3_jPKiN6thrust23THRUST_200600_302600_NS17counting_iteratorIiNSB_11use_defaultESD_SD_EEPNS0_10empty_typeENS0_5tupleIJPiSF_EEENSH_IJSI_SG_EEENS0_18inequality_wrapperIN6hipcub16HIPCUB_304000_NS8EqualityEEEPlJSF_EEE10hipError_tPvRmT3_T4_T5_T6_T7_T9_mT8_P12ihipStream_tbDpT10_ENKUlT_T0_E_clISt17integral_constantIbLb1EES19_IbLb0EEEEDaS15_S16_EUlS15_E_NS1_11comp_targetILNS1_3genE3ELNS1_11target_archE908ELNS1_3gpuE7ELNS1_3repE0EEENS1_30default_config_static_selectorELNS0_4arch9wavefront6targetE0EEEvT1_.has_indirect_call, 0
	.section	.AMDGPU.csdata,"",@progbits
; Kernel info:
; codeLenInByte = 0
; TotalNumSgprs: 0
; NumVgprs: 0
; ScratchSize: 0
; MemoryBound: 0
; FloatMode: 240
; IeeeMode: 1
; LDSByteSize: 0 bytes/workgroup (compile time only)
; SGPRBlocks: 0
; VGPRBlocks: 0
; NumSGPRsForWavesPerEU: 1
; NumVGPRsForWavesPerEU: 1
; NamedBarCnt: 0
; Occupancy: 16
; WaveLimiterHint : 0
; COMPUTE_PGM_RSRC2:SCRATCH_EN: 0
; COMPUTE_PGM_RSRC2:USER_SGPR: 2
; COMPUTE_PGM_RSRC2:TRAP_HANDLER: 0
; COMPUTE_PGM_RSRC2:TGID_X_EN: 1
; COMPUTE_PGM_RSRC2:TGID_Y_EN: 0
; COMPUTE_PGM_RSRC2:TGID_Z_EN: 0
; COMPUTE_PGM_RSRC2:TIDIG_COMP_CNT: 0
	.section	.text._ZN7rocprim17ROCPRIM_400000_NS6detail17trampoline_kernelINS0_14default_configENS1_25partition_config_selectorILNS1_17partition_subalgoE9EiibEEZZNS1_14partition_implILS5_9ELb0ES3_jPKiN6thrust23THRUST_200600_302600_NS17counting_iteratorIiNSB_11use_defaultESD_SD_EEPNS0_10empty_typeENS0_5tupleIJPiSF_EEENSH_IJSI_SG_EEENS0_18inequality_wrapperIN6hipcub16HIPCUB_304000_NS8EqualityEEEPlJSF_EEE10hipError_tPvRmT3_T4_T5_T6_T7_T9_mT8_P12ihipStream_tbDpT10_ENKUlT_T0_E_clISt17integral_constantIbLb1EES19_IbLb0EEEEDaS15_S16_EUlS15_E_NS1_11comp_targetILNS1_3genE2ELNS1_11target_archE906ELNS1_3gpuE6ELNS1_3repE0EEENS1_30default_config_static_selectorELNS0_4arch9wavefront6targetE0EEEvT1_,"axG",@progbits,_ZN7rocprim17ROCPRIM_400000_NS6detail17trampoline_kernelINS0_14default_configENS1_25partition_config_selectorILNS1_17partition_subalgoE9EiibEEZZNS1_14partition_implILS5_9ELb0ES3_jPKiN6thrust23THRUST_200600_302600_NS17counting_iteratorIiNSB_11use_defaultESD_SD_EEPNS0_10empty_typeENS0_5tupleIJPiSF_EEENSH_IJSI_SG_EEENS0_18inequality_wrapperIN6hipcub16HIPCUB_304000_NS8EqualityEEEPlJSF_EEE10hipError_tPvRmT3_T4_T5_T6_T7_T9_mT8_P12ihipStream_tbDpT10_ENKUlT_T0_E_clISt17integral_constantIbLb1EES19_IbLb0EEEEDaS15_S16_EUlS15_E_NS1_11comp_targetILNS1_3genE2ELNS1_11target_archE906ELNS1_3gpuE6ELNS1_3repE0EEENS1_30default_config_static_selectorELNS0_4arch9wavefront6targetE0EEEvT1_,comdat
	.protected	_ZN7rocprim17ROCPRIM_400000_NS6detail17trampoline_kernelINS0_14default_configENS1_25partition_config_selectorILNS1_17partition_subalgoE9EiibEEZZNS1_14partition_implILS5_9ELb0ES3_jPKiN6thrust23THRUST_200600_302600_NS17counting_iteratorIiNSB_11use_defaultESD_SD_EEPNS0_10empty_typeENS0_5tupleIJPiSF_EEENSH_IJSI_SG_EEENS0_18inequality_wrapperIN6hipcub16HIPCUB_304000_NS8EqualityEEEPlJSF_EEE10hipError_tPvRmT3_T4_T5_T6_T7_T9_mT8_P12ihipStream_tbDpT10_ENKUlT_T0_E_clISt17integral_constantIbLb1EES19_IbLb0EEEEDaS15_S16_EUlS15_E_NS1_11comp_targetILNS1_3genE2ELNS1_11target_archE906ELNS1_3gpuE6ELNS1_3repE0EEENS1_30default_config_static_selectorELNS0_4arch9wavefront6targetE0EEEvT1_ ; -- Begin function _ZN7rocprim17ROCPRIM_400000_NS6detail17trampoline_kernelINS0_14default_configENS1_25partition_config_selectorILNS1_17partition_subalgoE9EiibEEZZNS1_14partition_implILS5_9ELb0ES3_jPKiN6thrust23THRUST_200600_302600_NS17counting_iteratorIiNSB_11use_defaultESD_SD_EEPNS0_10empty_typeENS0_5tupleIJPiSF_EEENSH_IJSI_SG_EEENS0_18inequality_wrapperIN6hipcub16HIPCUB_304000_NS8EqualityEEEPlJSF_EEE10hipError_tPvRmT3_T4_T5_T6_T7_T9_mT8_P12ihipStream_tbDpT10_ENKUlT_T0_E_clISt17integral_constantIbLb1EES19_IbLb0EEEEDaS15_S16_EUlS15_E_NS1_11comp_targetILNS1_3genE2ELNS1_11target_archE906ELNS1_3gpuE6ELNS1_3repE0EEENS1_30default_config_static_selectorELNS0_4arch9wavefront6targetE0EEEvT1_
	.globl	_ZN7rocprim17ROCPRIM_400000_NS6detail17trampoline_kernelINS0_14default_configENS1_25partition_config_selectorILNS1_17partition_subalgoE9EiibEEZZNS1_14partition_implILS5_9ELb0ES3_jPKiN6thrust23THRUST_200600_302600_NS17counting_iteratorIiNSB_11use_defaultESD_SD_EEPNS0_10empty_typeENS0_5tupleIJPiSF_EEENSH_IJSI_SG_EEENS0_18inequality_wrapperIN6hipcub16HIPCUB_304000_NS8EqualityEEEPlJSF_EEE10hipError_tPvRmT3_T4_T5_T6_T7_T9_mT8_P12ihipStream_tbDpT10_ENKUlT_T0_E_clISt17integral_constantIbLb1EES19_IbLb0EEEEDaS15_S16_EUlS15_E_NS1_11comp_targetILNS1_3genE2ELNS1_11target_archE906ELNS1_3gpuE6ELNS1_3repE0EEENS1_30default_config_static_selectorELNS0_4arch9wavefront6targetE0EEEvT1_
	.p2align	8
	.type	_ZN7rocprim17ROCPRIM_400000_NS6detail17trampoline_kernelINS0_14default_configENS1_25partition_config_selectorILNS1_17partition_subalgoE9EiibEEZZNS1_14partition_implILS5_9ELb0ES3_jPKiN6thrust23THRUST_200600_302600_NS17counting_iteratorIiNSB_11use_defaultESD_SD_EEPNS0_10empty_typeENS0_5tupleIJPiSF_EEENSH_IJSI_SG_EEENS0_18inequality_wrapperIN6hipcub16HIPCUB_304000_NS8EqualityEEEPlJSF_EEE10hipError_tPvRmT3_T4_T5_T6_T7_T9_mT8_P12ihipStream_tbDpT10_ENKUlT_T0_E_clISt17integral_constantIbLb1EES19_IbLb0EEEEDaS15_S16_EUlS15_E_NS1_11comp_targetILNS1_3genE2ELNS1_11target_archE906ELNS1_3gpuE6ELNS1_3repE0EEENS1_30default_config_static_selectorELNS0_4arch9wavefront6targetE0EEEvT1_,@function
_ZN7rocprim17ROCPRIM_400000_NS6detail17trampoline_kernelINS0_14default_configENS1_25partition_config_selectorILNS1_17partition_subalgoE9EiibEEZZNS1_14partition_implILS5_9ELb0ES3_jPKiN6thrust23THRUST_200600_302600_NS17counting_iteratorIiNSB_11use_defaultESD_SD_EEPNS0_10empty_typeENS0_5tupleIJPiSF_EEENSH_IJSI_SG_EEENS0_18inequality_wrapperIN6hipcub16HIPCUB_304000_NS8EqualityEEEPlJSF_EEE10hipError_tPvRmT3_T4_T5_T6_T7_T9_mT8_P12ihipStream_tbDpT10_ENKUlT_T0_E_clISt17integral_constantIbLb1EES19_IbLb0EEEEDaS15_S16_EUlS15_E_NS1_11comp_targetILNS1_3genE2ELNS1_11target_archE906ELNS1_3gpuE6ELNS1_3repE0EEENS1_30default_config_static_selectorELNS0_4arch9wavefront6targetE0EEEvT1_: ; @_ZN7rocprim17ROCPRIM_400000_NS6detail17trampoline_kernelINS0_14default_configENS1_25partition_config_selectorILNS1_17partition_subalgoE9EiibEEZZNS1_14partition_implILS5_9ELb0ES3_jPKiN6thrust23THRUST_200600_302600_NS17counting_iteratorIiNSB_11use_defaultESD_SD_EEPNS0_10empty_typeENS0_5tupleIJPiSF_EEENSH_IJSI_SG_EEENS0_18inequality_wrapperIN6hipcub16HIPCUB_304000_NS8EqualityEEEPlJSF_EEE10hipError_tPvRmT3_T4_T5_T6_T7_T9_mT8_P12ihipStream_tbDpT10_ENKUlT_T0_E_clISt17integral_constantIbLb1EES19_IbLb0EEEEDaS15_S16_EUlS15_E_NS1_11comp_targetILNS1_3genE2ELNS1_11target_archE906ELNS1_3gpuE6ELNS1_3repE0EEENS1_30default_config_static_selectorELNS0_4arch9wavefront6targetE0EEEvT1_
; %bb.0:
	.section	.rodata,"a",@progbits
	.p2align	6, 0x0
	.amdhsa_kernel _ZN7rocprim17ROCPRIM_400000_NS6detail17trampoline_kernelINS0_14default_configENS1_25partition_config_selectorILNS1_17partition_subalgoE9EiibEEZZNS1_14partition_implILS5_9ELb0ES3_jPKiN6thrust23THRUST_200600_302600_NS17counting_iteratorIiNSB_11use_defaultESD_SD_EEPNS0_10empty_typeENS0_5tupleIJPiSF_EEENSH_IJSI_SG_EEENS0_18inequality_wrapperIN6hipcub16HIPCUB_304000_NS8EqualityEEEPlJSF_EEE10hipError_tPvRmT3_T4_T5_T6_T7_T9_mT8_P12ihipStream_tbDpT10_ENKUlT_T0_E_clISt17integral_constantIbLb1EES19_IbLb0EEEEDaS15_S16_EUlS15_E_NS1_11comp_targetILNS1_3genE2ELNS1_11target_archE906ELNS1_3gpuE6ELNS1_3repE0EEENS1_30default_config_static_selectorELNS0_4arch9wavefront6targetE0EEEvT1_
		.amdhsa_group_segment_fixed_size 0
		.amdhsa_private_segment_fixed_size 0
		.amdhsa_kernarg_size 112
		.amdhsa_user_sgpr_count 2
		.amdhsa_user_sgpr_dispatch_ptr 0
		.amdhsa_user_sgpr_queue_ptr 0
		.amdhsa_user_sgpr_kernarg_segment_ptr 1
		.amdhsa_user_sgpr_dispatch_id 0
		.amdhsa_user_sgpr_kernarg_preload_length 0
		.amdhsa_user_sgpr_kernarg_preload_offset 0
		.amdhsa_user_sgpr_private_segment_size 0
		.amdhsa_wavefront_size32 1
		.amdhsa_uses_dynamic_stack 0
		.amdhsa_enable_private_segment 0
		.amdhsa_system_sgpr_workgroup_id_x 1
		.amdhsa_system_sgpr_workgroup_id_y 0
		.amdhsa_system_sgpr_workgroup_id_z 0
		.amdhsa_system_sgpr_workgroup_info 0
		.amdhsa_system_vgpr_workitem_id 0
		.amdhsa_next_free_vgpr 1
		.amdhsa_next_free_sgpr 1
		.amdhsa_named_barrier_count 0
		.amdhsa_reserve_vcc 0
		.amdhsa_float_round_mode_32 0
		.amdhsa_float_round_mode_16_64 0
		.amdhsa_float_denorm_mode_32 3
		.amdhsa_float_denorm_mode_16_64 3
		.amdhsa_fp16_overflow 0
		.amdhsa_memory_ordered 1
		.amdhsa_forward_progress 1
		.amdhsa_inst_pref_size 0
		.amdhsa_round_robin_scheduling 0
		.amdhsa_exception_fp_ieee_invalid_op 0
		.amdhsa_exception_fp_denorm_src 0
		.amdhsa_exception_fp_ieee_div_zero 0
		.amdhsa_exception_fp_ieee_overflow 0
		.amdhsa_exception_fp_ieee_underflow 0
		.amdhsa_exception_fp_ieee_inexact 0
		.amdhsa_exception_int_div_zero 0
	.end_amdhsa_kernel
	.section	.text._ZN7rocprim17ROCPRIM_400000_NS6detail17trampoline_kernelINS0_14default_configENS1_25partition_config_selectorILNS1_17partition_subalgoE9EiibEEZZNS1_14partition_implILS5_9ELb0ES3_jPKiN6thrust23THRUST_200600_302600_NS17counting_iteratorIiNSB_11use_defaultESD_SD_EEPNS0_10empty_typeENS0_5tupleIJPiSF_EEENSH_IJSI_SG_EEENS0_18inequality_wrapperIN6hipcub16HIPCUB_304000_NS8EqualityEEEPlJSF_EEE10hipError_tPvRmT3_T4_T5_T6_T7_T9_mT8_P12ihipStream_tbDpT10_ENKUlT_T0_E_clISt17integral_constantIbLb1EES19_IbLb0EEEEDaS15_S16_EUlS15_E_NS1_11comp_targetILNS1_3genE2ELNS1_11target_archE906ELNS1_3gpuE6ELNS1_3repE0EEENS1_30default_config_static_selectorELNS0_4arch9wavefront6targetE0EEEvT1_,"axG",@progbits,_ZN7rocprim17ROCPRIM_400000_NS6detail17trampoline_kernelINS0_14default_configENS1_25partition_config_selectorILNS1_17partition_subalgoE9EiibEEZZNS1_14partition_implILS5_9ELb0ES3_jPKiN6thrust23THRUST_200600_302600_NS17counting_iteratorIiNSB_11use_defaultESD_SD_EEPNS0_10empty_typeENS0_5tupleIJPiSF_EEENSH_IJSI_SG_EEENS0_18inequality_wrapperIN6hipcub16HIPCUB_304000_NS8EqualityEEEPlJSF_EEE10hipError_tPvRmT3_T4_T5_T6_T7_T9_mT8_P12ihipStream_tbDpT10_ENKUlT_T0_E_clISt17integral_constantIbLb1EES19_IbLb0EEEEDaS15_S16_EUlS15_E_NS1_11comp_targetILNS1_3genE2ELNS1_11target_archE906ELNS1_3gpuE6ELNS1_3repE0EEENS1_30default_config_static_selectorELNS0_4arch9wavefront6targetE0EEEvT1_,comdat
.Lfunc_end31:
	.size	_ZN7rocprim17ROCPRIM_400000_NS6detail17trampoline_kernelINS0_14default_configENS1_25partition_config_selectorILNS1_17partition_subalgoE9EiibEEZZNS1_14partition_implILS5_9ELb0ES3_jPKiN6thrust23THRUST_200600_302600_NS17counting_iteratorIiNSB_11use_defaultESD_SD_EEPNS0_10empty_typeENS0_5tupleIJPiSF_EEENSH_IJSI_SG_EEENS0_18inequality_wrapperIN6hipcub16HIPCUB_304000_NS8EqualityEEEPlJSF_EEE10hipError_tPvRmT3_T4_T5_T6_T7_T9_mT8_P12ihipStream_tbDpT10_ENKUlT_T0_E_clISt17integral_constantIbLb1EES19_IbLb0EEEEDaS15_S16_EUlS15_E_NS1_11comp_targetILNS1_3genE2ELNS1_11target_archE906ELNS1_3gpuE6ELNS1_3repE0EEENS1_30default_config_static_selectorELNS0_4arch9wavefront6targetE0EEEvT1_, .Lfunc_end31-_ZN7rocprim17ROCPRIM_400000_NS6detail17trampoline_kernelINS0_14default_configENS1_25partition_config_selectorILNS1_17partition_subalgoE9EiibEEZZNS1_14partition_implILS5_9ELb0ES3_jPKiN6thrust23THRUST_200600_302600_NS17counting_iteratorIiNSB_11use_defaultESD_SD_EEPNS0_10empty_typeENS0_5tupleIJPiSF_EEENSH_IJSI_SG_EEENS0_18inequality_wrapperIN6hipcub16HIPCUB_304000_NS8EqualityEEEPlJSF_EEE10hipError_tPvRmT3_T4_T5_T6_T7_T9_mT8_P12ihipStream_tbDpT10_ENKUlT_T0_E_clISt17integral_constantIbLb1EES19_IbLb0EEEEDaS15_S16_EUlS15_E_NS1_11comp_targetILNS1_3genE2ELNS1_11target_archE906ELNS1_3gpuE6ELNS1_3repE0EEENS1_30default_config_static_selectorELNS0_4arch9wavefront6targetE0EEEvT1_
                                        ; -- End function
	.set _ZN7rocprim17ROCPRIM_400000_NS6detail17trampoline_kernelINS0_14default_configENS1_25partition_config_selectorILNS1_17partition_subalgoE9EiibEEZZNS1_14partition_implILS5_9ELb0ES3_jPKiN6thrust23THRUST_200600_302600_NS17counting_iteratorIiNSB_11use_defaultESD_SD_EEPNS0_10empty_typeENS0_5tupleIJPiSF_EEENSH_IJSI_SG_EEENS0_18inequality_wrapperIN6hipcub16HIPCUB_304000_NS8EqualityEEEPlJSF_EEE10hipError_tPvRmT3_T4_T5_T6_T7_T9_mT8_P12ihipStream_tbDpT10_ENKUlT_T0_E_clISt17integral_constantIbLb1EES19_IbLb0EEEEDaS15_S16_EUlS15_E_NS1_11comp_targetILNS1_3genE2ELNS1_11target_archE906ELNS1_3gpuE6ELNS1_3repE0EEENS1_30default_config_static_selectorELNS0_4arch9wavefront6targetE0EEEvT1_.num_vgpr, 0
	.set _ZN7rocprim17ROCPRIM_400000_NS6detail17trampoline_kernelINS0_14default_configENS1_25partition_config_selectorILNS1_17partition_subalgoE9EiibEEZZNS1_14partition_implILS5_9ELb0ES3_jPKiN6thrust23THRUST_200600_302600_NS17counting_iteratorIiNSB_11use_defaultESD_SD_EEPNS0_10empty_typeENS0_5tupleIJPiSF_EEENSH_IJSI_SG_EEENS0_18inequality_wrapperIN6hipcub16HIPCUB_304000_NS8EqualityEEEPlJSF_EEE10hipError_tPvRmT3_T4_T5_T6_T7_T9_mT8_P12ihipStream_tbDpT10_ENKUlT_T0_E_clISt17integral_constantIbLb1EES19_IbLb0EEEEDaS15_S16_EUlS15_E_NS1_11comp_targetILNS1_3genE2ELNS1_11target_archE906ELNS1_3gpuE6ELNS1_3repE0EEENS1_30default_config_static_selectorELNS0_4arch9wavefront6targetE0EEEvT1_.num_agpr, 0
	.set _ZN7rocprim17ROCPRIM_400000_NS6detail17trampoline_kernelINS0_14default_configENS1_25partition_config_selectorILNS1_17partition_subalgoE9EiibEEZZNS1_14partition_implILS5_9ELb0ES3_jPKiN6thrust23THRUST_200600_302600_NS17counting_iteratorIiNSB_11use_defaultESD_SD_EEPNS0_10empty_typeENS0_5tupleIJPiSF_EEENSH_IJSI_SG_EEENS0_18inequality_wrapperIN6hipcub16HIPCUB_304000_NS8EqualityEEEPlJSF_EEE10hipError_tPvRmT3_T4_T5_T6_T7_T9_mT8_P12ihipStream_tbDpT10_ENKUlT_T0_E_clISt17integral_constantIbLb1EES19_IbLb0EEEEDaS15_S16_EUlS15_E_NS1_11comp_targetILNS1_3genE2ELNS1_11target_archE906ELNS1_3gpuE6ELNS1_3repE0EEENS1_30default_config_static_selectorELNS0_4arch9wavefront6targetE0EEEvT1_.numbered_sgpr, 0
	.set _ZN7rocprim17ROCPRIM_400000_NS6detail17trampoline_kernelINS0_14default_configENS1_25partition_config_selectorILNS1_17partition_subalgoE9EiibEEZZNS1_14partition_implILS5_9ELb0ES3_jPKiN6thrust23THRUST_200600_302600_NS17counting_iteratorIiNSB_11use_defaultESD_SD_EEPNS0_10empty_typeENS0_5tupleIJPiSF_EEENSH_IJSI_SG_EEENS0_18inequality_wrapperIN6hipcub16HIPCUB_304000_NS8EqualityEEEPlJSF_EEE10hipError_tPvRmT3_T4_T5_T6_T7_T9_mT8_P12ihipStream_tbDpT10_ENKUlT_T0_E_clISt17integral_constantIbLb1EES19_IbLb0EEEEDaS15_S16_EUlS15_E_NS1_11comp_targetILNS1_3genE2ELNS1_11target_archE906ELNS1_3gpuE6ELNS1_3repE0EEENS1_30default_config_static_selectorELNS0_4arch9wavefront6targetE0EEEvT1_.num_named_barrier, 0
	.set _ZN7rocprim17ROCPRIM_400000_NS6detail17trampoline_kernelINS0_14default_configENS1_25partition_config_selectorILNS1_17partition_subalgoE9EiibEEZZNS1_14partition_implILS5_9ELb0ES3_jPKiN6thrust23THRUST_200600_302600_NS17counting_iteratorIiNSB_11use_defaultESD_SD_EEPNS0_10empty_typeENS0_5tupleIJPiSF_EEENSH_IJSI_SG_EEENS0_18inequality_wrapperIN6hipcub16HIPCUB_304000_NS8EqualityEEEPlJSF_EEE10hipError_tPvRmT3_T4_T5_T6_T7_T9_mT8_P12ihipStream_tbDpT10_ENKUlT_T0_E_clISt17integral_constantIbLb1EES19_IbLb0EEEEDaS15_S16_EUlS15_E_NS1_11comp_targetILNS1_3genE2ELNS1_11target_archE906ELNS1_3gpuE6ELNS1_3repE0EEENS1_30default_config_static_selectorELNS0_4arch9wavefront6targetE0EEEvT1_.private_seg_size, 0
	.set _ZN7rocprim17ROCPRIM_400000_NS6detail17trampoline_kernelINS0_14default_configENS1_25partition_config_selectorILNS1_17partition_subalgoE9EiibEEZZNS1_14partition_implILS5_9ELb0ES3_jPKiN6thrust23THRUST_200600_302600_NS17counting_iteratorIiNSB_11use_defaultESD_SD_EEPNS0_10empty_typeENS0_5tupleIJPiSF_EEENSH_IJSI_SG_EEENS0_18inequality_wrapperIN6hipcub16HIPCUB_304000_NS8EqualityEEEPlJSF_EEE10hipError_tPvRmT3_T4_T5_T6_T7_T9_mT8_P12ihipStream_tbDpT10_ENKUlT_T0_E_clISt17integral_constantIbLb1EES19_IbLb0EEEEDaS15_S16_EUlS15_E_NS1_11comp_targetILNS1_3genE2ELNS1_11target_archE906ELNS1_3gpuE6ELNS1_3repE0EEENS1_30default_config_static_selectorELNS0_4arch9wavefront6targetE0EEEvT1_.uses_vcc, 0
	.set _ZN7rocprim17ROCPRIM_400000_NS6detail17trampoline_kernelINS0_14default_configENS1_25partition_config_selectorILNS1_17partition_subalgoE9EiibEEZZNS1_14partition_implILS5_9ELb0ES3_jPKiN6thrust23THRUST_200600_302600_NS17counting_iteratorIiNSB_11use_defaultESD_SD_EEPNS0_10empty_typeENS0_5tupleIJPiSF_EEENSH_IJSI_SG_EEENS0_18inequality_wrapperIN6hipcub16HIPCUB_304000_NS8EqualityEEEPlJSF_EEE10hipError_tPvRmT3_T4_T5_T6_T7_T9_mT8_P12ihipStream_tbDpT10_ENKUlT_T0_E_clISt17integral_constantIbLb1EES19_IbLb0EEEEDaS15_S16_EUlS15_E_NS1_11comp_targetILNS1_3genE2ELNS1_11target_archE906ELNS1_3gpuE6ELNS1_3repE0EEENS1_30default_config_static_selectorELNS0_4arch9wavefront6targetE0EEEvT1_.uses_flat_scratch, 0
	.set _ZN7rocprim17ROCPRIM_400000_NS6detail17trampoline_kernelINS0_14default_configENS1_25partition_config_selectorILNS1_17partition_subalgoE9EiibEEZZNS1_14partition_implILS5_9ELb0ES3_jPKiN6thrust23THRUST_200600_302600_NS17counting_iteratorIiNSB_11use_defaultESD_SD_EEPNS0_10empty_typeENS0_5tupleIJPiSF_EEENSH_IJSI_SG_EEENS0_18inequality_wrapperIN6hipcub16HIPCUB_304000_NS8EqualityEEEPlJSF_EEE10hipError_tPvRmT3_T4_T5_T6_T7_T9_mT8_P12ihipStream_tbDpT10_ENKUlT_T0_E_clISt17integral_constantIbLb1EES19_IbLb0EEEEDaS15_S16_EUlS15_E_NS1_11comp_targetILNS1_3genE2ELNS1_11target_archE906ELNS1_3gpuE6ELNS1_3repE0EEENS1_30default_config_static_selectorELNS0_4arch9wavefront6targetE0EEEvT1_.has_dyn_sized_stack, 0
	.set _ZN7rocprim17ROCPRIM_400000_NS6detail17trampoline_kernelINS0_14default_configENS1_25partition_config_selectorILNS1_17partition_subalgoE9EiibEEZZNS1_14partition_implILS5_9ELb0ES3_jPKiN6thrust23THRUST_200600_302600_NS17counting_iteratorIiNSB_11use_defaultESD_SD_EEPNS0_10empty_typeENS0_5tupleIJPiSF_EEENSH_IJSI_SG_EEENS0_18inequality_wrapperIN6hipcub16HIPCUB_304000_NS8EqualityEEEPlJSF_EEE10hipError_tPvRmT3_T4_T5_T6_T7_T9_mT8_P12ihipStream_tbDpT10_ENKUlT_T0_E_clISt17integral_constantIbLb1EES19_IbLb0EEEEDaS15_S16_EUlS15_E_NS1_11comp_targetILNS1_3genE2ELNS1_11target_archE906ELNS1_3gpuE6ELNS1_3repE0EEENS1_30default_config_static_selectorELNS0_4arch9wavefront6targetE0EEEvT1_.has_recursion, 0
	.set _ZN7rocprim17ROCPRIM_400000_NS6detail17trampoline_kernelINS0_14default_configENS1_25partition_config_selectorILNS1_17partition_subalgoE9EiibEEZZNS1_14partition_implILS5_9ELb0ES3_jPKiN6thrust23THRUST_200600_302600_NS17counting_iteratorIiNSB_11use_defaultESD_SD_EEPNS0_10empty_typeENS0_5tupleIJPiSF_EEENSH_IJSI_SG_EEENS0_18inequality_wrapperIN6hipcub16HIPCUB_304000_NS8EqualityEEEPlJSF_EEE10hipError_tPvRmT3_T4_T5_T6_T7_T9_mT8_P12ihipStream_tbDpT10_ENKUlT_T0_E_clISt17integral_constantIbLb1EES19_IbLb0EEEEDaS15_S16_EUlS15_E_NS1_11comp_targetILNS1_3genE2ELNS1_11target_archE906ELNS1_3gpuE6ELNS1_3repE0EEENS1_30default_config_static_selectorELNS0_4arch9wavefront6targetE0EEEvT1_.has_indirect_call, 0
	.section	.AMDGPU.csdata,"",@progbits
; Kernel info:
; codeLenInByte = 0
; TotalNumSgprs: 0
; NumVgprs: 0
; ScratchSize: 0
; MemoryBound: 0
; FloatMode: 240
; IeeeMode: 1
; LDSByteSize: 0 bytes/workgroup (compile time only)
; SGPRBlocks: 0
; VGPRBlocks: 0
; NumSGPRsForWavesPerEU: 1
; NumVGPRsForWavesPerEU: 1
; NamedBarCnt: 0
; Occupancy: 16
; WaveLimiterHint : 0
; COMPUTE_PGM_RSRC2:SCRATCH_EN: 0
; COMPUTE_PGM_RSRC2:USER_SGPR: 2
; COMPUTE_PGM_RSRC2:TRAP_HANDLER: 0
; COMPUTE_PGM_RSRC2:TGID_X_EN: 1
; COMPUTE_PGM_RSRC2:TGID_Y_EN: 0
; COMPUTE_PGM_RSRC2:TGID_Z_EN: 0
; COMPUTE_PGM_RSRC2:TIDIG_COMP_CNT: 0
	.section	.text._ZN7rocprim17ROCPRIM_400000_NS6detail17trampoline_kernelINS0_14default_configENS1_25partition_config_selectorILNS1_17partition_subalgoE9EiibEEZZNS1_14partition_implILS5_9ELb0ES3_jPKiN6thrust23THRUST_200600_302600_NS17counting_iteratorIiNSB_11use_defaultESD_SD_EEPNS0_10empty_typeENS0_5tupleIJPiSF_EEENSH_IJSI_SG_EEENS0_18inequality_wrapperIN6hipcub16HIPCUB_304000_NS8EqualityEEEPlJSF_EEE10hipError_tPvRmT3_T4_T5_T6_T7_T9_mT8_P12ihipStream_tbDpT10_ENKUlT_T0_E_clISt17integral_constantIbLb1EES19_IbLb0EEEEDaS15_S16_EUlS15_E_NS1_11comp_targetILNS1_3genE10ELNS1_11target_archE1200ELNS1_3gpuE4ELNS1_3repE0EEENS1_30default_config_static_selectorELNS0_4arch9wavefront6targetE0EEEvT1_,"axG",@progbits,_ZN7rocprim17ROCPRIM_400000_NS6detail17trampoline_kernelINS0_14default_configENS1_25partition_config_selectorILNS1_17partition_subalgoE9EiibEEZZNS1_14partition_implILS5_9ELb0ES3_jPKiN6thrust23THRUST_200600_302600_NS17counting_iteratorIiNSB_11use_defaultESD_SD_EEPNS0_10empty_typeENS0_5tupleIJPiSF_EEENSH_IJSI_SG_EEENS0_18inequality_wrapperIN6hipcub16HIPCUB_304000_NS8EqualityEEEPlJSF_EEE10hipError_tPvRmT3_T4_T5_T6_T7_T9_mT8_P12ihipStream_tbDpT10_ENKUlT_T0_E_clISt17integral_constantIbLb1EES19_IbLb0EEEEDaS15_S16_EUlS15_E_NS1_11comp_targetILNS1_3genE10ELNS1_11target_archE1200ELNS1_3gpuE4ELNS1_3repE0EEENS1_30default_config_static_selectorELNS0_4arch9wavefront6targetE0EEEvT1_,comdat
	.protected	_ZN7rocprim17ROCPRIM_400000_NS6detail17trampoline_kernelINS0_14default_configENS1_25partition_config_selectorILNS1_17partition_subalgoE9EiibEEZZNS1_14partition_implILS5_9ELb0ES3_jPKiN6thrust23THRUST_200600_302600_NS17counting_iteratorIiNSB_11use_defaultESD_SD_EEPNS0_10empty_typeENS0_5tupleIJPiSF_EEENSH_IJSI_SG_EEENS0_18inequality_wrapperIN6hipcub16HIPCUB_304000_NS8EqualityEEEPlJSF_EEE10hipError_tPvRmT3_T4_T5_T6_T7_T9_mT8_P12ihipStream_tbDpT10_ENKUlT_T0_E_clISt17integral_constantIbLb1EES19_IbLb0EEEEDaS15_S16_EUlS15_E_NS1_11comp_targetILNS1_3genE10ELNS1_11target_archE1200ELNS1_3gpuE4ELNS1_3repE0EEENS1_30default_config_static_selectorELNS0_4arch9wavefront6targetE0EEEvT1_ ; -- Begin function _ZN7rocprim17ROCPRIM_400000_NS6detail17trampoline_kernelINS0_14default_configENS1_25partition_config_selectorILNS1_17partition_subalgoE9EiibEEZZNS1_14partition_implILS5_9ELb0ES3_jPKiN6thrust23THRUST_200600_302600_NS17counting_iteratorIiNSB_11use_defaultESD_SD_EEPNS0_10empty_typeENS0_5tupleIJPiSF_EEENSH_IJSI_SG_EEENS0_18inequality_wrapperIN6hipcub16HIPCUB_304000_NS8EqualityEEEPlJSF_EEE10hipError_tPvRmT3_T4_T5_T6_T7_T9_mT8_P12ihipStream_tbDpT10_ENKUlT_T0_E_clISt17integral_constantIbLb1EES19_IbLb0EEEEDaS15_S16_EUlS15_E_NS1_11comp_targetILNS1_3genE10ELNS1_11target_archE1200ELNS1_3gpuE4ELNS1_3repE0EEENS1_30default_config_static_selectorELNS0_4arch9wavefront6targetE0EEEvT1_
	.globl	_ZN7rocprim17ROCPRIM_400000_NS6detail17trampoline_kernelINS0_14default_configENS1_25partition_config_selectorILNS1_17partition_subalgoE9EiibEEZZNS1_14partition_implILS5_9ELb0ES3_jPKiN6thrust23THRUST_200600_302600_NS17counting_iteratorIiNSB_11use_defaultESD_SD_EEPNS0_10empty_typeENS0_5tupleIJPiSF_EEENSH_IJSI_SG_EEENS0_18inequality_wrapperIN6hipcub16HIPCUB_304000_NS8EqualityEEEPlJSF_EEE10hipError_tPvRmT3_T4_T5_T6_T7_T9_mT8_P12ihipStream_tbDpT10_ENKUlT_T0_E_clISt17integral_constantIbLb1EES19_IbLb0EEEEDaS15_S16_EUlS15_E_NS1_11comp_targetILNS1_3genE10ELNS1_11target_archE1200ELNS1_3gpuE4ELNS1_3repE0EEENS1_30default_config_static_selectorELNS0_4arch9wavefront6targetE0EEEvT1_
	.p2align	8
	.type	_ZN7rocprim17ROCPRIM_400000_NS6detail17trampoline_kernelINS0_14default_configENS1_25partition_config_selectorILNS1_17partition_subalgoE9EiibEEZZNS1_14partition_implILS5_9ELb0ES3_jPKiN6thrust23THRUST_200600_302600_NS17counting_iteratorIiNSB_11use_defaultESD_SD_EEPNS0_10empty_typeENS0_5tupleIJPiSF_EEENSH_IJSI_SG_EEENS0_18inequality_wrapperIN6hipcub16HIPCUB_304000_NS8EqualityEEEPlJSF_EEE10hipError_tPvRmT3_T4_T5_T6_T7_T9_mT8_P12ihipStream_tbDpT10_ENKUlT_T0_E_clISt17integral_constantIbLb1EES19_IbLb0EEEEDaS15_S16_EUlS15_E_NS1_11comp_targetILNS1_3genE10ELNS1_11target_archE1200ELNS1_3gpuE4ELNS1_3repE0EEENS1_30default_config_static_selectorELNS0_4arch9wavefront6targetE0EEEvT1_,@function
_ZN7rocprim17ROCPRIM_400000_NS6detail17trampoline_kernelINS0_14default_configENS1_25partition_config_selectorILNS1_17partition_subalgoE9EiibEEZZNS1_14partition_implILS5_9ELb0ES3_jPKiN6thrust23THRUST_200600_302600_NS17counting_iteratorIiNSB_11use_defaultESD_SD_EEPNS0_10empty_typeENS0_5tupleIJPiSF_EEENSH_IJSI_SG_EEENS0_18inequality_wrapperIN6hipcub16HIPCUB_304000_NS8EqualityEEEPlJSF_EEE10hipError_tPvRmT3_T4_T5_T6_T7_T9_mT8_P12ihipStream_tbDpT10_ENKUlT_T0_E_clISt17integral_constantIbLb1EES19_IbLb0EEEEDaS15_S16_EUlS15_E_NS1_11comp_targetILNS1_3genE10ELNS1_11target_archE1200ELNS1_3gpuE4ELNS1_3repE0EEENS1_30default_config_static_selectorELNS0_4arch9wavefront6targetE0EEEvT1_: ; @_ZN7rocprim17ROCPRIM_400000_NS6detail17trampoline_kernelINS0_14default_configENS1_25partition_config_selectorILNS1_17partition_subalgoE9EiibEEZZNS1_14partition_implILS5_9ELb0ES3_jPKiN6thrust23THRUST_200600_302600_NS17counting_iteratorIiNSB_11use_defaultESD_SD_EEPNS0_10empty_typeENS0_5tupleIJPiSF_EEENSH_IJSI_SG_EEENS0_18inequality_wrapperIN6hipcub16HIPCUB_304000_NS8EqualityEEEPlJSF_EEE10hipError_tPvRmT3_T4_T5_T6_T7_T9_mT8_P12ihipStream_tbDpT10_ENKUlT_T0_E_clISt17integral_constantIbLb1EES19_IbLb0EEEEDaS15_S16_EUlS15_E_NS1_11comp_targetILNS1_3genE10ELNS1_11target_archE1200ELNS1_3gpuE4ELNS1_3repE0EEENS1_30default_config_static_selectorELNS0_4arch9wavefront6targetE0EEEvT1_
; %bb.0:
	.section	.rodata,"a",@progbits
	.p2align	6, 0x0
	.amdhsa_kernel _ZN7rocprim17ROCPRIM_400000_NS6detail17trampoline_kernelINS0_14default_configENS1_25partition_config_selectorILNS1_17partition_subalgoE9EiibEEZZNS1_14partition_implILS5_9ELb0ES3_jPKiN6thrust23THRUST_200600_302600_NS17counting_iteratorIiNSB_11use_defaultESD_SD_EEPNS0_10empty_typeENS0_5tupleIJPiSF_EEENSH_IJSI_SG_EEENS0_18inequality_wrapperIN6hipcub16HIPCUB_304000_NS8EqualityEEEPlJSF_EEE10hipError_tPvRmT3_T4_T5_T6_T7_T9_mT8_P12ihipStream_tbDpT10_ENKUlT_T0_E_clISt17integral_constantIbLb1EES19_IbLb0EEEEDaS15_S16_EUlS15_E_NS1_11comp_targetILNS1_3genE10ELNS1_11target_archE1200ELNS1_3gpuE4ELNS1_3repE0EEENS1_30default_config_static_selectorELNS0_4arch9wavefront6targetE0EEEvT1_
		.amdhsa_group_segment_fixed_size 0
		.amdhsa_private_segment_fixed_size 0
		.amdhsa_kernarg_size 112
		.amdhsa_user_sgpr_count 2
		.amdhsa_user_sgpr_dispatch_ptr 0
		.amdhsa_user_sgpr_queue_ptr 0
		.amdhsa_user_sgpr_kernarg_segment_ptr 1
		.amdhsa_user_sgpr_dispatch_id 0
		.amdhsa_user_sgpr_kernarg_preload_length 0
		.amdhsa_user_sgpr_kernarg_preload_offset 0
		.amdhsa_user_sgpr_private_segment_size 0
		.amdhsa_wavefront_size32 1
		.amdhsa_uses_dynamic_stack 0
		.amdhsa_enable_private_segment 0
		.amdhsa_system_sgpr_workgroup_id_x 1
		.amdhsa_system_sgpr_workgroup_id_y 0
		.amdhsa_system_sgpr_workgroup_id_z 0
		.amdhsa_system_sgpr_workgroup_info 0
		.amdhsa_system_vgpr_workitem_id 0
		.amdhsa_next_free_vgpr 1
		.amdhsa_next_free_sgpr 1
		.amdhsa_named_barrier_count 0
		.amdhsa_reserve_vcc 0
		.amdhsa_float_round_mode_32 0
		.amdhsa_float_round_mode_16_64 0
		.amdhsa_float_denorm_mode_32 3
		.amdhsa_float_denorm_mode_16_64 3
		.amdhsa_fp16_overflow 0
		.amdhsa_memory_ordered 1
		.amdhsa_forward_progress 1
		.amdhsa_inst_pref_size 0
		.amdhsa_round_robin_scheduling 0
		.amdhsa_exception_fp_ieee_invalid_op 0
		.amdhsa_exception_fp_denorm_src 0
		.amdhsa_exception_fp_ieee_div_zero 0
		.amdhsa_exception_fp_ieee_overflow 0
		.amdhsa_exception_fp_ieee_underflow 0
		.amdhsa_exception_fp_ieee_inexact 0
		.amdhsa_exception_int_div_zero 0
	.end_amdhsa_kernel
	.section	.text._ZN7rocprim17ROCPRIM_400000_NS6detail17trampoline_kernelINS0_14default_configENS1_25partition_config_selectorILNS1_17partition_subalgoE9EiibEEZZNS1_14partition_implILS5_9ELb0ES3_jPKiN6thrust23THRUST_200600_302600_NS17counting_iteratorIiNSB_11use_defaultESD_SD_EEPNS0_10empty_typeENS0_5tupleIJPiSF_EEENSH_IJSI_SG_EEENS0_18inequality_wrapperIN6hipcub16HIPCUB_304000_NS8EqualityEEEPlJSF_EEE10hipError_tPvRmT3_T4_T5_T6_T7_T9_mT8_P12ihipStream_tbDpT10_ENKUlT_T0_E_clISt17integral_constantIbLb1EES19_IbLb0EEEEDaS15_S16_EUlS15_E_NS1_11comp_targetILNS1_3genE10ELNS1_11target_archE1200ELNS1_3gpuE4ELNS1_3repE0EEENS1_30default_config_static_selectorELNS0_4arch9wavefront6targetE0EEEvT1_,"axG",@progbits,_ZN7rocprim17ROCPRIM_400000_NS6detail17trampoline_kernelINS0_14default_configENS1_25partition_config_selectorILNS1_17partition_subalgoE9EiibEEZZNS1_14partition_implILS5_9ELb0ES3_jPKiN6thrust23THRUST_200600_302600_NS17counting_iteratorIiNSB_11use_defaultESD_SD_EEPNS0_10empty_typeENS0_5tupleIJPiSF_EEENSH_IJSI_SG_EEENS0_18inequality_wrapperIN6hipcub16HIPCUB_304000_NS8EqualityEEEPlJSF_EEE10hipError_tPvRmT3_T4_T5_T6_T7_T9_mT8_P12ihipStream_tbDpT10_ENKUlT_T0_E_clISt17integral_constantIbLb1EES19_IbLb0EEEEDaS15_S16_EUlS15_E_NS1_11comp_targetILNS1_3genE10ELNS1_11target_archE1200ELNS1_3gpuE4ELNS1_3repE0EEENS1_30default_config_static_selectorELNS0_4arch9wavefront6targetE0EEEvT1_,comdat
.Lfunc_end32:
	.size	_ZN7rocprim17ROCPRIM_400000_NS6detail17trampoline_kernelINS0_14default_configENS1_25partition_config_selectorILNS1_17partition_subalgoE9EiibEEZZNS1_14partition_implILS5_9ELb0ES3_jPKiN6thrust23THRUST_200600_302600_NS17counting_iteratorIiNSB_11use_defaultESD_SD_EEPNS0_10empty_typeENS0_5tupleIJPiSF_EEENSH_IJSI_SG_EEENS0_18inequality_wrapperIN6hipcub16HIPCUB_304000_NS8EqualityEEEPlJSF_EEE10hipError_tPvRmT3_T4_T5_T6_T7_T9_mT8_P12ihipStream_tbDpT10_ENKUlT_T0_E_clISt17integral_constantIbLb1EES19_IbLb0EEEEDaS15_S16_EUlS15_E_NS1_11comp_targetILNS1_3genE10ELNS1_11target_archE1200ELNS1_3gpuE4ELNS1_3repE0EEENS1_30default_config_static_selectorELNS0_4arch9wavefront6targetE0EEEvT1_, .Lfunc_end32-_ZN7rocprim17ROCPRIM_400000_NS6detail17trampoline_kernelINS0_14default_configENS1_25partition_config_selectorILNS1_17partition_subalgoE9EiibEEZZNS1_14partition_implILS5_9ELb0ES3_jPKiN6thrust23THRUST_200600_302600_NS17counting_iteratorIiNSB_11use_defaultESD_SD_EEPNS0_10empty_typeENS0_5tupleIJPiSF_EEENSH_IJSI_SG_EEENS0_18inequality_wrapperIN6hipcub16HIPCUB_304000_NS8EqualityEEEPlJSF_EEE10hipError_tPvRmT3_T4_T5_T6_T7_T9_mT8_P12ihipStream_tbDpT10_ENKUlT_T0_E_clISt17integral_constantIbLb1EES19_IbLb0EEEEDaS15_S16_EUlS15_E_NS1_11comp_targetILNS1_3genE10ELNS1_11target_archE1200ELNS1_3gpuE4ELNS1_3repE0EEENS1_30default_config_static_selectorELNS0_4arch9wavefront6targetE0EEEvT1_
                                        ; -- End function
	.set _ZN7rocprim17ROCPRIM_400000_NS6detail17trampoline_kernelINS0_14default_configENS1_25partition_config_selectorILNS1_17partition_subalgoE9EiibEEZZNS1_14partition_implILS5_9ELb0ES3_jPKiN6thrust23THRUST_200600_302600_NS17counting_iteratorIiNSB_11use_defaultESD_SD_EEPNS0_10empty_typeENS0_5tupleIJPiSF_EEENSH_IJSI_SG_EEENS0_18inequality_wrapperIN6hipcub16HIPCUB_304000_NS8EqualityEEEPlJSF_EEE10hipError_tPvRmT3_T4_T5_T6_T7_T9_mT8_P12ihipStream_tbDpT10_ENKUlT_T0_E_clISt17integral_constantIbLb1EES19_IbLb0EEEEDaS15_S16_EUlS15_E_NS1_11comp_targetILNS1_3genE10ELNS1_11target_archE1200ELNS1_3gpuE4ELNS1_3repE0EEENS1_30default_config_static_selectorELNS0_4arch9wavefront6targetE0EEEvT1_.num_vgpr, 0
	.set _ZN7rocprim17ROCPRIM_400000_NS6detail17trampoline_kernelINS0_14default_configENS1_25partition_config_selectorILNS1_17partition_subalgoE9EiibEEZZNS1_14partition_implILS5_9ELb0ES3_jPKiN6thrust23THRUST_200600_302600_NS17counting_iteratorIiNSB_11use_defaultESD_SD_EEPNS0_10empty_typeENS0_5tupleIJPiSF_EEENSH_IJSI_SG_EEENS0_18inequality_wrapperIN6hipcub16HIPCUB_304000_NS8EqualityEEEPlJSF_EEE10hipError_tPvRmT3_T4_T5_T6_T7_T9_mT8_P12ihipStream_tbDpT10_ENKUlT_T0_E_clISt17integral_constantIbLb1EES19_IbLb0EEEEDaS15_S16_EUlS15_E_NS1_11comp_targetILNS1_3genE10ELNS1_11target_archE1200ELNS1_3gpuE4ELNS1_3repE0EEENS1_30default_config_static_selectorELNS0_4arch9wavefront6targetE0EEEvT1_.num_agpr, 0
	.set _ZN7rocprim17ROCPRIM_400000_NS6detail17trampoline_kernelINS0_14default_configENS1_25partition_config_selectorILNS1_17partition_subalgoE9EiibEEZZNS1_14partition_implILS5_9ELb0ES3_jPKiN6thrust23THRUST_200600_302600_NS17counting_iteratorIiNSB_11use_defaultESD_SD_EEPNS0_10empty_typeENS0_5tupleIJPiSF_EEENSH_IJSI_SG_EEENS0_18inequality_wrapperIN6hipcub16HIPCUB_304000_NS8EqualityEEEPlJSF_EEE10hipError_tPvRmT3_T4_T5_T6_T7_T9_mT8_P12ihipStream_tbDpT10_ENKUlT_T0_E_clISt17integral_constantIbLb1EES19_IbLb0EEEEDaS15_S16_EUlS15_E_NS1_11comp_targetILNS1_3genE10ELNS1_11target_archE1200ELNS1_3gpuE4ELNS1_3repE0EEENS1_30default_config_static_selectorELNS0_4arch9wavefront6targetE0EEEvT1_.numbered_sgpr, 0
	.set _ZN7rocprim17ROCPRIM_400000_NS6detail17trampoline_kernelINS0_14default_configENS1_25partition_config_selectorILNS1_17partition_subalgoE9EiibEEZZNS1_14partition_implILS5_9ELb0ES3_jPKiN6thrust23THRUST_200600_302600_NS17counting_iteratorIiNSB_11use_defaultESD_SD_EEPNS0_10empty_typeENS0_5tupleIJPiSF_EEENSH_IJSI_SG_EEENS0_18inequality_wrapperIN6hipcub16HIPCUB_304000_NS8EqualityEEEPlJSF_EEE10hipError_tPvRmT3_T4_T5_T6_T7_T9_mT8_P12ihipStream_tbDpT10_ENKUlT_T0_E_clISt17integral_constantIbLb1EES19_IbLb0EEEEDaS15_S16_EUlS15_E_NS1_11comp_targetILNS1_3genE10ELNS1_11target_archE1200ELNS1_3gpuE4ELNS1_3repE0EEENS1_30default_config_static_selectorELNS0_4arch9wavefront6targetE0EEEvT1_.num_named_barrier, 0
	.set _ZN7rocprim17ROCPRIM_400000_NS6detail17trampoline_kernelINS0_14default_configENS1_25partition_config_selectorILNS1_17partition_subalgoE9EiibEEZZNS1_14partition_implILS5_9ELb0ES3_jPKiN6thrust23THRUST_200600_302600_NS17counting_iteratorIiNSB_11use_defaultESD_SD_EEPNS0_10empty_typeENS0_5tupleIJPiSF_EEENSH_IJSI_SG_EEENS0_18inequality_wrapperIN6hipcub16HIPCUB_304000_NS8EqualityEEEPlJSF_EEE10hipError_tPvRmT3_T4_T5_T6_T7_T9_mT8_P12ihipStream_tbDpT10_ENKUlT_T0_E_clISt17integral_constantIbLb1EES19_IbLb0EEEEDaS15_S16_EUlS15_E_NS1_11comp_targetILNS1_3genE10ELNS1_11target_archE1200ELNS1_3gpuE4ELNS1_3repE0EEENS1_30default_config_static_selectorELNS0_4arch9wavefront6targetE0EEEvT1_.private_seg_size, 0
	.set _ZN7rocprim17ROCPRIM_400000_NS6detail17trampoline_kernelINS0_14default_configENS1_25partition_config_selectorILNS1_17partition_subalgoE9EiibEEZZNS1_14partition_implILS5_9ELb0ES3_jPKiN6thrust23THRUST_200600_302600_NS17counting_iteratorIiNSB_11use_defaultESD_SD_EEPNS0_10empty_typeENS0_5tupleIJPiSF_EEENSH_IJSI_SG_EEENS0_18inequality_wrapperIN6hipcub16HIPCUB_304000_NS8EqualityEEEPlJSF_EEE10hipError_tPvRmT3_T4_T5_T6_T7_T9_mT8_P12ihipStream_tbDpT10_ENKUlT_T0_E_clISt17integral_constantIbLb1EES19_IbLb0EEEEDaS15_S16_EUlS15_E_NS1_11comp_targetILNS1_3genE10ELNS1_11target_archE1200ELNS1_3gpuE4ELNS1_3repE0EEENS1_30default_config_static_selectorELNS0_4arch9wavefront6targetE0EEEvT1_.uses_vcc, 0
	.set _ZN7rocprim17ROCPRIM_400000_NS6detail17trampoline_kernelINS0_14default_configENS1_25partition_config_selectorILNS1_17partition_subalgoE9EiibEEZZNS1_14partition_implILS5_9ELb0ES3_jPKiN6thrust23THRUST_200600_302600_NS17counting_iteratorIiNSB_11use_defaultESD_SD_EEPNS0_10empty_typeENS0_5tupleIJPiSF_EEENSH_IJSI_SG_EEENS0_18inequality_wrapperIN6hipcub16HIPCUB_304000_NS8EqualityEEEPlJSF_EEE10hipError_tPvRmT3_T4_T5_T6_T7_T9_mT8_P12ihipStream_tbDpT10_ENKUlT_T0_E_clISt17integral_constantIbLb1EES19_IbLb0EEEEDaS15_S16_EUlS15_E_NS1_11comp_targetILNS1_3genE10ELNS1_11target_archE1200ELNS1_3gpuE4ELNS1_3repE0EEENS1_30default_config_static_selectorELNS0_4arch9wavefront6targetE0EEEvT1_.uses_flat_scratch, 0
	.set _ZN7rocprim17ROCPRIM_400000_NS6detail17trampoline_kernelINS0_14default_configENS1_25partition_config_selectorILNS1_17partition_subalgoE9EiibEEZZNS1_14partition_implILS5_9ELb0ES3_jPKiN6thrust23THRUST_200600_302600_NS17counting_iteratorIiNSB_11use_defaultESD_SD_EEPNS0_10empty_typeENS0_5tupleIJPiSF_EEENSH_IJSI_SG_EEENS0_18inequality_wrapperIN6hipcub16HIPCUB_304000_NS8EqualityEEEPlJSF_EEE10hipError_tPvRmT3_T4_T5_T6_T7_T9_mT8_P12ihipStream_tbDpT10_ENKUlT_T0_E_clISt17integral_constantIbLb1EES19_IbLb0EEEEDaS15_S16_EUlS15_E_NS1_11comp_targetILNS1_3genE10ELNS1_11target_archE1200ELNS1_3gpuE4ELNS1_3repE0EEENS1_30default_config_static_selectorELNS0_4arch9wavefront6targetE0EEEvT1_.has_dyn_sized_stack, 0
	.set _ZN7rocprim17ROCPRIM_400000_NS6detail17trampoline_kernelINS0_14default_configENS1_25partition_config_selectorILNS1_17partition_subalgoE9EiibEEZZNS1_14partition_implILS5_9ELb0ES3_jPKiN6thrust23THRUST_200600_302600_NS17counting_iteratorIiNSB_11use_defaultESD_SD_EEPNS0_10empty_typeENS0_5tupleIJPiSF_EEENSH_IJSI_SG_EEENS0_18inequality_wrapperIN6hipcub16HIPCUB_304000_NS8EqualityEEEPlJSF_EEE10hipError_tPvRmT3_T4_T5_T6_T7_T9_mT8_P12ihipStream_tbDpT10_ENKUlT_T0_E_clISt17integral_constantIbLb1EES19_IbLb0EEEEDaS15_S16_EUlS15_E_NS1_11comp_targetILNS1_3genE10ELNS1_11target_archE1200ELNS1_3gpuE4ELNS1_3repE0EEENS1_30default_config_static_selectorELNS0_4arch9wavefront6targetE0EEEvT1_.has_recursion, 0
	.set _ZN7rocprim17ROCPRIM_400000_NS6detail17trampoline_kernelINS0_14default_configENS1_25partition_config_selectorILNS1_17partition_subalgoE9EiibEEZZNS1_14partition_implILS5_9ELb0ES3_jPKiN6thrust23THRUST_200600_302600_NS17counting_iteratorIiNSB_11use_defaultESD_SD_EEPNS0_10empty_typeENS0_5tupleIJPiSF_EEENSH_IJSI_SG_EEENS0_18inequality_wrapperIN6hipcub16HIPCUB_304000_NS8EqualityEEEPlJSF_EEE10hipError_tPvRmT3_T4_T5_T6_T7_T9_mT8_P12ihipStream_tbDpT10_ENKUlT_T0_E_clISt17integral_constantIbLb1EES19_IbLb0EEEEDaS15_S16_EUlS15_E_NS1_11comp_targetILNS1_3genE10ELNS1_11target_archE1200ELNS1_3gpuE4ELNS1_3repE0EEENS1_30default_config_static_selectorELNS0_4arch9wavefront6targetE0EEEvT1_.has_indirect_call, 0
	.section	.AMDGPU.csdata,"",@progbits
; Kernel info:
; codeLenInByte = 0
; TotalNumSgprs: 0
; NumVgprs: 0
; ScratchSize: 0
; MemoryBound: 0
; FloatMode: 240
; IeeeMode: 1
; LDSByteSize: 0 bytes/workgroup (compile time only)
; SGPRBlocks: 0
; VGPRBlocks: 0
; NumSGPRsForWavesPerEU: 1
; NumVGPRsForWavesPerEU: 1
; NamedBarCnt: 0
; Occupancy: 16
; WaveLimiterHint : 0
; COMPUTE_PGM_RSRC2:SCRATCH_EN: 0
; COMPUTE_PGM_RSRC2:USER_SGPR: 2
; COMPUTE_PGM_RSRC2:TRAP_HANDLER: 0
; COMPUTE_PGM_RSRC2:TGID_X_EN: 1
; COMPUTE_PGM_RSRC2:TGID_Y_EN: 0
; COMPUTE_PGM_RSRC2:TGID_Z_EN: 0
; COMPUTE_PGM_RSRC2:TIDIG_COMP_CNT: 0
	.section	.text._ZN7rocprim17ROCPRIM_400000_NS6detail17trampoline_kernelINS0_14default_configENS1_25partition_config_selectorILNS1_17partition_subalgoE9EiibEEZZNS1_14partition_implILS5_9ELb0ES3_jPKiN6thrust23THRUST_200600_302600_NS17counting_iteratorIiNSB_11use_defaultESD_SD_EEPNS0_10empty_typeENS0_5tupleIJPiSF_EEENSH_IJSI_SG_EEENS0_18inequality_wrapperIN6hipcub16HIPCUB_304000_NS8EqualityEEEPlJSF_EEE10hipError_tPvRmT3_T4_T5_T6_T7_T9_mT8_P12ihipStream_tbDpT10_ENKUlT_T0_E_clISt17integral_constantIbLb1EES19_IbLb0EEEEDaS15_S16_EUlS15_E_NS1_11comp_targetILNS1_3genE9ELNS1_11target_archE1100ELNS1_3gpuE3ELNS1_3repE0EEENS1_30default_config_static_selectorELNS0_4arch9wavefront6targetE0EEEvT1_,"axG",@progbits,_ZN7rocprim17ROCPRIM_400000_NS6detail17trampoline_kernelINS0_14default_configENS1_25partition_config_selectorILNS1_17partition_subalgoE9EiibEEZZNS1_14partition_implILS5_9ELb0ES3_jPKiN6thrust23THRUST_200600_302600_NS17counting_iteratorIiNSB_11use_defaultESD_SD_EEPNS0_10empty_typeENS0_5tupleIJPiSF_EEENSH_IJSI_SG_EEENS0_18inequality_wrapperIN6hipcub16HIPCUB_304000_NS8EqualityEEEPlJSF_EEE10hipError_tPvRmT3_T4_T5_T6_T7_T9_mT8_P12ihipStream_tbDpT10_ENKUlT_T0_E_clISt17integral_constantIbLb1EES19_IbLb0EEEEDaS15_S16_EUlS15_E_NS1_11comp_targetILNS1_3genE9ELNS1_11target_archE1100ELNS1_3gpuE3ELNS1_3repE0EEENS1_30default_config_static_selectorELNS0_4arch9wavefront6targetE0EEEvT1_,comdat
	.protected	_ZN7rocprim17ROCPRIM_400000_NS6detail17trampoline_kernelINS0_14default_configENS1_25partition_config_selectorILNS1_17partition_subalgoE9EiibEEZZNS1_14partition_implILS5_9ELb0ES3_jPKiN6thrust23THRUST_200600_302600_NS17counting_iteratorIiNSB_11use_defaultESD_SD_EEPNS0_10empty_typeENS0_5tupleIJPiSF_EEENSH_IJSI_SG_EEENS0_18inequality_wrapperIN6hipcub16HIPCUB_304000_NS8EqualityEEEPlJSF_EEE10hipError_tPvRmT3_T4_T5_T6_T7_T9_mT8_P12ihipStream_tbDpT10_ENKUlT_T0_E_clISt17integral_constantIbLb1EES19_IbLb0EEEEDaS15_S16_EUlS15_E_NS1_11comp_targetILNS1_3genE9ELNS1_11target_archE1100ELNS1_3gpuE3ELNS1_3repE0EEENS1_30default_config_static_selectorELNS0_4arch9wavefront6targetE0EEEvT1_ ; -- Begin function _ZN7rocprim17ROCPRIM_400000_NS6detail17trampoline_kernelINS0_14default_configENS1_25partition_config_selectorILNS1_17partition_subalgoE9EiibEEZZNS1_14partition_implILS5_9ELb0ES3_jPKiN6thrust23THRUST_200600_302600_NS17counting_iteratorIiNSB_11use_defaultESD_SD_EEPNS0_10empty_typeENS0_5tupleIJPiSF_EEENSH_IJSI_SG_EEENS0_18inequality_wrapperIN6hipcub16HIPCUB_304000_NS8EqualityEEEPlJSF_EEE10hipError_tPvRmT3_T4_T5_T6_T7_T9_mT8_P12ihipStream_tbDpT10_ENKUlT_T0_E_clISt17integral_constantIbLb1EES19_IbLb0EEEEDaS15_S16_EUlS15_E_NS1_11comp_targetILNS1_3genE9ELNS1_11target_archE1100ELNS1_3gpuE3ELNS1_3repE0EEENS1_30default_config_static_selectorELNS0_4arch9wavefront6targetE0EEEvT1_
	.globl	_ZN7rocprim17ROCPRIM_400000_NS6detail17trampoline_kernelINS0_14default_configENS1_25partition_config_selectorILNS1_17partition_subalgoE9EiibEEZZNS1_14partition_implILS5_9ELb0ES3_jPKiN6thrust23THRUST_200600_302600_NS17counting_iteratorIiNSB_11use_defaultESD_SD_EEPNS0_10empty_typeENS0_5tupleIJPiSF_EEENSH_IJSI_SG_EEENS0_18inequality_wrapperIN6hipcub16HIPCUB_304000_NS8EqualityEEEPlJSF_EEE10hipError_tPvRmT3_T4_T5_T6_T7_T9_mT8_P12ihipStream_tbDpT10_ENKUlT_T0_E_clISt17integral_constantIbLb1EES19_IbLb0EEEEDaS15_S16_EUlS15_E_NS1_11comp_targetILNS1_3genE9ELNS1_11target_archE1100ELNS1_3gpuE3ELNS1_3repE0EEENS1_30default_config_static_selectorELNS0_4arch9wavefront6targetE0EEEvT1_
	.p2align	8
	.type	_ZN7rocprim17ROCPRIM_400000_NS6detail17trampoline_kernelINS0_14default_configENS1_25partition_config_selectorILNS1_17partition_subalgoE9EiibEEZZNS1_14partition_implILS5_9ELb0ES3_jPKiN6thrust23THRUST_200600_302600_NS17counting_iteratorIiNSB_11use_defaultESD_SD_EEPNS0_10empty_typeENS0_5tupleIJPiSF_EEENSH_IJSI_SG_EEENS0_18inequality_wrapperIN6hipcub16HIPCUB_304000_NS8EqualityEEEPlJSF_EEE10hipError_tPvRmT3_T4_T5_T6_T7_T9_mT8_P12ihipStream_tbDpT10_ENKUlT_T0_E_clISt17integral_constantIbLb1EES19_IbLb0EEEEDaS15_S16_EUlS15_E_NS1_11comp_targetILNS1_3genE9ELNS1_11target_archE1100ELNS1_3gpuE3ELNS1_3repE0EEENS1_30default_config_static_selectorELNS0_4arch9wavefront6targetE0EEEvT1_,@function
_ZN7rocprim17ROCPRIM_400000_NS6detail17trampoline_kernelINS0_14default_configENS1_25partition_config_selectorILNS1_17partition_subalgoE9EiibEEZZNS1_14partition_implILS5_9ELb0ES3_jPKiN6thrust23THRUST_200600_302600_NS17counting_iteratorIiNSB_11use_defaultESD_SD_EEPNS0_10empty_typeENS0_5tupleIJPiSF_EEENSH_IJSI_SG_EEENS0_18inequality_wrapperIN6hipcub16HIPCUB_304000_NS8EqualityEEEPlJSF_EEE10hipError_tPvRmT3_T4_T5_T6_T7_T9_mT8_P12ihipStream_tbDpT10_ENKUlT_T0_E_clISt17integral_constantIbLb1EES19_IbLb0EEEEDaS15_S16_EUlS15_E_NS1_11comp_targetILNS1_3genE9ELNS1_11target_archE1100ELNS1_3gpuE3ELNS1_3repE0EEENS1_30default_config_static_selectorELNS0_4arch9wavefront6targetE0EEEvT1_: ; @_ZN7rocprim17ROCPRIM_400000_NS6detail17trampoline_kernelINS0_14default_configENS1_25partition_config_selectorILNS1_17partition_subalgoE9EiibEEZZNS1_14partition_implILS5_9ELb0ES3_jPKiN6thrust23THRUST_200600_302600_NS17counting_iteratorIiNSB_11use_defaultESD_SD_EEPNS0_10empty_typeENS0_5tupleIJPiSF_EEENSH_IJSI_SG_EEENS0_18inequality_wrapperIN6hipcub16HIPCUB_304000_NS8EqualityEEEPlJSF_EEE10hipError_tPvRmT3_T4_T5_T6_T7_T9_mT8_P12ihipStream_tbDpT10_ENKUlT_T0_E_clISt17integral_constantIbLb1EES19_IbLb0EEEEDaS15_S16_EUlS15_E_NS1_11comp_targetILNS1_3genE9ELNS1_11target_archE1100ELNS1_3gpuE3ELNS1_3repE0EEENS1_30default_config_static_selectorELNS0_4arch9wavefront6targetE0EEEvT1_
; %bb.0:
	.section	.rodata,"a",@progbits
	.p2align	6, 0x0
	.amdhsa_kernel _ZN7rocprim17ROCPRIM_400000_NS6detail17trampoline_kernelINS0_14default_configENS1_25partition_config_selectorILNS1_17partition_subalgoE9EiibEEZZNS1_14partition_implILS5_9ELb0ES3_jPKiN6thrust23THRUST_200600_302600_NS17counting_iteratorIiNSB_11use_defaultESD_SD_EEPNS0_10empty_typeENS0_5tupleIJPiSF_EEENSH_IJSI_SG_EEENS0_18inequality_wrapperIN6hipcub16HIPCUB_304000_NS8EqualityEEEPlJSF_EEE10hipError_tPvRmT3_T4_T5_T6_T7_T9_mT8_P12ihipStream_tbDpT10_ENKUlT_T0_E_clISt17integral_constantIbLb1EES19_IbLb0EEEEDaS15_S16_EUlS15_E_NS1_11comp_targetILNS1_3genE9ELNS1_11target_archE1100ELNS1_3gpuE3ELNS1_3repE0EEENS1_30default_config_static_selectorELNS0_4arch9wavefront6targetE0EEEvT1_
		.amdhsa_group_segment_fixed_size 0
		.amdhsa_private_segment_fixed_size 0
		.amdhsa_kernarg_size 112
		.amdhsa_user_sgpr_count 2
		.amdhsa_user_sgpr_dispatch_ptr 0
		.amdhsa_user_sgpr_queue_ptr 0
		.amdhsa_user_sgpr_kernarg_segment_ptr 1
		.amdhsa_user_sgpr_dispatch_id 0
		.amdhsa_user_sgpr_kernarg_preload_length 0
		.amdhsa_user_sgpr_kernarg_preload_offset 0
		.amdhsa_user_sgpr_private_segment_size 0
		.amdhsa_wavefront_size32 1
		.amdhsa_uses_dynamic_stack 0
		.amdhsa_enable_private_segment 0
		.amdhsa_system_sgpr_workgroup_id_x 1
		.amdhsa_system_sgpr_workgroup_id_y 0
		.amdhsa_system_sgpr_workgroup_id_z 0
		.amdhsa_system_sgpr_workgroup_info 0
		.amdhsa_system_vgpr_workitem_id 0
		.amdhsa_next_free_vgpr 1
		.amdhsa_next_free_sgpr 1
		.amdhsa_named_barrier_count 0
		.amdhsa_reserve_vcc 0
		.amdhsa_float_round_mode_32 0
		.amdhsa_float_round_mode_16_64 0
		.amdhsa_float_denorm_mode_32 3
		.amdhsa_float_denorm_mode_16_64 3
		.amdhsa_fp16_overflow 0
		.amdhsa_memory_ordered 1
		.amdhsa_forward_progress 1
		.amdhsa_inst_pref_size 0
		.amdhsa_round_robin_scheduling 0
		.amdhsa_exception_fp_ieee_invalid_op 0
		.amdhsa_exception_fp_denorm_src 0
		.amdhsa_exception_fp_ieee_div_zero 0
		.amdhsa_exception_fp_ieee_overflow 0
		.amdhsa_exception_fp_ieee_underflow 0
		.amdhsa_exception_fp_ieee_inexact 0
		.amdhsa_exception_int_div_zero 0
	.end_amdhsa_kernel
	.section	.text._ZN7rocprim17ROCPRIM_400000_NS6detail17trampoline_kernelINS0_14default_configENS1_25partition_config_selectorILNS1_17partition_subalgoE9EiibEEZZNS1_14partition_implILS5_9ELb0ES3_jPKiN6thrust23THRUST_200600_302600_NS17counting_iteratorIiNSB_11use_defaultESD_SD_EEPNS0_10empty_typeENS0_5tupleIJPiSF_EEENSH_IJSI_SG_EEENS0_18inequality_wrapperIN6hipcub16HIPCUB_304000_NS8EqualityEEEPlJSF_EEE10hipError_tPvRmT3_T4_T5_T6_T7_T9_mT8_P12ihipStream_tbDpT10_ENKUlT_T0_E_clISt17integral_constantIbLb1EES19_IbLb0EEEEDaS15_S16_EUlS15_E_NS1_11comp_targetILNS1_3genE9ELNS1_11target_archE1100ELNS1_3gpuE3ELNS1_3repE0EEENS1_30default_config_static_selectorELNS0_4arch9wavefront6targetE0EEEvT1_,"axG",@progbits,_ZN7rocprim17ROCPRIM_400000_NS6detail17trampoline_kernelINS0_14default_configENS1_25partition_config_selectorILNS1_17partition_subalgoE9EiibEEZZNS1_14partition_implILS5_9ELb0ES3_jPKiN6thrust23THRUST_200600_302600_NS17counting_iteratorIiNSB_11use_defaultESD_SD_EEPNS0_10empty_typeENS0_5tupleIJPiSF_EEENSH_IJSI_SG_EEENS0_18inequality_wrapperIN6hipcub16HIPCUB_304000_NS8EqualityEEEPlJSF_EEE10hipError_tPvRmT3_T4_T5_T6_T7_T9_mT8_P12ihipStream_tbDpT10_ENKUlT_T0_E_clISt17integral_constantIbLb1EES19_IbLb0EEEEDaS15_S16_EUlS15_E_NS1_11comp_targetILNS1_3genE9ELNS1_11target_archE1100ELNS1_3gpuE3ELNS1_3repE0EEENS1_30default_config_static_selectorELNS0_4arch9wavefront6targetE0EEEvT1_,comdat
.Lfunc_end33:
	.size	_ZN7rocprim17ROCPRIM_400000_NS6detail17trampoline_kernelINS0_14default_configENS1_25partition_config_selectorILNS1_17partition_subalgoE9EiibEEZZNS1_14partition_implILS5_9ELb0ES3_jPKiN6thrust23THRUST_200600_302600_NS17counting_iteratorIiNSB_11use_defaultESD_SD_EEPNS0_10empty_typeENS0_5tupleIJPiSF_EEENSH_IJSI_SG_EEENS0_18inequality_wrapperIN6hipcub16HIPCUB_304000_NS8EqualityEEEPlJSF_EEE10hipError_tPvRmT3_T4_T5_T6_T7_T9_mT8_P12ihipStream_tbDpT10_ENKUlT_T0_E_clISt17integral_constantIbLb1EES19_IbLb0EEEEDaS15_S16_EUlS15_E_NS1_11comp_targetILNS1_3genE9ELNS1_11target_archE1100ELNS1_3gpuE3ELNS1_3repE0EEENS1_30default_config_static_selectorELNS0_4arch9wavefront6targetE0EEEvT1_, .Lfunc_end33-_ZN7rocprim17ROCPRIM_400000_NS6detail17trampoline_kernelINS0_14default_configENS1_25partition_config_selectorILNS1_17partition_subalgoE9EiibEEZZNS1_14partition_implILS5_9ELb0ES3_jPKiN6thrust23THRUST_200600_302600_NS17counting_iteratorIiNSB_11use_defaultESD_SD_EEPNS0_10empty_typeENS0_5tupleIJPiSF_EEENSH_IJSI_SG_EEENS0_18inequality_wrapperIN6hipcub16HIPCUB_304000_NS8EqualityEEEPlJSF_EEE10hipError_tPvRmT3_T4_T5_T6_T7_T9_mT8_P12ihipStream_tbDpT10_ENKUlT_T0_E_clISt17integral_constantIbLb1EES19_IbLb0EEEEDaS15_S16_EUlS15_E_NS1_11comp_targetILNS1_3genE9ELNS1_11target_archE1100ELNS1_3gpuE3ELNS1_3repE0EEENS1_30default_config_static_selectorELNS0_4arch9wavefront6targetE0EEEvT1_
                                        ; -- End function
	.set _ZN7rocprim17ROCPRIM_400000_NS6detail17trampoline_kernelINS0_14default_configENS1_25partition_config_selectorILNS1_17partition_subalgoE9EiibEEZZNS1_14partition_implILS5_9ELb0ES3_jPKiN6thrust23THRUST_200600_302600_NS17counting_iteratorIiNSB_11use_defaultESD_SD_EEPNS0_10empty_typeENS0_5tupleIJPiSF_EEENSH_IJSI_SG_EEENS0_18inequality_wrapperIN6hipcub16HIPCUB_304000_NS8EqualityEEEPlJSF_EEE10hipError_tPvRmT3_T4_T5_T6_T7_T9_mT8_P12ihipStream_tbDpT10_ENKUlT_T0_E_clISt17integral_constantIbLb1EES19_IbLb0EEEEDaS15_S16_EUlS15_E_NS1_11comp_targetILNS1_3genE9ELNS1_11target_archE1100ELNS1_3gpuE3ELNS1_3repE0EEENS1_30default_config_static_selectorELNS0_4arch9wavefront6targetE0EEEvT1_.num_vgpr, 0
	.set _ZN7rocprim17ROCPRIM_400000_NS6detail17trampoline_kernelINS0_14default_configENS1_25partition_config_selectorILNS1_17partition_subalgoE9EiibEEZZNS1_14partition_implILS5_9ELb0ES3_jPKiN6thrust23THRUST_200600_302600_NS17counting_iteratorIiNSB_11use_defaultESD_SD_EEPNS0_10empty_typeENS0_5tupleIJPiSF_EEENSH_IJSI_SG_EEENS0_18inequality_wrapperIN6hipcub16HIPCUB_304000_NS8EqualityEEEPlJSF_EEE10hipError_tPvRmT3_T4_T5_T6_T7_T9_mT8_P12ihipStream_tbDpT10_ENKUlT_T0_E_clISt17integral_constantIbLb1EES19_IbLb0EEEEDaS15_S16_EUlS15_E_NS1_11comp_targetILNS1_3genE9ELNS1_11target_archE1100ELNS1_3gpuE3ELNS1_3repE0EEENS1_30default_config_static_selectorELNS0_4arch9wavefront6targetE0EEEvT1_.num_agpr, 0
	.set _ZN7rocprim17ROCPRIM_400000_NS6detail17trampoline_kernelINS0_14default_configENS1_25partition_config_selectorILNS1_17partition_subalgoE9EiibEEZZNS1_14partition_implILS5_9ELb0ES3_jPKiN6thrust23THRUST_200600_302600_NS17counting_iteratorIiNSB_11use_defaultESD_SD_EEPNS0_10empty_typeENS0_5tupleIJPiSF_EEENSH_IJSI_SG_EEENS0_18inequality_wrapperIN6hipcub16HIPCUB_304000_NS8EqualityEEEPlJSF_EEE10hipError_tPvRmT3_T4_T5_T6_T7_T9_mT8_P12ihipStream_tbDpT10_ENKUlT_T0_E_clISt17integral_constantIbLb1EES19_IbLb0EEEEDaS15_S16_EUlS15_E_NS1_11comp_targetILNS1_3genE9ELNS1_11target_archE1100ELNS1_3gpuE3ELNS1_3repE0EEENS1_30default_config_static_selectorELNS0_4arch9wavefront6targetE0EEEvT1_.numbered_sgpr, 0
	.set _ZN7rocprim17ROCPRIM_400000_NS6detail17trampoline_kernelINS0_14default_configENS1_25partition_config_selectorILNS1_17partition_subalgoE9EiibEEZZNS1_14partition_implILS5_9ELb0ES3_jPKiN6thrust23THRUST_200600_302600_NS17counting_iteratorIiNSB_11use_defaultESD_SD_EEPNS0_10empty_typeENS0_5tupleIJPiSF_EEENSH_IJSI_SG_EEENS0_18inequality_wrapperIN6hipcub16HIPCUB_304000_NS8EqualityEEEPlJSF_EEE10hipError_tPvRmT3_T4_T5_T6_T7_T9_mT8_P12ihipStream_tbDpT10_ENKUlT_T0_E_clISt17integral_constantIbLb1EES19_IbLb0EEEEDaS15_S16_EUlS15_E_NS1_11comp_targetILNS1_3genE9ELNS1_11target_archE1100ELNS1_3gpuE3ELNS1_3repE0EEENS1_30default_config_static_selectorELNS0_4arch9wavefront6targetE0EEEvT1_.num_named_barrier, 0
	.set _ZN7rocprim17ROCPRIM_400000_NS6detail17trampoline_kernelINS0_14default_configENS1_25partition_config_selectorILNS1_17partition_subalgoE9EiibEEZZNS1_14partition_implILS5_9ELb0ES3_jPKiN6thrust23THRUST_200600_302600_NS17counting_iteratorIiNSB_11use_defaultESD_SD_EEPNS0_10empty_typeENS0_5tupleIJPiSF_EEENSH_IJSI_SG_EEENS0_18inequality_wrapperIN6hipcub16HIPCUB_304000_NS8EqualityEEEPlJSF_EEE10hipError_tPvRmT3_T4_T5_T6_T7_T9_mT8_P12ihipStream_tbDpT10_ENKUlT_T0_E_clISt17integral_constantIbLb1EES19_IbLb0EEEEDaS15_S16_EUlS15_E_NS1_11comp_targetILNS1_3genE9ELNS1_11target_archE1100ELNS1_3gpuE3ELNS1_3repE0EEENS1_30default_config_static_selectorELNS0_4arch9wavefront6targetE0EEEvT1_.private_seg_size, 0
	.set _ZN7rocprim17ROCPRIM_400000_NS6detail17trampoline_kernelINS0_14default_configENS1_25partition_config_selectorILNS1_17partition_subalgoE9EiibEEZZNS1_14partition_implILS5_9ELb0ES3_jPKiN6thrust23THRUST_200600_302600_NS17counting_iteratorIiNSB_11use_defaultESD_SD_EEPNS0_10empty_typeENS0_5tupleIJPiSF_EEENSH_IJSI_SG_EEENS0_18inequality_wrapperIN6hipcub16HIPCUB_304000_NS8EqualityEEEPlJSF_EEE10hipError_tPvRmT3_T4_T5_T6_T7_T9_mT8_P12ihipStream_tbDpT10_ENKUlT_T0_E_clISt17integral_constantIbLb1EES19_IbLb0EEEEDaS15_S16_EUlS15_E_NS1_11comp_targetILNS1_3genE9ELNS1_11target_archE1100ELNS1_3gpuE3ELNS1_3repE0EEENS1_30default_config_static_selectorELNS0_4arch9wavefront6targetE0EEEvT1_.uses_vcc, 0
	.set _ZN7rocprim17ROCPRIM_400000_NS6detail17trampoline_kernelINS0_14default_configENS1_25partition_config_selectorILNS1_17partition_subalgoE9EiibEEZZNS1_14partition_implILS5_9ELb0ES3_jPKiN6thrust23THRUST_200600_302600_NS17counting_iteratorIiNSB_11use_defaultESD_SD_EEPNS0_10empty_typeENS0_5tupleIJPiSF_EEENSH_IJSI_SG_EEENS0_18inequality_wrapperIN6hipcub16HIPCUB_304000_NS8EqualityEEEPlJSF_EEE10hipError_tPvRmT3_T4_T5_T6_T7_T9_mT8_P12ihipStream_tbDpT10_ENKUlT_T0_E_clISt17integral_constantIbLb1EES19_IbLb0EEEEDaS15_S16_EUlS15_E_NS1_11comp_targetILNS1_3genE9ELNS1_11target_archE1100ELNS1_3gpuE3ELNS1_3repE0EEENS1_30default_config_static_selectorELNS0_4arch9wavefront6targetE0EEEvT1_.uses_flat_scratch, 0
	.set _ZN7rocprim17ROCPRIM_400000_NS6detail17trampoline_kernelINS0_14default_configENS1_25partition_config_selectorILNS1_17partition_subalgoE9EiibEEZZNS1_14partition_implILS5_9ELb0ES3_jPKiN6thrust23THRUST_200600_302600_NS17counting_iteratorIiNSB_11use_defaultESD_SD_EEPNS0_10empty_typeENS0_5tupleIJPiSF_EEENSH_IJSI_SG_EEENS0_18inequality_wrapperIN6hipcub16HIPCUB_304000_NS8EqualityEEEPlJSF_EEE10hipError_tPvRmT3_T4_T5_T6_T7_T9_mT8_P12ihipStream_tbDpT10_ENKUlT_T0_E_clISt17integral_constantIbLb1EES19_IbLb0EEEEDaS15_S16_EUlS15_E_NS1_11comp_targetILNS1_3genE9ELNS1_11target_archE1100ELNS1_3gpuE3ELNS1_3repE0EEENS1_30default_config_static_selectorELNS0_4arch9wavefront6targetE0EEEvT1_.has_dyn_sized_stack, 0
	.set _ZN7rocprim17ROCPRIM_400000_NS6detail17trampoline_kernelINS0_14default_configENS1_25partition_config_selectorILNS1_17partition_subalgoE9EiibEEZZNS1_14partition_implILS5_9ELb0ES3_jPKiN6thrust23THRUST_200600_302600_NS17counting_iteratorIiNSB_11use_defaultESD_SD_EEPNS0_10empty_typeENS0_5tupleIJPiSF_EEENSH_IJSI_SG_EEENS0_18inequality_wrapperIN6hipcub16HIPCUB_304000_NS8EqualityEEEPlJSF_EEE10hipError_tPvRmT3_T4_T5_T6_T7_T9_mT8_P12ihipStream_tbDpT10_ENKUlT_T0_E_clISt17integral_constantIbLb1EES19_IbLb0EEEEDaS15_S16_EUlS15_E_NS1_11comp_targetILNS1_3genE9ELNS1_11target_archE1100ELNS1_3gpuE3ELNS1_3repE0EEENS1_30default_config_static_selectorELNS0_4arch9wavefront6targetE0EEEvT1_.has_recursion, 0
	.set _ZN7rocprim17ROCPRIM_400000_NS6detail17trampoline_kernelINS0_14default_configENS1_25partition_config_selectorILNS1_17partition_subalgoE9EiibEEZZNS1_14partition_implILS5_9ELb0ES3_jPKiN6thrust23THRUST_200600_302600_NS17counting_iteratorIiNSB_11use_defaultESD_SD_EEPNS0_10empty_typeENS0_5tupleIJPiSF_EEENSH_IJSI_SG_EEENS0_18inequality_wrapperIN6hipcub16HIPCUB_304000_NS8EqualityEEEPlJSF_EEE10hipError_tPvRmT3_T4_T5_T6_T7_T9_mT8_P12ihipStream_tbDpT10_ENKUlT_T0_E_clISt17integral_constantIbLb1EES19_IbLb0EEEEDaS15_S16_EUlS15_E_NS1_11comp_targetILNS1_3genE9ELNS1_11target_archE1100ELNS1_3gpuE3ELNS1_3repE0EEENS1_30default_config_static_selectorELNS0_4arch9wavefront6targetE0EEEvT1_.has_indirect_call, 0
	.section	.AMDGPU.csdata,"",@progbits
; Kernel info:
; codeLenInByte = 0
; TotalNumSgprs: 0
; NumVgprs: 0
; ScratchSize: 0
; MemoryBound: 0
; FloatMode: 240
; IeeeMode: 1
; LDSByteSize: 0 bytes/workgroup (compile time only)
; SGPRBlocks: 0
; VGPRBlocks: 0
; NumSGPRsForWavesPerEU: 1
; NumVGPRsForWavesPerEU: 1
; NamedBarCnt: 0
; Occupancy: 16
; WaveLimiterHint : 0
; COMPUTE_PGM_RSRC2:SCRATCH_EN: 0
; COMPUTE_PGM_RSRC2:USER_SGPR: 2
; COMPUTE_PGM_RSRC2:TRAP_HANDLER: 0
; COMPUTE_PGM_RSRC2:TGID_X_EN: 1
; COMPUTE_PGM_RSRC2:TGID_Y_EN: 0
; COMPUTE_PGM_RSRC2:TGID_Z_EN: 0
; COMPUTE_PGM_RSRC2:TIDIG_COMP_CNT: 0
	.section	.text._ZN7rocprim17ROCPRIM_400000_NS6detail17trampoline_kernelINS0_14default_configENS1_25partition_config_selectorILNS1_17partition_subalgoE9EiibEEZZNS1_14partition_implILS5_9ELb0ES3_jPKiN6thrust23THRUST_200600_302600_NS17counting_iteratorIiNSB_11use_defaultESD_SD_EEPNS0_10empty_typeENS0_5tupleIJPiSF_EEENSH_IJSI_SG_EEENS0_18inequality_wrapperIN6hipcub16HIPCUB_304000_NS8EqualityEEEPlJSF_EEE10hipError_tPvRmT3_T4_T5_T6_T7_T9_mT8_P12ihipStream_tbDpT10_ENKUlT_T0_E_clISt17integral_constantIbLb1EES19_IbLb0EEEEDaS15_S16_EUlS15_E_NS1_11comp_targetILNS1_3genE8ELNS1_11target_archE1030ELNS1_3gpuE2ELNS1_3repE0EEENS1_30default_config_static_selectorELNS0_4arch9wavefront6targetE0EEEvT1_,"axG",@progbits,_ZN7rocprim17ROCPRIM_400000_NS6detail17trampoline_kernelINS0_14default_configENS1_25partition_config_selectorILNS1_17partition_subalgoE9EiibEEZZNS1_14partition_implILS5_9ELb0ES3_jPKiN6thrust23THRUST_200600_302600_NS17counting_iteratorIiNSB_11use_defaultESD_SD_EEPNS0_10empty_typeENS0_5tupleIJPiSF_EEENSH_IJSI_SG_EEENS0_18inequality_wrapperIN6hipcub16HIPCUB_304000_NS8EqualityEEEPlJSF_EEE10hipError_tPvRmT3_T4_T5_T6_T7_T9_mT8_P12ihipStream_tbDpT10_ENKUlT_T0_E_clISt17integral_constantIbLb1EES19_IbLb0EEEEDaS15_S16_EUlS15_E_NS1_11comp_targetILNS1_3genE8ELNS1_11target_archE1030ELNS1_3gpuE2ELNS1_3repE0EEENS1_30default_config_static_selectorELNS0_4arch9wavefront6targetE0EEEvT1_,comdat
	.protected	_ZN7rocprim17ROCPRIM_400000_NS6detail17trampoline_kernelINS0_14default_configENS1_25partition_config_selectorILNS1_17partition_subalgoE9EiibEEZZNS1_14partition_implILS5_9ELb0ES3_jPKiN6thrust23THRUST_200600_302600_NS17counting_iteratorIiNSB_11use_defaultESD_SD_EEPNS0_10empty_typeENS0_5tupleIJPiSF_EEENSH_IJSI_SG_EEENS0_18inequality_wrapperIN6hipcub16HIPCUB_304000_NS8EqualityEEEPlJSF_EEE10hipError_tPvRmT3_T4_T5_T6_T7_T9_mT8_P12ihipStream_tbDpT10_ENKUlT_T0_E_clISt17integral_constantIbLb1EES19_IbLb0EEEEDaS15_S16_EUlS15_E_NS1_11comp_targetILNS1_3genE8ELNS1_11target_archE1030ELNS1_3gpuE2ELNS1_3repE0EEENS1_30default_config_static_selectorELNS0_4arch9wavefront6targetE0EEEvT1_ ; -- Begin function _ZN7rocprim17ROCPRIM_400000_NS6detail17trampoline_kernelINS0_14default_configENS1_25partition_config_selectorILNS1_17partition_subalgoE9EiibEEZZNS1_14partition_implILS5_9ELb0ES3_jPKiN6thrust23THRUST_200600_302600_NS17counting_iteratorIiNSB_11use_defaultESD_SD_EEPNS0_10empty_typeENS0_5tupleIJPiSF_EEENSH_IJSI_SG_EEENS0_18inequality_wrapperIN6hipcub16HIPCUB_304000_NS8EqualityEEEPlJSF_EEE10hipError_tPvRmT3_T4_T5_T6_T7_T9_mT8_P12ihipStream_tbDpT10_ENKUlT_T0_E_clISt17integral_constantIbLb1EES19_IbLb0EEEEDaS15_S16_EUlS15_E_NS1_11comp_targetILNS1_3genE8ELNS1_11target_archE1030ELNS1_3gpuE2ELNS1_3repE0EEENS1_30default_config_static_selectorELNS0_4arch9wavefront6targetE0EEEvT1_
	.globl	_ZN7rocprim17ROCPRIM_400000_NS6detail17trampoline_kernelINS0_14default_configENS1_25partition_config_selectorILNS1_17partition_subalgoE9EiibEEZZNS1_14partition_implILS5_9ELb0ES3_jPKiN6thrust23THRUST_200600_302600_NS17counting_iteratorIiNSB_11use_defaultESD_SD_EEPNS0_10empty_typeENS0_5tupleIJPiSF_EEENSH_IJSI_SG_EEENS0_18inequality_wrapperIN6hipcub16HIPCUB_304000_NS8EqualityEEEPlJSF_EEE10hipError_tPvRmT3_T4_T5_T6_T7_T9_mT8_P12ihipStream_tbDpT10_ENKUlT_T0_E_clISt17integral_constantIbLb1EES19_IbLb0EEEEDaS15_S16_EUlS15_E_NS1_11comp_targetILNS1_3genE8ELNS1_11target_archE1030ELNS1_3gpuE2ELNS1_3repE0EEENS1_30default_config_static_selectorELNS0_4arch9wavefront6targetE0EEEvT1_
	.p2align	8
	.type	_ZN7rocprim17ROCPRIM_400000_NS6detail17trampoline_kernelINS0_14default_configENS1_25partition_config_selectorILNS1_17partition_subalgoE9EiibEEZZNS1_14partition_implILS5_9ELb0ES3_jPKiN6thrust23THRUST_200600_302600_NS17counting_iteratorIiNSB_11use_defaultESD_SD_EEPNS0_10empty_typeENS0_5tupleIJPiSF_EEENSH_IJSI_SG_EEENS0_18inequality_wrapperIN6hipcub16HIPCUB_304000_NS8EqualityEEEPlJSF_EEE10hipError_tPvRmT3_T4_T5_T6_T7_T9_mT8_P12ihipStream_tbDpT10_ENKUlT_T0_E_clISt17integral_constantIbLb1EES19_IbLb0EEEEDaS15_S16_EUlS15_E_NS1_11comp_targetILNS1_3genE8ELNS1_11target_archE1030ELNS1_3gpuE2ELNS1_3repE0EEENS1_30default_config_static_selectorELNS0_4arch9wavefront6targetE0EEEvT1_,@function
_ZN7rocprim17ROCPRIM_400000_NS6detail17trampoline_kernelINS0_14default_configENS1_25partition_config_selectorILNS1_17partition_subalgoE9EiibEEZZNS1_14partition_implILS5_9ELb0ES3_jPKiN6thrust23THRUST_200600_302600_NS17counting_iteratorIiNSB_11use_defaultESD_SD_EEPNS0_10empty_typeENS0_5tupleIJPiSF_EEENSH_IJSI_SG_EEENS0_18inequality_wrapperIN6hipcub16HIPCUB_304000_NS8EqualityEEEPlJSF_EEE10hipError_tPvRmT3_T4_T5_T6_T7_T9_mT8_P12ihipStream_tbDpT10_ENKUlT_T0_E_clISt17integral_constantIbLb1EES19_IbLb0EEEEDaS15_S16_EUlS15_E_NS1_11comp_targetILNS1_3genE8ELNS1_11target_archE1030ELNS1_3gpuE2ELNS1_3repE0EEENS1_30default_config_static_selectorELNS0_4arch9wavefront6targetE0EEEvT1_: ; @_ZN7rocprim17ROCPRIM_400000_NS6detail17trampoline_kernelINS0_14default_configENS1_25partition_config_selectorILNS1_17partition_subalgoE9EiibEEZZNS1_14partition_implILS5_9ELb0ES3_jPKiN6thrust23THRUST_200600_302600_NS17counting_iteratorIiNSB_11use_defaultESD_SD_EEPNS0_10empty_typeENS0_5tupleIJPiSF_EEENSH_IJSI_SG_EEENS0_18inequality_wrapperIN6hipcub16HIPCUB_304000_NS8EqualityEEEPlJSF_EEE10hipError_tPvRmT3_T4_T5_T6_T7_T9_mT8_P12ihipStream_tbDpT10_ENKUlT_T0_E_clISt17integral_constantIbLb1EES19_IbLb0EEEEDaS15_S16_EUlS15_E_NS1_11comp_targetILNS1_3genE8ELNS1_11target_archE1030ELNS1_3gpuE2ELNS1_3repE0EEENS1_30default_config_static_selectorELNS0_4arch9wavefront6targetE0EEEvT1_
; %bb.0:
	.section	.rodata,"a",@progbits
	.p2align	6, 0x0
	.amdhsa_kernel _ZN7rocprim17ROCPRIM_400000_NS6detail17trampoline_kernelINS0_14default_configENS1_25partition_config_selectorILNS1_17partition_subalgoE9EiibEEZZNS1_14partition_implILS5_9ELb0ES3_jPKiN6thrust23THRUST_200600_302600_NS17counting_iteratorIiNSB_11use_defaultESD_SD_EEPNS0_10empty_typeENS0_5tupleIJPiSF_EEENSH_IJSI_SG_EEENS0_18inequality_wrapperIN6hipcub16HIPCUB_304000_NS8EqualityEEEPlJSF_EEE10hipError_tPvRmT3_T4_T5_T6_T7_T9_mT8_P12ihipStream_tbDpT10_ENKUlT_T0_E_clISt17integral_constantIbLb1EES19_IbLb0EEEEDaS15_S16_EUlS15_E_NS1_11comp_targetILNS1_3genE8ELNS1_11target_archE1030ELNS1_3gpuE2ELNS1_3repE0EEENS1_30default_config_static_selectorELNS0_4arch9wavefront6targetE0EEEvT1_
		.amdhsa_group_segment_fixed_size 0
		.amdhsa_private_segment_fixed_size 0
		.amdhsa_kernarg_size 112
		.amdhsa_user_sgpr_count 2
		.amdhsa_user_sgpr_dispatch_ptr 0
		.amdhsa_user_sgpr_queue_ptr 0
		.amdhsa_user_sgpr_kernarg_segment_ptr 1
		.amdhsa_user_sgpr_dispatch_id 0
		.amdhsa_user_sgpr_kernarg_preload_length 0
		.amdhsa_user_sgpr_kernarg_preload_offset 0
		.amdhsa_user_sgpr_private_segment_size 0
		.amdhsa_wavefront_size32 1
		.amdhsa_uses_dynamic_stack 0
		.amdhsa_enable_private_segment 0
		.amdhsa_system_sgpr_workgroup_id_x 1
		.amdhsa_system_sgpr_workgroup_id_y 0
		.amdhsa_system_sgpr_workgroup_id_z 0
		.amdhsa_system_sgpr_workgroup_info 0
		.amdhsa_system_vgpr_workitem_id 0
		.amdhsa_next_free_vgpr 1
		.amdhsa_next_free_sgpr 1
		.amdhsa_named_barrier_count 0
		.amdhsa_reserve_vcc 0
		.amdhsa_float_round_mode_32 0
		.amdhsa_float_round_mode_16_64 0
		.amdhsa_float_denorm_mode_32 3
		.amdhsa_float_denorm_mode_16_64 3
		.amdhsa_fp16_overflow 0
		.amdhsa_memory_ordered 1
		.amdhsa_forward_progress 1
		.amdhsa_inst_pref_size 0
		.amdhsa_round_robin_scheduling 0
		.amdhsa_exception_fp_ieee_invalid_op 0
		.amdhsa_exception_fp_denorm_src 0
		.amdhsa_exception_fp_ieee_div_zero 0
		.amdhsa_exception_fp_ieee_overflow 0
		.amdhsa_exception_fp_ieee_underflow 0
		.amdhsa_exception_fp_ieee_inexact 0
		.amdhsa_exception_int_div_zero 0
	.end_amdhsa_kernel
	.section	.text._ZN7rocprim17ROCPRIM_400000_NS6detail17trampoline_kernelINS0_14default_configENS1_25partition_config_selectorILNS1_17partition_subalgoE9EiibEEZZNS1_14partition_implILS5_9ELb0ES3_jPKiN6thrust23THRUST_200600_302600_NS17counting_iteratorIiNSB_11use_defaultESD_SD_EEPNS0_10empty_typeENS0_5tupleIJPiSF_EEENSH_IJSI_SG_EEENS0_18inequality_wrapperIN6hipcub16HIPCUB_304000_NS8EqualityEEEPlJSF_EEE10hipError_tPvRmT3_T4_T5_T6_T7_T9_mT8_P12ihipStream_tbDpT10_ENKUlT_T0_E_clISt17integral_constantIbLb1EES19_IbLb0EEEEDaS15_S16_EUlS15_E_NS1_11comp_targetILNS1_3genE8ELNS1_11target_archE1030ELNS1_3gpuE2ELNS1_3repE0EEENS1_30default_config_static_selectorELNS0_4arch9wavefront6targetE0EEEvT1_,"axG",@progbits,_ZN7rocprim17ROCPRIM_400000_NS6detail17trampoline_kernelINS0_14default_configENS1_25partition_config_selectorILNS1_17partition_subalgoE9EiibEEZZNS1_14partition_implILS5_9ELb0ES3_jPKiN6thrust23THRUST_200600_302600_NS17counting_iteratorIiNSB_11use_defaultESD_SD_EEPNS0_10empty_typeENS0_5tupleIJPiSF_EEENSH_IJSI_SG_EEENS0_18inequality_wrapperIN6hipcub16HIPCUB_304000_NS8EqualityEEEPlJSF_EEE10hipError_tPvRmT3_T4_T5_T6_T7_T9_mT8_P12ihipStream_tbDpT10_ENKUlT_T0_E_clISt17integral_constantIbLb1EES19_IbLb0EEEEDaS15_S16_EUlS15_E_NS1_11comp_targetILNS1_3genE8ELNS1_11target_archE1030ELNS1_3gpuE2ELNS1_3repE0EEENS1_30default_config_static_selectorELNS0_4arch9wavefront6targetE0EEEvT1_,comdat
.Lfunc_end34:
	.size	_ZN7rocprim17ROCPRIM_400000_NS6detail17trampoline_kernelINS0_14default_configENS1_25partition_config_selectorILNS1_17partition_subalgoE9EiibEEZZNS1_14partition_implILS5_9ELb0ES3_jPKiN6thrust23THRUST_200600_302600_NS17counting_iteratorIiNSB_11use_defaultESD_SD_EEPNS0_10empty_typeENS0_5tupleIJPiSF_EEENSH_IJSI_SG_EEENS0_18inequality_wrapperIN6hipcub16HIPCUB_304000_NS8EqualityEEEPlJSF_EEE10hipError_tPvRmT3_T4_T5_T6_T7_T9_mT8_P12ihipStream_tbDpT10_ENKUlT_T0_E_clISt17integral_constantIbLb1EES19_IbLb0EEEEDaS15_S16_EUlS15_E_NS1_11comp_targetILNS1_3genE8ELNS1_11target_archE1030ELNS1_3gpuE2ELNS1_3repE0EEENS1_30default_config_static_selectorELNS0_4arch9wavefront6targetE0EEEvT1_, .Lfunc_end34-_ZN7rocprim17ROCPRIM_400000_NS6detail17trampoline_kernelINS0_14default_configENS1_25partition_config_selectorILNS1_17partition_subalgoE9EiibEEZZNS1_14partition_implILS5_9ELb0ES3_jPKiN6thrust23THRUST_200600_302600_NS17counting_iteratorIiNSB_11use_defaultESD_SD_EEPNS0_10empty_typeENS0_5tupleIJPiSF_EEENSH_IJSI_SG_EEENS0_18inequality_wrapperIN6hipcub16HIPCUB_304000_NS8EqualityEEEPlJSF_EEE10hipError_tPvRmT3_T4_T5_T6_T7_T9_mT8_P12ihipStream_tbDpT10_ENKUlT_T0_E_clISt17integral_constantIbLb1EES19_IbLb0EEEEDaS15_S16_EUlS15_E_NS1_11comp_targetILNS1_3genE8ELNS1_11target_archE1030ELNS1_3gpuE2ELNS1_3repE0EEENS1_30default_config_static_selectorELNS0_4arch9wavefront6targetE0EEEvT1_
                                        ; -- End function
	.set _ZN7rocprim17ROCPRIM_400000_NS6detail17trampoline_kernelINS0_14default_configENS1_25partition_config_selectorILNS1_17partition_subalgoE9EiibEEZZNS1_14partition_implILS5_9ELb0ES3_jPKiN6thrust23THRUST_200600_302600_NS17counting_iteratorIiNSB_11use_defaultESD_SD_EEPNS0_10empty_typeENS0_5tupleIJPiSF_EEENSH_IJSI_SG_EEENS0_18inequality_wrapperIN6hipcub16HIPCUB_304000_NS8EqualityEEEPlJSF_EEE10hipError_tPvRmT3_T4_T5_T6_T7_T9_mT8_P12ihipStream_tbDpT10_ENKUlT_T0_E_clISt17integral_constantIbLb1EES19_IbLb0EEEEDaS15_S16_EUlS15_E_NS1_11comp_targetILNS1_3genE8ELNS1_11target_archE1030ELNS1_3gpuE2ELNS1_3repE0EEENS1_30default_config_static_selectorELNS0_4arch9wavefront6targetE0EEEvT1_.num_vgpr, 0
	.set _ZN7rocprim17ROCPRIM_400000_NS6detail17trampoline_kernelINS0_14default_configENS1_25partition_config_selectorILNS1_17partition_subalgoE9EiibEEZZNS1_14partition_implILS5_9ELb0ES3_jPKiN6thrust23THRUST_200600_302600_NS17counting_iteratorIiNSB_11use_defaultESD_SD_EEPNS0_10empty_typeENS0_5tupleIJPiSF_EEENSH_IJSI_SG_EEENS0_18inequality_wrapperIN6hipcub16HIPCUB_304000_NS8EqualityEEEPlJSF_EEE10hipError_tPvRmT3_T4_T5_T6_T7_T9_mT8_P12ihipStream_tbDpT10_ENKUlT_T0_E_clISt17integral_constantIbLb1EES19_IbLb0EEEEDaS15_S16_EUlS15_E_NS1_11comp_targetILNS1_3genE8ELNS1_11target_archE1030ELNS1_3gpuE2ELNS1_3repE0EEENS1_30default_config_static_selectorELNS0_4arch9wavefront6targetE0EEEvT1_.num_agpr, 0
	.set _ZN7rocprim17ROCPRIM_400000_NS6detail17trampoline_kernelINS0_14default_configENS1_25partition_config_selectorILNS1_17partition_subalgoE9EiibEEZZNS1_14partition_implILS5_9ELb0ES3_jPKiN6thrust23THRUST_200600_302600_NS17counting_iteratorIiNSB_11use_defaultESD_SD_EEPNS0_10empty_typeENS0_5tupleIJPiSF_EEENSH_IJSI_SG_EEENS0_18inequality_wrapperIN6hipcub16HIPCUB_304000_NS8EqualityEEEPlJSF_EEE10hipError_tPvRmT3_T4_T5_T6_T7_T9_mT8_P12ihipStream_tbDpT10_ENKUlT_T0_E_clISt17integral_constantIbLb1EES19_IbLb0EEEEDaS15_S16_EUlS15_E_NS1_11comp_targetILNS1_3genE8ELNS1_11target_archE1030ELNS1_3gpuE2ELNS1_3repE0EEENS1_30default_config_static_selectorELNS0_4arch9wavefront6targetE0EEEvT1_.numbered_sgpr, 0
	.set _ZN7rocprim17ROCPRIM_400000_NS6detail17trampoline_kernelINS0_14default_configENS1_25partition_config_selectorILNS1_17partition_subalgoE9EiibEEZZNS1_14partition_implILS5_9ELb0ES3_jPKiN6thrust23THRUST_200600_302600_NS17counting_iteratorIiNSB_11use_defaultESD_SD_EEPNS0_10empty_typeENS0_5tupleIJPiSF_EEENSH_IJSI_SG_EEENS0_18inequality_wrapperIN6hipcub16HIPCUB_304000_NS8EqualityEEEPlJSF_EEE10hipError_tPvRmT3_T4_T5_T6_T7_T9_mT8_P12ihipStream_tbDpT10_ENKUlT_T0_E_clISt17integral_constantIbLb1EES19_IbLb0EEEEDaS15_S16_EUlS15_E_NS1_11comp_targetILNS1_3genE8ELNS1_11target_archE1030ELNS1_3gpuE2ELNS1_3repE0EEENS1_30default_config_static_selectorELNS0_4arch9wavefront6targetE0EEEvT1_.num_named_barrier, 0
	.set _ZN7rocprim17ROCPRIM_400000_NS6detail17trampoline_kernelINS0_14default_configENS1_25partition_config_selectorILNS1_17partition_subalgoE9EiibEEZZNS1_14partition_implILS5_9ELb0ES3_jPKiN6thrust23THRUST_200600_302600_NS17counting_iteratorIiNSB_11use_defaultESD_SD_EEPNS0_10empty_typeENS0_5tupleIJPiSF_EEENSH_IJSI_SG_EEENS0_18inequality_wrapperIN6hipcub16HIPCUB_304000_NS8EqualityEEEPlJSF_EEE10hipError_tPvRmT3_T4_T5_T6_T7_T9_mT8_P12ihipStream_tbDpT10_ENKUlT_T0_E_clISt17integral_constantIbLb1EES19_IbLb0EEEEDaS15_S16_EUlS15_E_NS1_11comp_targetILNS1_3genE8ELNS1_11target_archE1030ELNS1_3gpuE2ELNS1_3repE0EEENS1_30default_config_static_selectorELNS0_4arch9wavefront6targetE0EEEvT1_.private_seg_size, 0
	.set _ZN7rocprim17ROCPRIM_400000_NS6detail17trampoline_kernelINS0_14default_configENS1_25partition_config_selectorILNS1_17partition_subalgoE9EiibEEZZNS1_14partition_implILS5_9ELb0ES3_jPKiN6thrust23THRUST_200600_302600_NS17counting_iteratorIiNSB_11use_defaultESD_SD_EEPNS0_10empty_typeENS0_5tupleIJPiSF_EEENSH_IJSI_SG_EEENS0_18inequality_wrapperIN6hipcub16HIPCUB_304000_NS8EqualityEEEPlJSF_EEE10hipError_tPvRmT3_T4_T5_T6_T7_T9_mT8_P12ihipStream_tbDpT10_ENKUlT_T0_E_clISt17integral_constantIbLb1EES19_IbLb0EEEEDaS15_S16_EUlS15_E_NS1_11comp_targetILNS1_3genE8ELNS1_11target_archE1030ELNS1_3gpuE2ELNS1_3repE0EEENS1_30default_config_static_selectorELNS0_4arch9wavefront6targetE0EEEvT1_.uses_vcc, 0
	.set _ZN7rocprim17ROCPRIM_400000_NS6detail17trampoline_kernelINS0_14default_configENS1_25partition_config_selectorILNS1_17partition_subalgoE9EiibEEZZNS1_14partition_implILS5_9ELb0ES3_jPKiN6thrust23THRUST_200600_302600_NS17counting_iteratorIiNSB_11use_defaultESD_SD_EEPNS0_10empty_typeENS0_5tupleIJPiSF_EEENSH_IJSI_SG_EEENS0_18inequality_wrapperIN6hipcub16HIPCUB_304000_NS8EqualityEEEPlJSF_EEE10hipError_tPvRmT3_T4_T5_T6_T7_T9_mT8_P12ihipStream_tbDpT10_ENKUlT_T0_E_clISt17integral_constantIbLb1EES19_IbLb0EEEEDaS15_S16_EUlS15_E_NS1_11comp_targetILNS1_3genE8ELNS1_11target_archE1030ELNS1_3gpuE2ELNS1_3repE0EEENS1_30default_config_static_selectorELNS0_4arch9wavefront6targetE0EEEvT1_.uses_flat_scratch, 0
	.set _ZN7rocprim17ROCPRIM_400000_NS6detail17trampoline_kernelINS0_14default_configENS1_25partition_config_selectorILNS1_17partition_subalgoE9EiibEEZZNS1_14partition_implILS5_9ELb0ES3_jPKiN6thrust23THRUST_200600_302600_NS17counting_iteratorIiNSB_11use_defaultESD_SD_EEPNS0_10empty_typeENS0_5tupleIJPiSF_EEENSH_IJSI_SG_EEENS0_18inequality_wrapperIN6hipcub16HIPCUB_304000_NS8EqualityEEEPlJSF_EEE10hipError_tPvRmT3_T4_T5_T6_T7_T9_mT8_P12ihipStream_tbDpT10_ENKUlT_T0_E_clISt17integral_constantIbLb1EES19_IbLb0EEEEDaS15_S16_EUlS15_E_NS1_11comp_targetILNS1_3genE8ELNS1_11target_archE1030ELNS1_3gpuE2ELNS1_3repE0EEENS1_30default_config_static_selectorELNS0_4arch9wavefront6targetE0EEEvT1_.has_dyn_sized_stack, 0
	.set _ZN7rocprim17ROCPRIM_400000_NS6detail17trampoline_kernelINS0_14default_configENS1_25partition_config_selectorILNS1_17partition_subalgoE9EiibEEZZNS1_14partition_implILS5_9ELb0ES3_jPKiN6thrust23THRUST_200600_302600_NS17counting_iteratorIiNSB_11use_defaultESD_SD_EEPNS0_10empty_typeENS0_5tupleIJPiSF_EEENSH_IJSI_SG_EEENS0_18inequality_wrapperIN6hipcub16HIPCUB_304000_NS8EqualityEEEPlJSF_EEE10hipError_tPvRmT3_T4_T5_T6_T7_T9_mT8_P12ihipStream_tbDpT10_ENKUlT_T0_E_clISt17integral_constantIbLb1EES19_IbLb0EEEEDaS15_S16_EUlS15_E_NS1_11comp_targetILNS1_3genE8ELNS1_11target_archE1030ELNS1_3gpuE2ELNS1_3repE0EEENS1_30default_config_static_selectorELNS0_4arch9wavefront6targetE0EEEvT1_.has_recursion, 0
	.set _ZN7rocprim17ROCPRIM_400000_NS6detail17trampoline_kernelINS0_14default_configENS1_25partition_config_selectorILNS1_17partition_subalgoE9EiibEEZZNS1_14partition_implILS5_9ELb0ES3_jPKiN6thrust23THRUST_200600_302600_NS17counting_iteratorIiNSB_11use_defaultESD_SD_EEPNS0_10empty_typeENS0_5tupleIJPiSF_EEENSH_IJSI_SG_EEENS0_18inequality_wrapperIN6hipcub16HIPCUB_304000_NS8EqualityEEEPlJSF_EEE10hipError_tPvRmT3_T4_T5_T6_T7_T9_mT8_P12ihipStream_tbDpT10_ENKUlT_T0_E_clISt17integral_constantIbLb1EES19_IbLb0EEEEDaS15_S16_EUlS15_E_NS1_11comp_targetILNS1_3genE8ELNS1_11target_archE1030ELNS1_3gpuE2ELNS1_3repE0EEENS1_30default_config_static_selectorELNS0_4arch9wavefront6targetE0EEEvT1_.has_indirect_call, 0
	.section	.AMDGPU.csdata,"",@progbits
; Kernel info:
; codeLenInByte = 0
; TotalNumSgprs: 0
; NumVgprs: 0
; ScratchSize: 0
; MemoryBound: 0
; FloatMode: 240
; IeeeMode: 1
; LDSByteSize: 0 bytes/workgroup (compile time only)
; SGPRBlocks: 0
; VGPRBlocks: 0
; NumSGPRsForWavesPerEU: 1
; NumVGPRsForWavesPerEU: 1
; NamedBarCnt: 0
; Occupancy: 16
; WaveLimiterHint : 0
; COMPUTE_PGM_RSRC2:SCRATCH_EN: 0
; COMPUTE_PGM_RSRC2:USER_SGPR: 2
; COMPUTE_PGM_RSRC2:TRAP_HANDLER: 0
; COMPUTE_PGM_RSRC2:TGID_X_EN: 1
; COMPUTE_PGM_RSRC2:TGID_Y_EN: 0
; COMPUTE_PGM_RSRC2:TGID_Z_EN: 0
; COMPUTE_PGM_RSRC2:TIDIG_COMP_CNT: 0
	.section	.text._ZN7rocprim17ROCPRIM_400000_NS6detail31init_lookback_scan_state_kernelINS1_19lookback_scan_stateIjLb0ELb1EEENS1_16block_id_wrapperIjLb1EEEEEvT_jT0_jPNS7_10value_typeE,"axG",@progbits,_ZN7rocprim17ROCPRIM_400000_NS6detail31init_lookback_scan_state_kernelINS1_19lookback_scan_stateIjLb0ELb1EEENS1_16block_id_wrapperIjLb1EEEEEvT_jT0_jPNS7_10value_typeE,comdat
	.protected	_ZN7rocprim17ROCPRIM_400000_NS6detail31init_lookback_scan_state_kernelINS1_19lookback_scan_stateIjLb0ELb1EEENS1_16block_id_wrapperIjLb1EEEEEvT_jT0_jPNS7_10value_typeE ; -- Begin function _ZN7rocprim17ROCPRIM_400000_NS6detail31init_lookback_scan_state_kernelINS1_19lookback_scan_stateIjLb0ELb1EEENS1_16block_id_wrapperIjLb1EEEEEvT_jT0_jPNS7_10value_typeE
	.globl	_ZN7rocprim17ROCPRIM_400000_NS6detail31init_lookback_scan_state_kernelINS1_19lookback_scan_stateIjLb0ELb1EEENS1_16block_id_wrapperIjLb1EEEEEvT_jT0_jPNS7_10value_typeE
	.p2align	8
	.type	_ZN7rocprim17ROCPRIM_400000_NS6detail31init_lookback_scan_state_kernelINS1_19lookback_scan_stateIjLb0ELb1EEENS1_16block_id_wrapperIjLb1EEEEEvT_jT0_jPNS7_10value_typeE,@function
_ZN7rocprim17ROCPRIM_400000_NS6detail31init_lookback_scan_state_kernelINS1_19lookback_scan_stateIjLb0ELb1EEENS1_16block_id_wrapperIjLb1EEEEEvT_jT0_jPNS7_10value_typeE: ; @_ZN7rocprim17ROCPRIM_400000_NS6detail31init_lookback_scan_state_kernelINS1_19lookback_scan_stateIjLb0ELb1EEENS1_16block_id_wrapperIjLb1EEEEEvT_jT0_jPNS7_10value_typeE
; %bb.0:
	s_clause 0x2
	s_load_b32 s7, s[0:1], 0x34
	s_load_b96 s[4:6], s[0:1], 0x0
	s_load_b64 s[2:3], s[0:1], 0x20
	s_bfe_u32 s8, ttmp6, 0x4000c
	s_and_b32 s9, ttmp6, 15
	s_add_co_i32 s8, s8, 1
	s_getreg_b32 s10, hwreg(HW_REG_IB_STS2, 6, 4)
	s_mul_i32 s8, ttmp9, s8
	s_delay_alu instid0(SALU_CYCLE_1)
	s_add_co_i32 s9, s9, s8
	s_wait_kmcnt 0x0
	s_and_b32 s7, s7, 0xffff
	s_cmp_eq_u32 s10, 0
	s_cselect_b32 s8, ttmp9, s9
	s_cmp_eq_u64 s[2:3], 0
	v_mad_u32 v4, s8, s7, v0
	s_cbranch_scc1 .LBB35_7
; %bb.1:
	s_load_b32 s8, s[0:1], 0x18
	s_wait_kmcnt 0x0
	s_cmp_lt_u32 s8, s6
	s_cselect_b32 s7, s8, 0
	s_delay_alu instid0(VALU_DEP_1) | instid1(SALU_CYCLE_1)
	v_cmp_eq_u32_e32 vcc_lo, s7, v4
	s_and_saveexec_b32 s7, vcc_lo
	s_cbranch_execz .LBB35_6
; %bb.2:
	s_add_co_i32 s8, s8, 32
	s_delay_alu instid0(SALU_CYCLE_1) | instskip(SKIP_3) | instid1(VALU_DEP_1)
	v_dual_mov_b32 v2, 0 :: v_dual_mov_b32 v0, s8
	global_load_b64 v[0:1], v0, s[4:5] scale_offset scope:SCOPE_DEV
	s_wait_loadcnt 0x0
	v_and_b32_e32 v3, 0xff, v1
	v_cmp_ne_u64_e32 vcc_lo, 0, v[2:3]
	s_cbranch_vccnz .LBB35_5
; %bb.3:
	s_mov_b32 s9, 0
	s_delay_alu instid0(SALU_CYCLE_1) | instskip(NEXT) | instid1(SALU_CYCLE_1)
	s_lshl_b64 s[8:9], s[8:9], 3
	s_add_nc_u64 s[8:9], s[4:5], s[8:9]
.LBB35_4:                               ; =>This Inner Loop Header: Depth=1
	global_load_b64 v[0:1], v2, s[8:9] scope:SCOPE_DEV
	s_wait_loadcnt 0x0
	v_and_b32_e32 v3, 0xff, v1
	s_delay_alu instid0(VALU_DEP_1)
	v_cmp_eq_u64_e32 vcc_lo, 0, v[2:3]
	s_cbranch_vccnz .LBB35_4
.LBB35_5:
	v_mov_b32_e32 v1, 0
	global_store_b32 v1, v0, s[2:3]
.LBB35_6:
	s_wait_xcnt 0x0
	s_or_b32 exec_lo, exec_lo, s7
.LBB35_7:
	s_delay_alu instid0(SALU_CYCLE_1) | instskip(NEXT) | instid1(VALU_DEP_1)
	s_mov_b32 s2, exec_lo
	v_cmpx_eq_u32_e32 0, v4
	s_cbranch_execz .LBB35_9
; %bb.8:
	s_load_b64 s[0:1], s[0:1], 0x10
	v_mov_b32_e32 v0, 0
	s_wait_kmcnt 0x0
	global_store_b32 v0, v0, s[0:1]
.LBB35_9:
	s_wait_xcnt 0x0
	s_or_b32 exec_lo, exec_lo, s2
	s_delay_alu instid0(SALU_CYCLE_1)
	s_mov_b32 s0, exec_lo
	v_cmpx_gt_u32_e64 s6, v4
	s_cbranch_execz .LBB35_11
; %bb.10:
	v_mov_b64_e32 v[0:1], 0
	v_add_nc_u32_e32 v2, 32, v4
	global_store_b64 v2, v[0:1], s[4:5] scale_offset
.LBB35_11:
	s_wait_xcnt 0x0
	s_or_b32 exec_lo, exec_lo, s0
	s_delay_alu instid0(SALU_CYCLE_1)
	s_mov_b32 s0, exec_lo
	v_cmpx_gt_u32_e32 32, v4
	s_cbranch_execz .LBB35_13
; %bb.12:
	v_mov_b64_e32 v[0:1], 0xff00000000
	global_store_b64 v4, v[0:1], s[4:5] scale_offset
.LBB35_13:
	s_endpgm
	.section	.rodata,"a",@progbits
	.p2align	6, 0x0
	.amdhsa_kernel _ZN7rocprim17ROCPRIM_400000_NS6detail31init_lookback_scan_state_kernelINS1_19lookback_scan_stateIjLb0ELb1EEENS1_16block_id_wrapperIjLb1EEEEEvT_jT0_jPNS7_10value_typeE
		.amdhsa_group_segment_fixed_size 0
		.amdhsa_private_segment_fixed_size 0
		.amdhsa_kernarg_size 296
		.amdhsa_user_sgpr_count 2
		.amdhsa_user_sgpr_dispatch_ptr 0
		.amdhsa_user_sgpr_queue_ptr 0
		.amdhsa_user_sgpr_kernarg_segment_ptr 1
		.amdhsa_user_sgpr_dispatch_id 0
		.amdhsa_user_sgpr_kernarg_preload_length 0
		.amdhsa_user_sgpr_kernarg_preload_offset 0
		.amdhsa_user_sgpr_private_segment_size 0
		.amdhsa_wavefront_size32 1
		.amdhsa_uses_dynamic_stack 0
		.amdhsa_enable_private_segment 0
		.amdhsa_system_sgpr_workgroup_id_x 1
		.amdhsa_system_sgpr_workgroup_id_y 0
		.amdhsa_system_sgpr_workgroup_id_z 0
		.amdhsa_system_sgpr_workgroup_info 0
		.amdhsa_system_vgpr_workitem_id 0
		.amdhsa_next_free_vgpr 5
		.amdhsa_next_free_sgpr 11
		.amdhsa_named_barrier_count 0
		.amdhsa_reserve_vcc 1
		.amdhsa_float_round_mode_32 0
		.amdhsa_float_round_mode_16_64 0
		.amdhsa_float_denorm_mode_32 3
		.amdhsa_float_denorm_mode_16_64 3
		.amdhsa_fp16_overflow 0
		.amdhsa_memory_ordered 1
		.amdhsa_forward_progress 1
		.amdhsa_inst_pref_size 4
		.amdhsa_round_robin_scheduling 0
		.amdhsa_exception_fp_ieee_invalid_op 0
		.amdhsa_exception_fp_denorm_src 0
		.amdhsa_exception_fp_ieee_div_zero 0
		.amdhsa_exception_fp_ieee_overflow 0
		.amdhsa_exception_fp_ieee_underflow 0
		.amdhsa_exception_fp_ieee_inexact 0
		.amdhsa_exception_int_div_zero 0
	.end_amdhsa_kernel
	.section	.text._ZN7rocprim17ROCPRIM_400000_NS6detail31init_lookback_scan_state_kernelINS1_19lookback_scan_stateIjLb0ELb1EEENS1_16block_id_wrapperIjLb1EEEEEvT_jT0_jPNS7_10value_typeE,"axG",@progbits,_ZN7rocprim17ROCPRIM_400000_NS6detail31init_lookback_scan_state_kernelINS1_19lookback_scan_stateIjLb0ELb1EEENS1_16block_id_wrapperIjLb1EEEEEvT_jT0_jPNS7_10value_typeE,comdat
.Lfunc_end35:
	.size	_ZN7rocprim17ROCPRIM_400000_NS6detail31init_lookback_scan_state_kernelINS1_19lookback_scan_stateIjLb0ELb1EEENS1_16block_id_wrapperIjLb1EEEEEvT_jT0_jPNS7_10value_typeE, .Lfunc_end35-_ZN7rocprim17ROCPRIM_400000_NS6detail31init_lookback_scan_state_kernelINS1_19lookback_scan_stateIjLb0ELb1EEENS1_16block_id_wrapperIjLb1EEEEEvT_jT0_jPNS7_10value_typeE
                                        ; -- End function
	.set _ZN7rocprim17ROCPRIM_400000_NS6detail31init_lookback_scan_state_kernelINS1_19lookback_scan_stateIjLb0ELb1EEENS1_16block_id_wrapperIjLb1EEEEEvT_jT0_jPNS7_10value_typeE.num_vgpr, 5
	.set _ZN7rocprim17ROCPRIM_400000_NS6detail31init_lookback_scan_state_kernelINS1_19lookback_scan_stateIjLb0ELb1EEENS1_16block_id_wrapperIjLb1EEEEEvT_jT0_jPNS7_10value_typeE.num_agpr, 0
	.set _ZN7rocprim17ROCPRIM_400000_NS6detail31init_lookback_scan_state_kernelINS1_19lookback_scan_stateIjLb0ELb1EEENS1_16block_id_wrapperIjLb1EEEEEvT_jT0_jPNS7_10value_typeE.numbered_sgpr, 11
	.set _ZN7rocprim17ROCPRIM_400000_NS6detail31init_lookback_scan_state_kernelINS1_19lookback_scan_stateIjLb0ELb1EEENS1_16block_id_wrapperIjLb1EEEEEvT_jT0_jPNS7_10value_typeE.num_named_barrier, 0
	.set _ZN7rocprim17ROCPRIM_400000_NS6detail31init_lookback_scan_state_kernelINS1_19lookback_scan_stateIjLb0ELb1EEENS1_16block_id_wrapperIjLb1EEEEEvT_jT0_jPNS7_10value_typeE.private_seg_size, 0
	.set _ZN7rocprim17ROCPRIM_400000_NS6detail31init_lookback_scan_state_kernelINS1_19lookback_scan_stateIjLb0ELb1EEENS1_16block_id_wrapperIjLb1EEEEEvT_jT0_jPNS7_10value_typeE.uses_vcc, 1
	.set _ZN7rocprim17ROCPRIM_400000_NS6detail31init_lookback_scan_state_kernelINS1_19lookback_scan_stateIjLb0ELb1EEENS1_16block_id_wrapperIjLb1EEEEEvT_jT0_jPNS7_10value_typeE.uses_flat_scratch, 0
	.set _ZN7rocprim17ROCPRIM_400000_NS6detail31init_lookback_scan_state_kernelINS1_19lookback_scan_stateIjLb0ELb1EEENS1_16block_id_wrapperIjLb1EEEEEvT_jT0_jPNS7_10value_typeE.has_dyn_sized_stack, 0
	.set _ZN7rocprim17ROCPRIM_400000_NS6detail31init_lookback_scan_state_kernelINS1_19lookback_scan_stateIjLb0ELb1EEENS1_16block_id_wrapperIjLb1EEEEEvT_jT0_jPNS7_10value_typeE.has_recursion, 0
	.set _ZN7rocprim17ROCPRIM_400000_NS6detail31init_lookback_scan_state_kernelINS1_19lookback_scan_stateIjLb0ELb1EEENS1_16block_id_wrapperIjLb1EEEEEvT_jT0_jPNS7_10value_typeE.has_indirect_call, 0
	.section	.AMDGPU.csdata,"",@progbits
; Kernel info:
; codeLenInByte = 404
; TotalNumSgprs: 13
; NumVgprs: 5
; ScratchSize: 0
; MemoryBound: 0
; FloatMode: 240
; IeeeMode: 1
; LDSByteSize: 0 bytes/workgroup (compile time only)
; SGPRBlocks: 0
; VGPRBlocks: 0
; NumSGPRsForWavesPerEU: 13
; NumVGPRsForWavesPerEU: 5
; NamedBarCnt: 0
; Occupancy: 16
; WaveLimiterHint : 0
; COMPUTE_PGM_RSRC2:SCRATCH_EN: 0
; COMPUTE_PGM_RSRC2:USER_SGPR: 2
; COMPUTE_PGM_RSRC2:TRAP_HANDLER: 0
; COMPUTE_PGM_RSRC2:TGID_X_EN: 1
; COMPUTE_PGM_RSRC2:TGID_Y_EN: 0
; COMPUTE_PGM_RSRC2:TGID_Z_EN: 0
; COMPUTE_PGM_RSRC2:TIDIG_COMP_CNT: 0
	.section	.text._ZN7rocprim17ROCPRIM_400000_NS6detail17trampoline_kernelINS0_14default_configENS1_25partition_config_selectorILNS1_17partition_subalgoE9EiibEEZZNS1_14partition_implILS5_9ELb0ES3_jPKiN6thrust23THRUST_200600_302600_NS17counting_iteratorIiNSB_11use_defaultESD_SD_EEPNS0_10empty_typeENS0_5tupleIJPiSF_EEENSH_IJSI_SG_EEENS0_18inequality_wrapperIN6hipcub16HIPCUB_304000_NS8EqualityEEEPlJSF_EEE10hipError_tPvRmT3_T4_T5_T6_T7_T9_mT8_P12ihipStream_tbDpT10_ENKUlT_T0_E_clISt17integral_constantIbLb0EES19_IbLb1EEEEDaS15_S16_EUlS15_E_NS1_11comp_targetILNS1_3genE0ELNS1_11target_archE4294967295ELNS1_3gpuE0ELNS1_3repE0EEENS1_30default_config_static_selectorELNS0_4arch9wavefront6targetE0EEEvT1_,"axG",@progbits,_ZN7rocprim17ROCPRIM_400000_NS6detail17trampoline_kernelINS0_14default_configENS1_25partition_config_selectorILNS1_17partition_subalgoE9EiibEEZZNS1_14partition_implILS5_9ELb0ES3_jPKiN6thrust23THRUST_200600_302600_NS17counting_iteratorIiNSB_11use_defaultESD_SD_EEPNS0_10empty_typeENS0_5tupleIJPiSF_EEENSH_IJSI_SG_EEENS0_18inequality_wrapperIN6hipcub16HIPCUB_304000_NS8EqualityEEEPlJSF_EEE10hipError_tPvRmT3_T4_T5_T6_T7_T9_mT8_P12ihipStream_tbDpT10_ENKUlT_T0_E_clISt17integral_constantIbLb0EES19_IbLb1EEEEDaS15_S16_EUlS15_E_NS1_11comp_targetILNS1_3genE0ELNS1_11target_archE4294967295ELNS1_3gpuE0ELNS1_3repE0EEENS1_30default_config_static_selectorELNS0_4arch9wavefront6targetE0EEEvT1_,comdat
	.protected	_ZN7rocprim17ROCPRIM_400000_NS6detail17trampoline_kernelINS0_14default_configENS1_25partition_config_selectorILNS1_17partition_subalgoE9EiibEEZZNS1_14partition_implILS5_9ELb0ES3_jPKiN6thrust23THRUST_200600_302600_NS17counting_iteratorIiNSB_11use_defaultESD_SD_EEPNS0_10empty_typeENS0_5tupleIJPiSF_EEENSH_IJSI_SG_EEENS0_18inequality_wrapperIN6hipcub16HIPCUB_304000_NS8EqualityEEEPlJSF_EEE10hipError_tPvRmT3_T4_T5_T6_T7_T9_mT8_P12ihipStream_tbDpT10_ENKUlT_T0_E_clISt17integral_constantIbLb0EES19_IbLb1EEEEDaS15_S16_EUlS15_E_NS1_11comp_targetILNS1_3genE0ELNS1_11target_archE4294967295ELNS1_3gpuE0ELNS1_3repE0EEENS1_30default_config_static_selectorELNS0_4arch9wavefront6targetE0EEEvT1_ ; -- Begin function _ZN7rocprim17ROCPRIM_400000_NS6detail17trampoline_kernelINS0_14default_configENS1_25partition_config_selectorILNS1_17partition_subalgoE9EiibEEZZNS1_14partition_implILS5_9ELb0ES3_jPKiN6thrust23THRUST_200600_302600_NS17counting_iteratorIiNSB_11use_defaultESD_SD_EEPNS0_10empty_typeENS0_5tupleIJPiSF_EEENSH_IJSI_SG_EEENS0_18inequality_wrapperIN6hipcub16HIPCUB_304000_NS8EqualityEEEPlJSF_EEE10hipError_tPvRmT3_T4_T5_T6_T7_T9_mT8_P12ihipStream_tbDpT10_ENKUlT_T0_E_clISt17integral_constantIbLb0EES19_IbLb1EEEEDaS15_S16_EUlS15_E_NS1_11comp_targetILNS1_3genE0ELNS1_11target_archE4294967295ELNS1_3gpuE0ELNS1_3repE0EEENS1_30default_config_static_selectorELNS0_4arch9wavefront6targetE0EEEvT1_
	.globl	_ZN7rocprim17ROCPRIM_400000_NS6detail17trampoline_kernelINS0_14default_configENS1_25partition_config_selectorILNS1_17partition_subalgoE9EiibEEZZNS1_14partition_implILS5_9ELb0ES3_jPKiN6thrust23THRUST_200600_302600_NS17counting_iteratorIiNSB_11use_defaultESD_SD_EEPNS0_10empty_typeENS0_5tupleIJPiSF_EEENSH_IJSI_SG_EEENS0_18inequality_wrapperIN6hipcub16HIPCUB_304000_NS8EqualityEEEPlJSF_EEE10hipError_tPvRmT3_T4_T5_T6_T7_T9_mT8_P12ihipStream_tbDpT10_ENKUlT_T0_E_clISt17integral_constantIbLb0EES19_IbLb1EEEEDaS15_S16_EUlS15_E_NS1_11comp_targetILNS1_3genE0ELNS1_11target_archE4294967295ELNS1_3gpuE0ELNS1_3repE0EEENS1_30default_config_static_selectorELNS0_4arch9wavefront6targetE0EEEvT1_
	.p2align	8
	.type	_ZN7rocprim17ROCPRIM_400000_NS6detail17trampoline_kernelINS0_14default_configENS1_25partition_config_selectorILNS1_17partition_subalgoE9EiibEEZZNS1_14partition_implILS5_9ELb0ES3_jPKiN6thrust23THRUST_200600_302600_NS17counting_iteratorIiNSB_11use_defaultESD_SD_EEPNS0_10empty_typeENS0_5tupleIJPiSF_EEENSH_IJSI_SG_EEENS0_18inequality_wrapperIN6hipcub16HIPCUB_304000_NS8EqualityEEEPlJSF_EEE10hipError_tPvRmT3_T4_T5_T6_T7_T9_mT8_P12ihipStream_tbDpT10_ENKUlT_T0_E_clISt17integral_constantIbLb0EES19_IbLb1EEEEDaS15_S16_EUlS15_E_NS1_11comp_targetILNS1_3genE0ELNS1_11target_archE4294967295ELNS1_3gpuE0ELNS1_3repE0EEENS1_30default_config_static_selectorELNS0_4arch9wavefront6targetE0EEEvT1_,@function
_ZN7rocprim17ROCPRIM_400000_NS6detail17trampoline_kernelINS0_14default_configENS1_25partition_config_selectorILNS1_17partition_subalgoE9EiibEEZZNS1_14partition_implILS5_9ELb0ES3_jPKiN6thrust23THRUST_200600_302600_NS17counting_iteratorIiNSB_11use_defaultESD_SD_EEPNS0_10empty_typeENS0_5tupleIJPiSF_EEENSH_IJSI_SG_EEENS0_18inequality_wrapperIN6hipcub16HIPCUB_304000_NS8EqualityEEEPlJSF_EEE10hipError_tPvRmT3_T4_T5_T6_T7_T9_mT8_P12ihipStream_tbDpT10_ENKUlT_T0_E_clISt17integral_constantIbLb0EES19_IbLb1EEEEDaS15_S16_EUlS15_E_NS1_11comp_targetILNS1_3genE0ELNS1_11target_archE4294967295ELNS1_3gpuE0ELNS1_3repE0EEENS1_30default_config_static_selectorELNS0_4arch9wavefront6targetE0EEEvT1_: ; @_ZN7rocprim17ROCPRIM_400000_NS6detail17trampoline_kernelINS0_14default_configENS1_25partition_config_selectorILNS1_17partition_subalgoE9EiibEEZZNS1_14partition_implILS5_9ELb0ES3_jPKiN6thrust23THRUST_200600_302600_NS17counting_iteratorIiNSB_11use_defaultESD_SD_EEPNS0_10empty_typeENS0_5tupleIJPiSF_EEENSH_IJSI_SG_EEENS0_18inequality_wrapperIN6hipcub16HIPCUB_304000_NS8EqualityEEEPlJSF_EEE10hipError_tPvRmT3_T4_T5_T6_T7_T9_mT8_P12ihipStream_tbDpT10_ENKUlT_T0_E_clISt17integral_constantIbLb0EES19_IbLb1EEEEDaS15_S16_EUlS15_E_NS1_11comp_targetILNS1_3genE0ELNS1_11target_archE4294967295ELNS1_3gpuE0ELNS1_3repE0EEENS1_30default_config_static_selectorELNS0_4arch9wavefront6targetE0EEEvT1_
; %bb.0:
	s_clause 0x2
	s_load_b128 s[24:27], s[0:1], 0x40
	s_load_b64 s[8:9], s[0:1], 0x50
	s_load_b64 s[22:23], s[0:1], 0x60
	v_cmp_ne_u32_e64 s3, 0, v0
	v_cmp_eq_u32_e64 s2, 0, v0
	s_and_saveexec_b32 s4, s2
	s_cbranch_execz .LBB36_4
; %bb.1:
	s_mov_b32 s6, exec_lo
	s_mov_b32 s5, exec_lo
	v_mbcnt_lo_u32_b32 v1, s6, 0
                                        ; implicit-def: $vgpr2
	s_delay_alu instid0(VALU_DEP_1)
	v_cmpx_eq_u32_e32 0, v1
	s_cbranch_execz .LBB36_3
; %bb.2:
	s_load_b64 s[10:11], s[0:1], 0x70
	s_bcnt1_i32_b32 s6, s6
	s_delay_alu instid0(SALU_CYCLE_1)
	v_dual_mov_b32 v2, 0 :: v_dual_mov_b32 v3, s6
	s_wait_xcnt 0x0
	s_wait_kmcnt 0x0
	global_atomic_add_u32 v2, v2, v3, s[10:11] th:TH_ATOMIC_RETURN scope:SCOPE_DEV
.LBB36_3:
	s_wait_xcnt 0x0
	s_or_b32 exec_lo, exec_lo, s5
	s_wait_loadcnt 0x0
	v_readfirstlane_b32 s5, v2
	s_delay_alu instid0(VALU_DEP_1)
	v_dual_mov_b32 v2, 0 :: v_dual_add_nc_u32 v1, s5, v1
	ds_store_b32 v2, v1
.LBB36_4:
	s_or_b32 exec_lo, exec_lo, s4
	v_mov_b32_e32 v1, 0
	s_clause 0x3
	s_load_b128 s[4:7], s[0:1], 0x8
	s_load_b32 s10, s[0:1], 0x18
	s_load_b128 s[28:31], s[0:1], 0x28
	s_load_b32 s11, s[0:1], 0x68
	s_wait_dscnt 0x0
	s_barrier_signal -1
	s_barrier_wait -1
	ds_load_b32 v2, v1
	s_wait_dscnt 0x0
	s_barrier_signal -1
	s_barrier_wait -1
	s_wait_kmcnt 0x0
	global_load_b64 v[18:19], v1, s[26:27]
	s_lshl_b64 s[0:1], s[6:7], 2
	s_delay_alu instid0(SALU_CYCLE_1)
	s_add_nc_u64 s[0:1], s[4:5], s[0:1]
	s_mul_i32 s4, s11, 0xd00
	s_mov_b32 s5, 0
	s_add_co_i32 s11, s11, -1
	s_add_nc_u64 s[12:13], s[6:7], s[4:5]
	s_add_co_i32 s4, s4, s6
	v_readfirstlane_b32 s33, v2
	v_cmp_le_u64_e64 s9, s[8:9], s[12:13]
	s_sub_co_i32 s34, s8, s4
	s_mov_b32 s8, -1
	s_cmp_eq_u32 s33, s11
	s_mul_i32 s4, s33, 0xd00
	s_wait_xcnt 0x0
	s_cselect_b32 s26, -1, 0
	s_lshl_b64 s[12:13], s[4:5], 2
	s_and_b32 s35, s9, s26
	s_add_nc_u64 s[0:1], s[0:1], s[12:13]
	s_xor_b32 s27, s35, -1
	s_delay_alu instid0(SALU_CYCLE_1)
	s_and_b32 vcc_lo, exec_lo, s27
	s_cbranch_vccz .LBB36_6
; %bb.5:
	s_clause 0xc
	global_load_b32 v1, v0, s[0:1] scale_offset
	global_load_b32 v2, v0, s[0:1] offset:1024 scale_offset
	global_load_b32 v3, v0, s[0:1] offset:2048 scale_offset
	;; [unrolled: 1-line block ×12, first 2 shown]
	v_lshlrev_b32_e32 v14, 2, v0
	s_mov_b32 s8, 0
	s_wait_loadcnt 0xb
	ds_store_2addr_stride64_b32 v14, v1, v2 offset1:4
	s_wait_loadcnt 0x9
	ds_store_2addr_stride64_b32 v14, v3, v4 offset0:8 offset1:12
	s_wait_loadcnt 0x7
	ds_store_2addr_stride64_b32 v14, v5, v6 offset0:16 offset1:20
	;; [unrolled: 2-line block ×5, first 2 shown]
	s_wait_loadcnt 0x0
	ds_store_b32 v14, v13 offset:12288
	s_wait_dscnt 0x0
	s_barrier_signal -1
	s_barrier_wait -1
.LBB36_6:
	s_and_not1_b32 vcc_lo, exec_lo, s8
	s_addk_co_i32 s34, 0xd00
	s_cbranch_vccnz .LBB36_34
; %bb.7:
	v_mov_b32_e32 v2, 0
	s_mov_b32 s5, exec_lo
	s_delay_alu instid0(VALU_DEP_1)
	v_dual_mov_b32 v3, v2 :: v_dual_mov_b32 v4, v2
	v_dual_mov_b32 v5, v2 :: v_dual_mov_b32 v6, v2
	;; [unrolled: 1-line block ×6, first 2 shown]
	v_cmpx_gt_u32_e64 s34, v0
	s_cbranch_execz .LBB36_9
; %bb.8:
	global_load_b32 v4, v0, s[0:1] scale_offset
	v_dual_mov_b32 v5, v2 :: v_dual_mov_b32 v6, v2
	v_dual_mov_b32 v7, v2 :: v_dual_mov_b32 v8, v2
	;; [unrolled: 1-line block ×6, first 2 shown]
	s_wait_loadcnt 0x0
	v_mov_b64_e32 v[2:3], v[4:5]
	v_mov_b64_e32 v[4:5], v[6:7]
	;; [unrolled: 1-line block ×8, first 2 shown]
.LBB36_9:
	s_or_b32 exec_lo, exec_lo, s5
	v_or_b32_e32 v1, 0x100, v0
	s_mov_b32 s5, exec_lo
	s_delay_alu instid0(VALU_DEP_1)
	v_cmpx_gt_u32_e64 s34, v1
	s_cbranch_execz .LBB36_11
; %bb.10:
	global_load_b32 v3, v0, s[0:1] offset:1024 scale_offset
.LBB36_11:
	s_wait_xcnt 0x0
	s_or_b32 exec_lo, exec_lo, s5
	v_or_b32_e32 v1, 0x200, v0
	s_mov_b32 s5, exec_lo
	s_delay_alu instid0(VALU_DEP_1)
	v_cmpx_gt_u32_e64 s34, v1
	s_cbranch_execz .LBB36_13
; %bb.12:
	global_load_b32 v4, v0, s[0:1] offset:2048 scale_offset
.LBB36_13:
	s_wait_xcnt 0x0
	;; [unrolled: 10-line block ×12, first 2 shown]
	s_or_b32 exec_lo, exec_lo, s5
	v_lshlrev_b32_e32 v1, 2, v0
	s_wait_loadcnt 0x0
	ds_store_2addr_stride64_b32 v1, v2, v3 offset1:4
	ds_store_2addr_stride64_b32 v1, v4, v5 offset0:8 offset1:12
	ds_store_2addr_stride64_b32 v1, v6, v7 offset0:16 offset1:20
	;; [unrolled: 1-line block ×5, first 2 shown]
	ds_store_b32 v1, v14 offset:12288
	s_wait_dscnt 0x0
	s_barrier_signal -1
	s_barrier_wait -1
.LBB36_34:
	v_mul_u32_u24_e32 v1, 13, v0
	s_add_co_i32 s5, s10, s6
	s_wait_loadcnt 0x0
	s_add_co_i32 s5, s5, s4
	s_and_b32 vcc_lo, exec_lo, s27
	v_dual_lshlrev_b32 v4, 2, v1 :: v_dual_add_nc_u32 v5, s5, v0
	s_mov_b32 s4, -1
	ds_load_2addr_b32 v[44:45], v4 offset0:2 offset1:3
	ds_load_2addr_b32 v[48:49], v4 offset1:1
	ds_load_2addr_b32 v[42:43], v4 offset0:3 offset1:4
	ds_load_2addr_b32 v[2:3], v4 offset0:1 offset1:2
	;; [unrolled: 1-line block ×6, first 2 shown]
	v_add_nc_u32_e32 v6, 0x100, v5
	v_add_nc_u32_e32 v7, 0x200, v5
	;; [unrolled: 1-line block ×12, first 2 shown]
	s_wait_dscnt 0x0
	s_barrier_signal -1
	s_barrier_wait -1
	s_cbranch_vccz .LBB36_36
; %bb.35:
	v_lshlrev_b32_e32 v20, 2, v0
	s_mov_b32 s4, 0
	ds_store_2addr_stride64_b32 v20, v5, v6 offset1:4
	ds_store_2addr_stride64_b32 v20, v7, v8 offset0:8 offset1:12
	ds_store_2addr_stride64_b32 v20, v9, v10 offset0:16 offset1:20
	;; [unrolled: 1-line block ×5, first 2 shown]
	ds_store_b32 v20, v17 offset:12288
	s_wait_dscnt 0x0
	s_barrier_signal -1
	s_barrier_wait -1
.LBB36_36:
	s_and_not1_b32 vcc_lo, exec_lo, s4
	s_cbranch_vccnz .LBB36_38
; %bb.37:
	v_lshlrev_b32_e32 v20, 2, v0
	ds_store_2addr_stride64_b32 v20, v5, v6 offset1:4
	ds_store_2addr_stride64_b32 v20, v7, v8 offset0:8 offset1:12
	ds_store_2addr_stride64_b32 v20, v9, v10 offset0:16 offset1:20
	;; [unrolled: 1-line block ×5, first 2 shown]
	ds_store_b32 v20, v17 offset:12288
	s_wait_dscnt 0x0
	s_barrier_signal -1
	s_barrier_wait -1
.LBB36_38:
	ds_load_b32 v58, v4 offset:48
	ds_load_2addr_b32 v[20:21], v4 offset0:10 offset1:11
	ds_load_2addr_b32 v[22:23], v4 offset0:8 offset1:9
	ds_load_2addr_b32 v[30:31], v4 offset1:1
	ds_load_2addr_b32 v[28:29], v4 offset0:2 offset1:3
	ds_load_2addr_b32 v[26:27], v4 offset0:4 offset1:5
	;; [unrolled: 1-line block ×3, first 2 shown]
	s_cmp_lg_u32 s33, 0
	s_mov_b32 s20, 0
	s_cselect_b32 s36, -1, 0
	s_cmp_lg_u64 s[6:7], 0
	s_wait_dscnt 0x0
	s_cselect_b32 s4, -1, 0
	s_barrier_signal -1
	s_or_b32 s4, s4, s36
	s_barrier_wait -1
	s_and_b32 vcc_lo, exec_lo, s4
	s_cbranch_vccz .LBB36_43
; %bb.39:
	v_dual_mov_b32 v4, 0 :: v_dual_lshlrev_b32 v9, 2, v0
	s_and_b32 vcc_lo, exec_lo, s27
	global_load_b32 v7, v4, s[0:1] offset:-4
	ds_store_b32 v9, v33
	s_cbranch_vccz .LBB36_45
; %bb.40:
	s_wait_loadcnt 0x0
	v_mov_b32_e32 v4, v7
	s_wait_dscnt 0x0
	s_barrier_signal -1
	s_barrier_wait -1
	s_and_saveexec_b32 s0, s3
; %bb.41:
	v_add_nc_u32_e32 v4, -4, v9
	ds_load_b32 v4, v4
; %bb.42:
	s_or_b32 exec_lo, exec_lo, s0
	v_cmp_ne_u32_e32 vcc_lo, v45, v44
	s_wait_dscnt 0x0
	v_cmp_ne_u32_e64 s0, v4, v48
	v_cndmask_b32_e64 v5, 0, 1, vcc_lo
	v_cmp_ne_u32_e32 vcc_lo, v49, v48
	s_delay_alu instid0(VALU_DEP_2) | instskip(SKIP_2) | instid1(VALU_DEP_2)
	v_lshlrev_b16 v5, 8, v5
	v_cndmask_b32_e64 v6, 0, 1, vcc_lo
	v_cmp_ne_u32_e32 vcc_lo, v40, v43
	v_lshlrev_b16 v6, 8, v6
	v_cndmask_b32_e64 v8, 0, 1, vcc_lo
	v_cmp_ne_u32_e32 vcc_lo, v36, v41
	s_delay_alu instid0(VALU_DEP_3) | instskip(NEXT) | instid1(VALU_DEP_3)
	v_lshrrev_b32_e32 v6, 8, v6
	v_lshlrev_b16 v8, 8, v8
	v_cndmask_b32_e64 v10, 0, 1, vcc_lo
	v_cmp_ne_u32_e32 vcc_lo, v34, v37
	v_lshrrev_b32_e32 v5, 8, v5
	v_lshlrev_b16 v6, 8, v6
	v_lshrrev_b32_e32 v8, 8, v8
	v_lshlrev_b16 v10, 8, v10
	v_cndmask_b32_e64 v11, 0, 1, vcc_lo
	v_cmp_ne_u32_e32 vcc_lo, v49, v44
	v_lshlrev_b16 v5, 8, v5
	v_lshlrev_b16 v8, 8, v8
	v_lshrrev_b32_e32 v10, 8, v10
	v_lshlrev_b16 v11, 8, v11
	v_cndmask_b32_e64 v12, 0, 1, vcc_lo
	v_cmp_ne_u32_e32 vcc_lo, v32, v35
	s_delay_alu instid0(VALU_DEP_4) | instskip(NEXT) | instid1(VALU_DEP_3)
	v_lshlrev_b16 v10, 8, v10
	v_or_b32_e32 v5, v12, v5
	v_cndmask_b32_e64 v13, 0, 1, vcc_lo
	v_cmp_ne_u32_e32 vcc_lo, v45, v43
	s_delay_alu instid0(VALU_DEP_3) | instskip(NEXT) | instid1(VALU_DEP_3)
	v_lshlrev_b32_e32 v5, 16, v5
	v_lshlrev_b16 v12, 8, v13
	v_cndmask_b32_e64 v13, 0, 1, vcc_lo
	v_cmp_ne_u32_e32 vcc_lo, v40, v41
	s_delay_alu instid0(VALU_DEP_3) | instskip(SKIP_2) | instid1(VALU_DEP_3)
	v_dual_lshrrev_b32 v11, 8, v11 :: v_dual_lshrrev_b32 v12, 8, v12
	v_cndmask_b32_e64 v14, 0, 1, vcc_lo
	v_cmp_ne_u32_e32 vcc_lo, v36, v37
	v_lshlrev_b16 v11, 8, v11
	s_delay_alu instid0(VALU_DEP_4) | instskip(SKIP_2) | instid1(VALU_DEP_2)
	v_lshlrev_b16 v12, 8, v12
	v_cndmask_b32_e64 v15, 0, 1, vcc_lo
	v_cmp_ne_u32_e32 vcc_lo, v34, v35
	v_or_b32_e32 v11, v15, v11
	v_cndmask_b32_e64 v16, 0, 1, vcc_lo
	v_cmp_ne_u32_e32 vcc_lo, v32, v33
	s_delay_alu instid0(VALU_DEP_3) | instskip(NEXT) | instid1(VALU_DEP_3)
	v_and_b32_e32 v11, 0xffff, v11
	v_or_b32_e32 v12, v16, v12
	s_delay_alu instid0(VALU_DEP_1) | instskip(NEXT) | instid1(VALU_DEP_1)
	v_dual_lshlrev_b32 v12, 16, v12 :: v_dual_bitop2_b32 v10, v14, v10 bitop3:0x54
	v_dual_lshlrev_b32 v10, 16, v10 :: v_dual_bitop2_b32 v8, v13, v8 bitop3:0x54
	v_and_b32_e32 v13, 0xffff, v6
	v_cndmask_b32_e64 v6, 0, 1, vcc_lo
	s_delay_alu instid0(VALU_DEP_3) | instskip(NEXT) | instid1(VALU_DEP_3)
	v_and_b32_e32 v8, 0xffff, v8
	v_or_b32_e32 v4, v13, v5
	s_delay_alu instid0(VALU_DEP_2)
	v_or_b32_e32 v5, v8, v10
	v_or_b32_e32 v8, v11, v12
	s_branch .LBB36_49
.LBB36_43:
                                        ; implicit-def: $sgpr0
                                        ; implicit-def: $vgpr6
                                        ; implicit-def: $vgpr8
                                        ; implicit-def: $vgpr5
	s_branch .LBB36_50
.LBB36_44:
                                        ; implicit-def: $vgpr38
                                        ; implicit-def: $vgpr65
                                        ; implicit-def: $vgpr63
                                        ; implicit-def: $vgpr52
                                        ; implicit-def: $vgpr64
                                        ; implicit-def: $vgpr61
                                        ; implicit-def: $vgpr62
                                        ; implicit-def: $vgpr50
                                        ; implicit-def: $vgpr47
                                        ; implicit-def: $vgpr60
                                        ; implicit-def: $vgpr46
                                        ; implicit-def: $vgpr59
	s_branch .LBB36_58
.LBB36_45:
	s_wait_xcnt 0x0
                                        ; implicit-def: $sgpr0
                                        ; implicit-def: $vgpr6
                                        ; implicit-def: $vgpr8
                                        ; implicit-def: $vgpr5
	s_cbranch_execz .LBB36_49
; %bb.46:
	s_wait_loadcnt_dscnt 0x0
	s_barrier_signal -1
	s_barrier_wait -1
	s_and_saveexec_b32 s0, s3
; %bb.47:
	v_add_nc_u32_e32 v4, -4, v9
	ds_load_b32 v7, v4
; %bb.48:
	s_or_b32 exec_lo, exec_lo, s0
	v_dual_add_nc_u32 v4, 12, v1 :: v_dual_add_nc_u32 v5, 11, v1
	v_add_nc_u32_e32 v6, 9, v1
	v_cmp_ne_u32_e64 s17, v45, v44
	v_cmp_ne_u32_e64 s11, v36, v41
	s_delay_alu instid0(VALU_DEP_4) | instskip(SKIP_4) | instid1(VALU_DEP_4)
	v_cmp_gt_u32_e64 s0, s34, v4
	v_add_nc_u32_e32 v4, 10, v1
	v_cmp_gt_u32_e64 s1, s34, v5
	v_cmp_gt_u32_e64 s5, s34, v6
	v_dual_add_nc_u32 v5, 7, v1 :: v_dual_add_nc_u32 v6, 8, v1
	v_cmp_gt_u32_e64 s6, s34, v4
	v_add_nc_u32_e32 v4, 5, v1
	v_cmp_ne_u32_e64 s20, v49, v48
	s_delay_alu instid0(VALU_DEP_4)
	v_cmp_gt_u32_e64 s9, s34, v5
	v_cmp_gt_u32_e64 s10, s34, v6
	v_dual_add_nc_u32 v6, 3, v1 :: v_dual_add_nc_u32 v5, 6, v1
	v_cmp_gt_u32_e64 s13, s34, v4
	v_add_nc_u32_e32 v4, 4, v1
	v_cmp_ne_u32_e64 s15, v40, v43
	s_delay_alu instid0(VALU_DEP_4)
	v_cmp_gt_u32_e64 s16, s34, v6
	v_cmp_gt_u32_e64 s14, s34, v5
	v_add_nc_u32_e32 v5, 2, v1
	v_cmp_gt_u32_e64 s19, s34, v4
	v_add_nc_u32_e32 v4, 1, v1
	s_and_b32 s16, s16, s17
	s_and_b32 s9, s9, s11
	v_cndmask_b32_e64 v6, 0, 1, s16
	v_cmp_gt_u32_e64 s21, s34, v5
	v_cmp_gt_u32_e64 s17, s34, v4
	v_cndmask_b32_e64 v5, 0, 1, s9
	v_cmp_ne_u32_e64 s4, v32, v35
	v_lshlrev_b16 v4, 8, v6
	v_cmp_ne_u32_e64 s7, v34, v37
	s_and_b32 s9, s17, s20
	v_lshlrev_b16 v5, 8, v5
	v_cndmask_b32_e64 v6, 0, 1, s9
	s_and_b32 s9, s13, s15
	v_lshrrev_b32_e32 v4, 8, v4
	v_cndmask_b32_e64 v8, 0, 1, s9
	v_cmp_ne_u32_e64 s9, v49, v44
	s_and_b32 s5, s5, s7
	s_and_b32 s1, s1, s4
	v_cmp_ne_u32_e32 vcc_lo, v32, v33
	v_lshlrev_b16 v9, 8, v6
	s_and_b32 s9, s21, s9
	v_lshlrev_b16 v6, 8, v8
	v_lshrrev_b32_e32 v5, 8, v5
	v_lshlrev_b16 v4, 8, v4
	v_cndmask_b32_e64 v8, 0, 1, s9
	v_cndmask_b32_e64 v10, 0, 1, s5
	v_cndmask_b32_e64 v12, 0, 1, s1
	v_cmp_ne_u32_e64 s16, v45, v43
	v_cmp_ne_u32_e64 s18, v40, v41
	v_dual_lshrrev_b32 v11, 8, v6 :: v_dual_bitop2_b32 v4, v8, v4 bitop3:0x54
	v_lshlrev_b16 v8, 8, v10
	s_and_b32 s0, s0, vcc_lo
	v_lshlrev_b16 v10, 8, v12
	v_cmp_ne_u32_e64 s12, v36, v37
	v_cndmask_b32_e64 v6, 0, 1, s0
	s_and_b32 s0, s19, s16
	v_cmp_ne_u32_e64 s8, v34, v35
	v_cndmask_b32_e64 v12, 0, 1, s0
	s_and_b32 s0, s14, s18
	v_dual_lshrrev_b32 v8, 8, v8 :: v_dual_lshrrev_b32 v10, 8, v10
	v_cndmask_b32_e64 v13, 0, 1, s0
	s_and_b32 s0, s10, s12
	v_dual_lshlrev_b32 v4, 16, v4 :: v_dual_lshrrev_b32 v9, 8, v9
	v_cndmask_b32_e64 v14, 0, 1, s0
	s_and_b32 s0, s6, s8
	v_lshlrev_b16 v10, 8, v10
	v_cndmask_b32_e64 v15, 0, 1, s0
	v_lshlrev_b16 v11, 8, v11
	v_lshlrev_b16 v5, 8, v5
	;; [unrolled: 1-line block ×4, first 2 shown]
	v_or_b32_e32 v10, v15, v10
	v_cmp_gt_u32_e32 vcc_lo, s34, v1
	v_or_b32_e32 v5, v13, v5
	v_or_b32_e32 v8, v14, v8
	v_and_b32_e32 v9, 0xffff, v9
	v_dual_lshlrev_b32 v10, 16, v10 :: v_dual_bitop2_b32 v11, v12, v11 bitop3:0x54
	s_delay_alu instid0(VALU_DEP_4) | instskip(NEXT) | instid1(VALU_DEP_4)
	v_lshlrev_b32_e32 v5, 16, v5
	v_and_b32_e32 v8, 0xffff, v8
	s_wait_dscnt 0x0
	v_cmp_ne_u32_e64 s0, v7, v48
	v_or_b32_e32 v4, v9, v4
	v_and_b32_e32 v11, 0xffff, v11
	v_or_b32_e32 v8, v8, v10
	s_and_b32 s0, vcc_lo, s0
	s_delay_alu instid0(VALU_DEP_2)
	v_or_b32_e32 v5, v11, v5
.LBB36_49:
	s_mov_b32 s20, -1
	s_cbranch_execnz .LBB36_44
.LBB36_50:
	s_wait_loadcnt 0x0
	v_lshlrev_b32_e32 v7, 2, v0
	v_cmp_ne_u32_e64 s0, v32, v33
	v_cmp_ne_u32_e64 s1, v34, v35
	;; [unrolled: 1-line block ×5, first 2 shown]
	s_and_b32 vcc_lo, exec_lo, s27
	ds_store_b32 v7, v33
	s_cbranch_vccz .LBB36_54
; %bb.51:
	v_cmp_ne_u32_e32 vcc_lo, v49, v44
	v_cndmask_b32_e64 v39, 0, 1, s6
	v_cndmask_b32_e64 v61, 0, 1, s5
	;; [unrolled: 1-line block ×4, first 2 shown]
	v_cndmask_b32_e64 v63, 0, 1, vcc_lo
	v_cmp_ne_u32_e32 vcc_lo, v49, v48
	v_cndmask_b32_e64 v59, 0, 1, s0
	v_lshlrev_b16 v11, 8, v39
	v_lshlrev_b16 v13, 8, v61
	v_lshlrev_b16 v10, 8, v63
	v_cndmask_b32_e64 v9, 0, 1, vcc_lo
	v_cmp_ne_u32_e32 vcc_lo, v45, v44
	v_lshlrev_b16 v15, 8, v50
	v_lshlrev_b16 v17, 8, v60
	;; [unrolled: 1-line block ×3, first 2 shown]
	v_mov_b32_e32 v38, 1
	v_cndmask_b32_e64 v12, 0, 1, vcc_lo
	v_cmp_ne_u32_e32 vcc_lo, v40, v43
	s_wait_dscnt 0x0
	s_barrier_signal -1
	s_barrier_wait -1
	v_cndmask_b32_e64 v14, 0, 1, vcc_lo
	v_cmp_ne_u32_e32 vcc_lo, v36, v41
                                        ; implicit-def: $sgpr0
                                        ; implicit-def: $vgpr6
                                        ; implicit-def: $vgpr8
                                        ; implicit-def: $vgpr5
	v_cndmask_b32_e64 v16, 0, 1, vcc_lo
	v_cmp_ne_u32_e32 vcc_lo, v34, v37
	v_cndmask_b32_e64 v46, 0, 1, vcc_lo
	v_cmp_ne_u32_e32 vcc_lo, v32, v35
	v_cndmask_b32_e64 v53, 0, 1, vcc_lo
	s_and_saveexec_b32 s1, s3
	s_delay_alu instid0(SALU_CYCLE_1)
	s_xor_b32 s1, exec_lo, s1
	s_cbranch_execz .LBB36_53
; %bb.52:
	v_lshlrev_b16 v4, 8, v46
	v_lshlrev_b16 v6, 8, v12
	;; [unrolled: 1-line block ×6, first 2 shown]
	v_dual_lshrrev_b32 v4, 8, v4 :: v_dual_add_nc_u32 v54, -4, v7
	v_lshrrev_b32_e32 v8, 8, v8
	v_dual_lshrrev_b32 v52, 8, v52 :: v_dual_lshrrev_b32 v6, 8, v6
	s_delay_alu instid0(VALU_DEP_4) | instskip(NEXT) | instid1(VALU_DEP_4)
	v_lshrrev_b32_e32 v47, 8, v47
	v_lshlrev_b16 v4, 8, v4
	v_lshrrev_b32_e32 v5, 8, v5
	ds_load_b32 v54, v54
	v_lshlrev_b16 v8, 8, v8
	v_lshlrev_b16 v6, 8, v6
	v_or_b32_e32 v4, v50, v4
	v_lshlrev_b16 v52, 8, v52
	v_lshlrev_b16 v47, 8, v47
	;; [unrolled: 1-line block ×3, first 2 shown]
	v_or_b32_e32 v8, v61, v8
	v_or_b32_e32 v6, v63, v6
	v_and_b32_e32 v4, 0xffff, v4
	s_or_b32 s20, s20, exec_lo
	s_delay_alu instid0(VALU_DEP_3) | instskip(NEXT) | instid1(VALU_DEP_3)
	v_dual_lshlrev_b32 v55, 16, v8 :: v_dual_bitop2_b32 v5, 1, v5 bitop3:0x54
	v_dual_lshlrev_b32 v6, 16, v6 :: v_dual_bitop2_b32 v52, v60, v52 bitop3:0x54
	v_or_b32_e32 v47, v39, v47
	s_delay_alu instid0(VALU_DEP_3) | instskip(NEXT) | instid1(VALU_DEP_3)
	v_and_b32_e32 v56, 0xffff, v5
	v_lshlrev_b32_e32 v52, 16, v52
	s_delay_alu instid0(VALU_DEP_3) | instskip(SKIP_2) | instid1(VALU_DEP_3)
	v_and_b32_e32 v47, 0xffff, v47
	s_wait_dscnt 0x0
	v_cmp_ne_u32_e64 s0, v54, v48
	v_or_b32_e32 v8, v4, v52
	v_or_b32_e32 v4, v56, v6
	;; [unrolled: 1-line block ×3, first 2 shown]
	v_mov_b32_e32 v6, v59
.LBB36_53:
	s_or_b32 exec_lo, exec_lo, s1
	v_or_b32_e32 v65, v9, v10
	v_or_b32_e32 v52, v12, v11
	;; [unrolled: 1-line block ×6, first 2 shown]
	s_branch .LBB36_58
.LBB36_54:
                                        ; implicit-def: $sgpr0
                                        ; implicit-def: $vgpr6
                                        ; implicit-def: $vgpr8
                                        ; implicit-def: $vgpr5
                                        ; implicit-def: $vgpr38
                                        ; implicit-def: $vgpr65
                                        ; implicit-def: $vgpr63
                                        ; implicit-def: $vgpr52
                                        ; implicit-def: $vgpr64
                                        ; implicit-def: $vgpr61
                                        ; implicit-def: $vgpr62
                                        ; implicit-def: $vgpr50
                                        ; implicit-def: $vgpr47
                                        ; implicit-def: $vgpr60
                                        ; implicit-def: $vgpr46
                                        ; implicit-def: $vgpr59
	s_cbranch_execz .LBB36_58
; %bb.55:
	v_dual_add_nc_u32 v4, 10, v1 :: v_dual_add_nc_u32 v5, 9, v1
	v_dual_add_nc_u32 v6, 12, v1 :: v_dual_add_nc_u32 v8, 11, v1
	v_cmp_ne_u32_e64 s15, v45, v43
	s_delay_alu instid0(VALU_DEP_3)
	v_cmp_gt_u32_e32 vcc_lo, s34, v4
	v_add_nc_u32_e32 v4, 6, v1
	v_cmp_gt_u32_e64 s0, s34, v5
	v_add_nc_u32_e32 v5, 5, v1
	v_cmp_gt_u32_e64 s1, s34, v6
	v_cmp_gt_u32_e64 s4, s34, v8
	;; [unrolled: 1-line block ×3, first 2 shown]
	v_dual_add_nc_u32 v4, 4, v1 :: v_dual_add_nc_u32 v6, 8, v1
	v_add_nc_u32_e32 v8, 7, v1
	v_cmp_gt_u32_e64 s10, s34, v5
	v_add_nc_u32_e32 v5, 3, v1
	s_delay_alu instid0(VALU_DEP_4)
	v_cmp_gt_u32_e64 s16, s34, v4
	v_cmp_gt_u32_e64 s11, s34, v6
	v_cmp_gt_u32_e64 s12, s34, v8
	v_dual_add_nc_u32 v6, 1, v1 :: v_dual_add_nc_u32 v8, 2, v1
	s_and_b32 s15, s16, s15
	v_cmp_ne_u32_e64 s17, v44, v42
	v_cndmask_b32_e64 v4, 0, 1, s15
	v_cmp_gt_u32_e64 s15, s34, v5
	v_cmp_ne_u32_e64 s16, v49, v3
	v_cmp_gt_u32_e64 s18, s34, v8
	v_cmp_ne_u32_e64 s7, v32, v33
	v_cmp_ne_u32_e64 s13, v40, v41
	s_and_b32 s15, s15, s17
	v_cmp_ne_u32_e64 s17, v41, v36
	v_cndmask_b32_e64 v53, 0, 1, s15
	s_and_b32 s15, s18, s16
	v_cmp_ne_u32_e64 s16, v36, v37
	s_and_b32 s1, s1, s7
	v_cmp_ne_u32_e64 s8, v35, v32
	v_cndmask_b32_e64 v10, 0, 1, s15
	v_cmp_gt_u32_e64 s15, s34, v6
	v_cndmask_b32_e64 v6, 0, 1, s1
	s_and_b32 s1, s9, s13
	v_cmp_ne_u32_e64 s5, v34, v35
	s_and_b32 s11, s11, s16
	v_cndmask_b32_e64 v50, 0, 1, s1
	s_and_b32 s1, s12, s17
	v_cmp_ne_u32_e64 s19, v48, v2
	v_lshlrev_b16 v2, 8, v4
	v_cndmask_b32_e64 v47, 0, 1, s11
	v_cndmask_b32_e64 v54, 0, 1, s1
	s_and_b32 s1, s4, s8
	v_lshlrev_b16 v8, 8, v6
	v_cndmask_b32_e64 v55, 0, 1, s1
	s_and_b32 s1, vcc_lo, s5
	v_dual_mov_b32 v38, 1 :: v_dual_bitop2_b32 v52, v53, v2 bitop3:0x54
	v_lshlrev_b16 v5, 8, v47
	v_cndmask_b32_e64 v51, 0, 1, s1
	v_lshlrev_b16 v3, 8, v10
	s_delay_alu instid0(VALU_DEP_4)
	v_lshlrev_b32_e32 v2, 16, v52
	v_lshlrev_b16 v12, 8, v50
	v_or_b32_e32 v62, v54, v5
	v_or_b32_e32 v46, v55, v8
	v_lshlrev_b16 v14, 8, v51
	v_cmp_ne_u32_e64 s6, v37, v34
	v_cmp_ne_u32_e64 s14, v43, v40
	v_and_b32_e32 v11, 0xffff, v3
	v_lshlrev_b32_e32 v13, 16, v62
	v_and_b32_e32 v5, 0xffff, v12
	v_lshlrev_b32_e32 v16, 16, v46
	v_and_b32_e32 v8, 0xffff, v14
	s_and_b32 s15, s15, s19
	s_and_b32 s1, s10, s14
	;; [unrolled: 1-line block ×3, first 2 shown]
	v_cndmask_b32_e64 v9, 0, 1, s15
	v_or_b32_e32 v11, v11, v2
	v_cndmask_b32_e64 v39, 0, 1, s1
	v_or_b32_e32 v15, v5, v13
	;; [unrolled: 2-line block ×3, first 2 shown]
	s_wait_dscnt 0x0
	s_barrier_signal -1
	s_barrier_wait -1
                                        ; implicit-def: $sgpr0
                                        ; implicit-def: $vgpr8
                                        ; implicit-def: $vgpr5
	s_and_saveexec_b32 s1, s3
	s_cbranch_execz .LBB36_57
; %bb.56:
	v_lshlrev_b16 v5, 8, v42
	v_lshlrev_b16 v56, 8, v39
	;; [unrolled: 1-line block ×5, first 2 shown]
	v_dual_lshrrev_b32 v5, 8, v5 :: v_dual_add_nc_u32 v7, -4, v7
	s_delay_alu instid0(VALU_DEP_4) | instskip(NEXT) | instid1(VALU_DEP_3)
	v_dual_lshrrev_b32 v56, 8, v56 :: v_dual_lshrrev_b32 v55, 8, v55
	v_dual_lshrrev_b32 v8, 8, v8 :: v_dual_lshrrev_b32 v53, 8, v53
	ds_load_b32 v7, v7
	v_lshlrev_b16 v5, 8, v5
	v_lshlrev_b16 v55, 8, v55
	;; [unrolled: 1-line block ×5, first 2 shown]
	v_cmp_gt_u32_e32 vcc_lo, s34, v1
	v_or_b32_e32 v51, v51, v55
	v_or_b32_e32 v5, v47, v5
	v_lshlrev_b16 v47, 8, v56
	v_or_b32_e32 v8, v10, v8
	v_or_b32_e32 v10, 1, v53
	s_or_b32 s20, s20, exec_lo
	s_delay_alu instid0(VALU_DEP_3) | instskip(SKIP_4) | instid1(VALU_DEP_4)
	v_or_b32_e32 v4, v4, v47
	v_dual_lshlrev_b32 v50, 16, v51 :: v_dual_bitop2_b32 v47, v50, v54 bitop3:0x54
	v_and_b32_e32 v5, 0xffff, v5
	v_lshlrev_b32_e32 v51, 16, v8
	v_and_b32_e32 v10, 0xffff, v10
	v_lshlrev_b32_e32 v47, 16, v47
	v_and_b32_e32 v4, 0xffff, v4
	s_wait_dscnt 0x0
	v_cmp_ne_u32_e64 s0, v7, v48
	v_or_b32_e32 v8, v5, v50
	s_delay_alu instid0(VALU_DEP_3)
	v_or_b32_e32 v5, v4, v47
	v_or_b32_e32 v4, v10, v51
	s_and_b32 s0, vcc_lo, s0
.LBB36_57:
	s_or_b32 exec_lo, exec_lo, s1
	v_dual_lshrrev_b32 v59, 24, v16 :: v_dual_bitop2_b32 v65, v9, v3 bitop3:0x54
	v_dual_lshrrev_b32 v50, 24, v13 :: v_dual_bitop2_b32 v64, v39, v12 bitop3:0x54
	;; [unrolled: 1-line block ×3, first 2 shown]
	v_dual_lshrrev_b32 v39, 24, v2 :: v_dual_lshrrev_b32 v61, 8, v15
	v_lshrrev_b32_e32 v63, 8, v11
.LBB36_58:
	s_and_saveexec_b32 s1, s20
	s_cbranch_execz .LBB36_60
; %bb.59:
	v_lshrrev_b64 v[52:53], 24, v[4:5]
	v_dual_lshrrev_b32 v64, 8, v5 :: v_dual_lshrrev_b32 v61, 16, v5
	v_dual_lshrrev_b32 v46, 24, v8 :: v_dual_lshrrev_b32 v60, 16, v8
	;; [unrolled: 1-line block ×4, first 2 shown]
	v_cndmask_b32_e64 v38, 0, 1, s0
	v_dual_mov_b32 v39, v5 :: v_dual_mov_b32 v50, v8
	v_mov_b32_e32 v59, v6
.LBB36_60:
	s_or_b32 exec_lo, exec_lo, s1
	s_delay_alu instid0(SALU_CYCLE_1)
	s_and_not1_b32 vcc_lo, exec_lo, s35
	s_cbranch_vccnz .LBB36_64
; %bb.61:
	v_perm_b32 v2, v38, v65, 0xc0c0004
	v_perm_b32 v3, v63, v52, 0xc0c0004
	v_cmp_gt_u32_e32 vcc_lo, s34, v1
	v_perm_b32 v4, v50, v47, 0xc0c0004
	v_perm_b32 v6, v60, v46, 0xc0c0004
	;; [unrolled: 1-line block ×3, first 2 shown]
	v_lshl_or_b32 v2, v3, 16, v2
	v_dual_add_nc_u32 v10, 4, v1 :: v_dual_add_nc_u32 v11, 8, v1
	s_wait_loadcnt 0x0
	v_perm_b32 v7, v39, v64, 0xc0c0004
	s_delay_alu instid0(VALU_DEP_3) | instskip(SKIP_2) | instid1(VALU_DEP_3)
	v_dual_add_nc_u32 v5, 1, v1 :: v_dual_cndmask_b32 v3, 0, v2, vcc_lo
	v_dual_add_nc_u32 v9, 3, v1 :: v_dual_lshlrev_b32 v8, 16, v8
	v_lshl_or_b32 v4, v6, 16, v4
	v_cmp_gt_u32_e32 vcc_lo, s34, v5
	s_delay_alu instid0(VALU_DEP_4) | instskip(SKIP_3) | instid1(VALU_DEP_4)
	v_and_b32_e32 v3, 0xff, v3
	v_cmp_gt_u32_e64 s0, s34, v10
	v_or_b32_e32 v6, v7, v8
	v_cmp_gt_u32_e64 s1, s34, v9
	v_dual_add_nc_u32 v5, 2, v1 :: v_dual_cndmask_b32 v3, v3, v2, vcc_lo
	v_and_b32_e32 v59, 0xff, v59
	v_add_nc_u32_e32 v9, 5, v1
	s_delay_alu instid0(VALU_DEP_3) | instskip(NEXT) | instid1(VALU_DEP_4)
	v_cmp_gt_u32_e32 vcc_lo, s34, v5
	v_and_b32_e32 v3, 0xffff, v3
	v_bitop3_b32 v5, v7, 0xffffff00, v8 bitop3:0xc8
	v_add_nc_u32_e32 v8, 9, v1
	v_and_b32_e32 v51, 0xffff, v59
	s_delay_alu instid0(VALU_DEP_4) | instskip(SKIP_2) | instid1(VALU_DEP_3)
	v_cndmask_b32_e32 v3, v3, v2, vcc_lo
	v_cmp_gt_u32_e32 vcc_lo, s34, v11
	v_dual_cndmask_b32 v5, v5, v6, s0 :: v_dual_cndmask_b32 v7, 0, v4, vcc_lo
	v_and_b32_e32 v3, 0xffffff, v3
	s_delay_alu instid0(VALU_DEP_2) | instskip(NEXT) | instid1(VALU_DEP_3)
	v_and_b32_e32 v5, 0xffff00ff, v5
	v_and_b32_e32 v7, 0xff, v7
	s_delay_alu instid0(VALU_DEP_3) | instskip(SKIP_1) | instid1(VALU_DEP_2)
	v_cndmask_b32_e64 v3, v3, v2, s1
	v_cmp_gt_u32_e64 s1, s34, v8
	v_dual_add_nc_u32 v8, 10, v1 :: v_dual_cndmask_b32 v3, v3, v2, s0
	v_cmp_gt_u32_e64 s0, s34, v9
	s_delay_alu instid0(VALU_DEP_3) | instskip(NEXT) | instid1(VALU_DEP_2)
	v_dual_cndmask_b32 v7, v7, v4, s1 :: v_dual_add_nc_u32 v9, 6, v1
	v_cndmask_b32_e64 v3, v3, v2, s0
	v_cndmask_b32_e64 v5, v5, v6, s0
	s_delay_alu instid0(VALU_DEP_3) | instskip(SKIP_4) | instid1(VALU_DEP_4)
	v_and_b32_e32 v7, 0xffff, v7
	v_cmp_gt_u32_e64 s0, s34, v8
	v_add_nc_u32_e32 v8, 11, v1
	v_cmp_gt_u32_e64 s4, s34, v9
	v_and_b32_e32 v5, 0xff00ffff, v5
	v_cndmask_b32_e64 v7, v7, v4, s0
	s_delay_alu instid0(VALU_DEP_4) | instskip(SKIP_1) | instid1(VALU_DEP_3)
	v_cmp_gt_u32_e64 s3, s34, v8
	v_dual_add_nc_u32 v8, 7, v1 :: v_dual_add_nc_u32 v1, 12, v1
	v_and_b32_e32 v7, 0xffffff, v7
	s_delay_alu instid0(VALU_DEP_1) | instskip(SKIP_1) | instid1(VALU_DEP_3)
	v_dual_cndmask_b32 v5, v5, v6, s4 :: v_dual_cndmask_b32 v50, v7, v4, s3
	s_or_b32 s3, s3, s0
	v_cmp_gt_u32_e64 s0, s34, v8
	s_or_b32 s1, s3, s1
	v_and_b32_e32 v4, 0xffffff, v5
	s_or_b32 s1, s1, vcc_lo
	v_lshrrev_b64 v[46:47], 24, v[50:51]
	s_or_b32 vcc_lo, s1, s0
	v_lshrrev_b32_e32 v47, 8, v50
	v_cndmask_b32_e32 v39, v4, v6, vcc_lo
	s_or_b32 vcc_lo, vcc_lo, s4
	v_lshrrev_b32_e32 v60, 16, v50
	v_cndmask_b32_e32 v38, v3, v2, vcc_lo
	s_mov_b32 s0, exec_lo
	v_dual_lshrrev_b32 v62, 24, v39 :: v_dual_lshrrev_b32 v61, 16, v39
	v_lshrrev_b32_e32 v64, 8, v39
	s_delay_alu instid0(VALU_DEP_3)
	v_lshrrev_b64 v[52:53], 24, v[38:39]
	v_dual_lshrrev_b32 v63, 16, v38 :: v_dual_lshrrev_b32 v65, 8, v38
	v_cmpx_le_u32_e64 s34, v1
; %bb.62:
	v_mov_b32_e32 v59, 0
; %bb.63:
	s_or_b32 exec_lo, exec_lo, s0
.LBB36_64:
	v_and_b32_e32 v1, 0xff, v38
	v_and_b32_e32 v51, 0xff, v65
	;; [unrolled: 1-line block ×7, first 2 shown]
	v_add3_u32 v2, v51, v1, v53
	v_and_b32_e32 v68, 0xff, v62
	v_and_b32_e32 v69, 0xff, v50
	v_mbcnt_lo_u32_b32 v73, -1, 0
	v_and_b32_e32 v70, 0xff, v47
	v_add3_u32 v2, v2, v56, v57
	v_and_b32_e32 v71, 0xff, v60
	v_and_b32_e32 v72, 0xff, v46
	v_dual_lshrrev_b32 v74, 5, v0 :: v_dual_bitop2_b32 v3, 15, v73 bitop3:0x40
	s_delay_alu instid0(VALU_DEP_4)
	v_add3_u32 v2, v2, v66, v67
	v_and_b32_e32 v4, 0xff, v59
	v_or_b32_e32 v5, 31, v0
	v_and_b32_e32 v6, 16, v73
	v_cmp_eq_u32_e64 s6, 0, v3
	v_add3_u32 v2, v2, v68, v69
	v_cmp_lt_u32_e64 s5, 1, v3
	v_cmp_lt_u32_e64 s4, 3, v3
	;; [unrolled: 1-line block ×3, first 2 shown]
	v_cmp_eq_u32_e64 s1, 0, v6
	v_add3_u32 v2, v2, v70, v71
	v_cmp_eq_u32_e64 s0, v0, v5
	s_and_b32 vcc_lo, exec_lo, s36
	s_mov_b32 s7, -1
	s_wait_loadcnt_dscnt 0x0
	v_add3_u32 v75, v2, v72, v4
	s_barrier_signal -1
	s_barrier_wait -1
	s_cbranch_vccz .LBB36_86
; %bb.65:
	s_delay_alu instid0(VALU_DEP_1) | instskip(NEXT) | instid1(VALU_DEP_1)
	v_mov_b32_dpp v2, v75 row_shr:1 row_mask:0xf bank_mask:0xf
	v_cndmask_b32_e64 v2, v2, 0, s6
	s_delay_alu instid0(VALU_DEP_1) | instskip(NEXT) | instid1(VALU_DEP_1)
	v_add_nc_u32_e32 v2, v2, v75
	v_mov_b32_dpp v3, v2 row_shr:2 row_mask:0xf bank_mask:0xf
	s_delay_alu instid0(VALU_DEP_1) | instskip(NEXT) | instid1(VALU_DEP_1)
	v_cndmask_b32_e64 v3, 0, v3, s5
	v_add_nc_u32_e32 v2, v2, v3
	s_delay_alu instid0(VALU_DEP_1) | instskip(NEXT) | instid1(VALU_DEP_1)
	v_mov_b32_dpp v3, v2 row_shr:4 row_mask:0xf bank_mask:0xf
	v_cndmask_b32_e64 v3, 0, v3, s4
	s_delay_alu instid0(VALU_DEP_1) | instskip(NEXT) | instid1(VALU_DEP_1)
	v_add_nc_u32_e32 v2, v2, v3
	v_mov_b32_dpp v3, v2 row_shr:8 row_mask:0xf bank_mask:0xf
	s_delay_alu instid0(VALU_DEP_1) | instskip(NEXT) | instid1(VALU_DEP_1)
	v_cndmask_b32_e64 v3, 0, v3, s3
	v_add_nc_u32_e32 v2, v2, v3
	ds_swizzle_b32 v3, v2 offset:swizzle(BROADCAST,32,15)
	s_wait_dscnt 0x0
	v_cndmask_b32_e64 v3, v3, 0, s1
	s_delay_alu instid0(VALU_DEP_1)
	v_add_nc_u32_e32 v2, v2, v3
	s_and_saveexec_b32 s7, s0
; %bb.66:
	v_lshlrev_b32_e32 v3, 2, v74
	ds_store_b32 v3, v2
; %bb.67:
	s_or_b32 exec_lo, exec_lo, s7
	s_delay_alu instid0(SALU_CYCLE_1)
	s_mov_b32 s7, exec_lo
	s_wait_dscnt 0x0
	s_barrier_signal -1
	s_barrier_wait -1
	v_cmpx_gt_u32_e32 8, v0
	s_cbranch_execz .LBB36_69
; %bb.68:
	v_dual_lshlrev_b32 v3, 2, v0 :: v_dual_bitop2_b32 v5, 7, v73 bitop3:0x40
	ds_load_b32 v4, v3
	v_cmp_ne_u32_e32 vcc_lo, 0, v5
	s_wait_dscnt 0x0
	v_mov_b32_dpp v6, v4 row_shr:1 row_mask:0xf bank_mask:0xf
	s_delay_alu instid0(VALU_DEP_1) | instskip(SKIP_1) | instid1(VALU_DEP_2)
	v_cndmask_b32_e32 v6, 0, v6, vcc_lo
	v_cmp_lt_u32_e32 vcc_lo, 1, v5
	v_add_nc_u32_e32 v4, v6, v4
	s_delay_alu instid0(VALU_DEP_1) | instskip(NEXT) | instid1(VALU_DEP_1)
	v_mov_b32_dpp v6, v4 row_shr:2 row_mask:0xf bank_mask:0xf
	v_cndmask_b32_e32 v6, 0, v6, vcc_lo
	v_cmp_lt_u32_e32 vcc_lo, 3, v5
	s_delay_alu instid0(VALU_DEP_2) | instskip(NEXT) | instid1(VALU_DEP_1)
	v_add_nc_u32_e32 v4, v4, v6
	v_mov_b32_dpp v6, v4 row_shr:4 row_mask:0xf bank_mask:0xf
	s_delay_alu instid0(VALU_DEP_1) | instskip(NEXT) | instid1(VALU_DEP_1)
	v_cndmask_b32_e32 v5, 0, v6, vcc_lo
	v_add_nc_u32_e32 v4, v4, v5
	ds_store_b32 v3, v4
.LBB36_69:
	s_or_b32 exec_lo, exec_lo, s7
	s_delay_alu instid0(SALU_CYCLE_1)
	s_mov_b32 s8, exec_lo
	v_cmp_gt_u32_e32 vcc_lo, 32, v0
	s_wait_dscnt 0x0
	s_barrier_signal -1
	s_barrier_wait -1
                                        ; implicit-def: $vgpr10
	v_cmpx_lt_u32_e32 31, v0
	s_cbranch_execz .LBB36_71
; %bb.70:
	v_lshl_add_u32 v3, v74, 2, -4
	ds_load_b32 v10, v3
	s_wait_dscnt 0x0
	v_add_nc_u32_e32 v2, v10, v2
.LBB36_71:
	s_or_b32 exec_lo, exec_lo, s8
	v_sub_co_u32 v3, s7, v73, 1
	s_delay_alu instid0(VALU_DEP_1) | instskip(NEXT) | instid1(VALU_DEP_1)
	v_cmp_gt_i32_e64 s8, 0, v3
	v_cndmask_b32_e64 v3, v3, v73, s8
	s_delay_alu instid0(VALU_DEP_1)
	v_lshlrev_b32_e32 v3, 2, v3
	ds_bpermute_b32 v11, v3, v2
	s_and_saveexec_b32 s8, vcc_lo
	s_cbranch_execz .LBB36_91
; %bb.72:
	v_mov_b32_e32 v9, 0
	ds_load_b32 v2, v9 offset:28
	s_and_saveexec_b32 s9, s7
	s_cbranch_execz .LBB36_74
; %bb.73:
	s_add_co_i32 s10, s33, 32
	s_delay_alu instid0(SALU_CYCLE_1)
	v_dual_mov_b32 v3, 1 :: v_dual_mov_b32 v4, s10
	s_wait_dscnt 0x0
	global_store_b64 v4, v[2:3], s[22:23] scale_offset scope:SCOPE_DEV
.LBB36_74:
	s_wait_xcnt 0x0
	s_or_b32 exec_lo, exec_lo, s9
	v_xad_u32 v4, v73, -1, s33
	s_mov_b32 s10, 0
	s_mov_b32 s9, exec_lo
	s_delay_alu instid0(VALU_DEP_1) | instskip(SKIP_4) | instid1(VALU_DEP_1)
	v_add_nc_u32_e32 v8, 32, v4
	global_load_b64 v[6:7], v8, s[22:23] scale_offset scope:SCOPE_DEV
	s_wait_loadcnt 0x0
	v_and_b32_e32 v3, 0xff, v7
	s_wait_xcnt 0x0
	v_cmpx_eq_u16_e32 0, v3
	s_cbranch_execz .LBB36_78
; %bb.75:
	v_lshl_add_u64 v[8:9], v[8:9], 3, s[22:23]
.LBB36_76:                              ; =>This Inner Loop Header: Depth=1
	global_load_b64 v[6:7], v[8:9], off scope:SCOPE_DEV
	s_wait_loadcnt 0x0
	v_and_b32_e32 v3, 0xff, v7
	s_delay_alu instid0(VALU_DEP_1)
	v_cmp_ne_u16_e32 vcc_lo, 0, v3
	s_or_b32 s10, vcc_lo, s10
	s_wait_xcnt 0x0
	s_and_not1_b32 exec_lo, exec_lo, s10
	s_cbranch_execnz .LBB36_76
; %bb.77:
	s_or_b32 exec_lo, exec_lo, s10
.LBB36_78:
	s_delay_alu instid0(SALU_CYCLE_1)
	s_or_b32 exec_lo, exec_lo, s9
	v_cmp_ne_u32_e32 vcc_lo, 31, v73
	v_lshlrev_b32_e64 v13, v73, -1
	v_lshl_or_b32 v55, v73, 2, 64
	v_dual_add_nc_u32 v15, 2, v73 :: v_dual_add_nc_u32 v17, 4, v73
	v_add_co_ci_u32_e64 v3, null, 0, v73, vcc_lo
	v_dual_add_nc_u32 v54, 8, v73 :: v_dual_add_nc_u32 v76, 16, v73
	s_delay_alu instid0(VALU_DEP_2)
	v_lshlrev_b32_e32 v12, 2, v3
	v_and_b32_e32 v3, 0xff, v7
	ds_bpermute_b32 v5, v12, v6
	v_cmp_eq_u16_e32 vcc_lo, 2, v3
	v_and_or_b32 v3, vcc_lo, v13, 0x80000000
	v_cmp_gt_u32_e32 vcc_lo, 30, v73
	s_delay_alu instid0(VALU_DEP_2) | instskip(SKIP_1) | instid1(VALU_DEP_2)
	v_ctz_i32_b32_e32 v3, v3
	v_cndmask_b32_e64 v8, 0, 2, vcc_lo
	v_cmp_lt_u32_e32 vcc_lo, v73, v3
	s_delay_alu instid0(VALU_DEP_2) | instskip(SKIP_3) | instid1(VALU_DEP_2)
	v_add_lshl_u32 v14, v8, v73, 2
	s_wait_dscnt 0x0
	v_cndmask_b32_e32 v5, 0, v5, vcc_lo
	v_cmp_gt_u32_e32 vcc_lo, 28, v73
	v_add_nc_u32_e32 v5, v5, v6
	v_cndmask_b32_e64 v8, 0, 4, vcc_lo
	v_cmp_le_u32_e32 vcc_lo, v15, v3
	ds_bpermute_b32 v6, v14, v5
	v_add_lshl_u32 v16, v8, v73, 2
	s_wait_dscnt 0x0
	v_cndmask_b32_e32 v6, 0, v6, vcc_lo
	v_cmp_gt_u32_e32 vcc_lo, 24, v73
	v_cndmask_b32_e64 v8, 0, 8, vcc_lo
	v_cmp_le_u32_e32 vcc_lo, v17, v3
	s_delay_alu instid0(VALU_DEP_4) | instskip(NEXT) | instid1(VALU_DEP_3)
	v_add_nc_u32_e32 v5, v5, v6
	v_add_lshl_u32 v42, v8, v73, 2
	ds_bpermute_b32 v6, v16, v5
	s_wait_dscnt 0x0
	v_cndmask_b32_e32 v6, 0, v6, vcc_lo
	v_cmp_le_u32_e32 vcc_lo, v54, v3
	s_delay_alu instid0(VALU_DEP_2) | instskip(SKIP_4) | instid1(VALU_DEP_2)
	v_add_nc_u32_e32 v5, v5, v6
	ds_bpermute_b32 v6, v42, v5
	s_wait_dscnt 0x0
	v_cndmask_b32_e32 v6, 0, v6, vcc_lo
	v_cmp_le_u32_e32 vcc_lo, v76, v3
	v_add_nc_u32_e32 v5, v5, v6
	ds_bpermute_b32 v6, v55, v5
	s_wait_dscnt 0x0
	v_cndmask_b32_e32 v3, 0, v6, vcc_lo
	s_delay_alu instid0(VALU_DEP_1)
	v_dual_mov_b32 v5, 0 :: v_dual_add_nc_u32 v6, v5, v3
	s_branch .LBB36_81
.LBB36_79:                              ;   in Loop: Header=BB36_81 Depth=1
	s_or_b32 exec_lo, exec_lo, s9
	v_and_b32_e32 v8, 0xff, v7
	ds_bpermute_b32 v9, v12, v6
	v_subrev_nc_u32_e32 v4, 32, v4
	s_mov_b32 s9, 0
	v_cmp_eq_u16_e32 vcc_lo, 2, v8
	v_and_or_b32 v8, vcc_lo, v13, 0x80000000
	s_delay_alu instid0(VALU_DEP_1) | instskip(NEXT) | instid1(VALU_DEP_1)
	v_ctz_i32_b32_e32 v8, v8
	v_cmp_lt_u32_e32 vcc_lo, v73, v8
	s_wait_dscnt 0x0
	v_cndmask_b32_e32 v9, 0, v9, vcc_lo
	v_cmp_le_u32_e32 vcc_lo, v15, v8
	s_delay_alu instid0(VALU_DEP_2) | instskip(SKIP_4) | instid1(VALU_DEP_2)
	v_add_nc_u32_e32 v6, v9, v6
	ds_bpermute_b32 v9, v14, v6
	s_wait_dscnt 0x0
	v_cndmask_b32_e32 v9, 0, v9, vcc_lo
	v_cmp_le_u32_e32 vcc_lo, v17, v8
	v_add_nc_u32_e32 v6, v6, v9
	ds_bpermute_b32 v9, v16, v6
	s_wait_dscnt 0x0
	v_cndmask_b32_e32 v9, 0, v9, vcc_lo
	v_cmp_le_u32_e32 vcc_lo, v54, v8
	s_delay_alu instid0(VALU_DEP_2) | instskip(SKIP_4) | instid1(VALU_DEP_2)
	v_add_nc_u32_e32 v6, v6, v9
	ds_bpermute_b32 v9, v42, v6
	s_wait_dscnt 0x0
	v_cndmask_b32_e32 v9, 0, v9, vcc_lo
	v_cmp_le_u32_e32 vcc_lo, v76, v8
	v_add_nc_u32_e32 v6, v6, v9
	ds_bpermute_b32 v9, v55, v6
	s_wait_dscnt 0x0
	v_cndmask_b32_e32 v8, 0, v9, vcc_lo
	s_delay_alu instid0(VALU_DEP_1)
	v_add3_u32 v6, v8, v3, v6
.LBB36_80:                              ;   in Loop: Header=BB36_81 Depth=1
	s_and_b32 vcc_lo, exec_lo, s9
	s_cbranch_vccnz .LBB36_87
.LBB36_81:                              ; =>This Loop Header: Depth=1
                                        ;     Child Loop BB36_84 Depth 2
	v_and_b32_e32 v3, 0xff, v7
	s_mov_b32 s9, -1
                                        ; implicit-def: $vgpr7
	s_delay_alu instid0(VALU_DEP_1)
	v_cmp_ne_u16_e32 vcc_lo, 2, v3
	v_mov_b32_e32 v3, v6
                                        ; implicit-def: $vgpr6
	s_cmp_lg_u32 vcc_lo, exec_lo
	s_cbranch_scc1 .LBB36_80
; %bb.82:                               ;   in Loop: Header=BB36_81 Depth=1
	global_load_b64 v[6:7], v4, s[22:23] scale_offset scope:SCOPE_DEV
	s_mov_b32 s9, exec_lo
	s_wait_loadcnt 0x0
	v_and_b32_e32 v8, 0xff, v7
	s_wait_xcnt 0x0
	s_delay_alu instid0(VALU_DEP_1)
	v_cmpx_eq_u16_e32 0, v8
	s_cbranch_execz .LBB36_79
; %bb.83:                               ;   in Loop: Header=BB36_81 Depth=1
	v_lshl_add_u64 v[8:9], v[4:5], 3, s[22:23]
	s_mov_b32 s10, 0
.LBB36_84:                              ;   Parent Loop BB36_81 Depth=1
                                        ; =>  This Inner Loop Header: Depth=2
	global_load_b64 v[6:7], v[8:9], off scope:SCOPE_DEV
	s_wait_loadcnt 0x0
	v_and_b32_e32 v77, 0xff, v7
	s_delay_alu instid0(VALU_DEP_1)
	v_cmp_ne_u16_e32 vcc_lo, 0, v77
	s_or_b32 s10, vcc_lo, s10
	s_wait_xcnt 0x0
	s_and_not1_b32 exec_lo, exec_lo, s10
	s_cbranch_execnz .LBB36_84
; %bb.85:                               ;   in Loop: Header=BB36_81 Depth=1
	s_or_b32 exec_lo, exec_lo, s10
	s_branch .LBB36_79
.LBB36_86:
                                        ; implicit-def: $vgpr42
                                        ; implicit-def: $vgpr54
                                        ; implicit-def: $vgpr2_vgpr3_vgpr4_vgpr5_vgpr6_vgpr7_vgpr8_vgpr9_vgpr10_vgpr11_vgpr12_vgpr13_vgpr14_vgpr15_vgpr16_vgpr17
	s_and_b32 vcc_lo, exec_lo, s7
	s_cbranch_vccnz .LBB36_92
	s_branch .LBB36_101
.LBB36_87:
	s_and_saveexec_b32 s9, s7
	s_cbranch_execz .LBB36_89
; %bb.88:
	s_add_co_i32 s10, s33, 32
	v_dual_mov_b32 v5, 2 :: v_dual_add_nc_u32 v4, v3, v2
	v_dual_mov_b32 v6, s10 :: v_dual_mov_b32 v7, 0
	global_store_b64 v6, v[4:5], s[22:23] scale_offset scope:SCOPE_DEV
	ds_store_b64 v7, v[2:3] offset:13312
.LBB36_89:
	s_wait_xcnt 0x0
	s_or_b32 exec_lo, exec_lo, s9
	s_delay_alu instid0(SALU_CYCLE_1)
	s_and_b32 exec_lo, exec_lo, s2
; %bb.90:
	v_mov_b32_e32 v2, 0
	ds_store_b32 v2, v3 offset:28
.LBB36_91:
	s_or_b32 exec_lo, exec_lo, s8
	s_wait_dscnt 0x0
	v_dual_mov_b32 v12, 0 :: v_dual_cndmask_b32 v3, v11, v10, s7
	s_wait_storecnt 0x0
	s_barrier_signal -1
	s_barrier_wait -1
	ds_load_b32 v2, v12 offset:28
	v_cndmask_b32_e64 v3, v3, 0, s2
	s_wait_dscnt 0x0
	s_barrier_signal -1
	s_barrier_wait -1
	ds_load_b64 v[54:55], v12 offset:13312
	v_add_nc_u32_e32 v2, v2, v3
	s_wait_dscnt 0x0
	s_delay_alu instid0(VALU_DEP_1) | instskip(NEXT) | instid1(VALU_DEP_1)
	v_dual_mov_b32 v42, v55 :: v_dual_add_nc_u32 v3, v2, v1
	v_add_nc_u32_e32 v4, v3, v51
	s_delay_alu instid0(VALU_DEP_1) | instskip(NEXT) | instid1(VALU_DEP_1)
	v_add_nc_u32_e32 v5, v4, v53
	v_add_nc_u32_e32 v6, v5, v56
	s_delay_alu instid0(VALU_DEP_1) | instskip(NEXT) | instid1(VALU_DEP_1)
	v_add_nc_u32_e32 v7, v6, v57
	;; [unrolled: 3-line block ×5, first 2 shown]
	v_add_nc_u32_e32 v14, v13, v72
	s_branch .LBB36_101
.LBB36_92:
	v_mov_b32_dpp v2, v75 row_shr:1 row_mask:0xf bank_mask:0xf
	s_delay_alu instid0(VALU_DEP_1) | instskip(NEXT) | instid1(VALU_DEP_1)
	v_cndmask_b32_e64 v2, v2, 0, s6
	v_add_nc_u32_e32 v2, v2, v75
	s_delay_alu instid0(VALU_DEP_1) | instskip(NEXT) | instid1(VALU_DEP_1)
	v_mov_b32_dpp v3, v2 row_shr:2 row_mask:0xf bank_mask:0xf
	v_cndmask_b32_e64 v3, 0, v3, s5
	s_delay_alu instid0(VALU_DEP_1) | instskip(NEXT) | instid1(VALU_DEP_1)
	v_add_nc_u32_e32 v2, v2, v3
	v_mov_b32_dpp v3, v2 row_shr:4 row_mask:0xf bank_mask:0xf
	s_delay_alu instid0(VALU_DEP_1) | instskip(NEXT) | instid1(VALU_DEP_1)
	v_cndmask_b32_e64 v3, 0, v3, s4
	v_add_nc_u32_e32 v2, v2, v3
	s_delay_alu instid0(VALU_DEP_1) | instskip(NEXT) | instid1(VALU_DEP_1)
	v_mov_b32_dpp v3, v2 row_shr:8 row_mask:0xf bank_mask:0xf
	v_cndmask_b32_e64 v3, 0, v3, s3
	s_delay_alu instid0(VALU_DEP_1) | instskip(SKIP_3) | instid1(VALU_DEP_1)
	v_add_nc_u32_e32 v2, v2, v3
	ds_swizzle_b32 v3, v2 offset:swizzle(BROADCAST,32,15)
	s_wait_dscnt 0x0
	v_cndmask_b32_e64 v3, v3, 0, s1
	v_add_nc_u32_e32 v2, v2, v3
	s_and_saveexec_b32 s1, s0
; %bb.93:
	v_lshlrev_b32_e32 v3, 2, v74
	ds_store_b32 v3, v2
; %bb.94:
	s_or_b32 exec_lo, exec_lo, s1
	s_delay_alu instid0(SALU_CYCLE_1)
	s_mov_b32 s0, exec_lo
	s_wait_dscnt 0x0
	s_barrier_signal -1
	s_barrier_wait -1
	v_cmpx_gt_u32_e32 8, v0
	s_cbranch_execz .LBB36_96
; %bb.95:
	v_dual_lshlrev_b32 v3, 2, v0 :: v_dual_bitop2_b32 v5, 7, v73 bitop3:0x40
	ds_load_b32 v4, v3
	v_cmp_ne_u32_e32 vcc_lo, 0, v5
	s_wait_dscnt 0x0
	v_mov_b32_dpp v6, v4 row_shr:1 row_mask:0xf bank_mask:0xf
	s_delay_alu instid0(VALU_DEP_1) | instskip(SKIP_1) | instid1(VALU_DEP_2)
	v_cndmask_b32_e32 v6, 0, v6, vcc_lo
	v_cmp_lt_u32_e32 vcc_lo, 1, v5
	v_add_nc_u32_e32 v4, v6, v4
	s_delay_alu instid0(VALU_DEP_1) | instskip(NEXT) | instid1(VALU_DEP_1)
	v_mov_b32_dpp v6, v4 row_shr:2 row_mask:0xf bank_mask:0xf
	v_cndmask_b32_e32 v6, 0, v6, vcc_lo
	v_cmp_lt_u32_e32 vcc_lo, 3, v5
	s_delay_alu instid0(VALU_DEP_2) | instskip(NEXT) | instid1(VALU_DEP_1)
	v_add_nc_u32_e32 v4, v4, v6
	v_mov_b32_dpp v6, v4 row_shr:4 row_mask:0xf bank_mask:0xf
	s_delay_alu instid0(VALU_DEP_1) | instskip(NEXT) | instid1(VALU_DEP_1)
	v_cndmask_b32_e32 v5, 0, v6, vcc_lo
	v_add_nc_u32_e32 v4, v4, v5
	ds_store_b32 v3, v4
.LBB36_96:
	s_or_b32 exec_lo, exec_lo, s0
	v_dual_mov_b32 v4, 0 :: v_dual_mov_b32 v3, 0
	s_mov_b32 s0, exec_lo
	s_wait_dscnt 0x0
	s_barrier_signal -1
	s_barrier_wait -1
	v_cmpx_lt_u32_e32 31, v0
; %bb.97:
	v_lshl_add_u32 v3, v74, 2, -4
	ds_load_b32 v3, v3
; %bb.98:
	s_or_b32 exec_lo, exec_lo, s0
	v_sub_co_u32 v5, vcc_lo, v73, 1
	ds_load_b32 v54, v4 offset:28
	s_wait_dscnt 0x1
	v_add_nc_u32_e32 v2, v3, v2
	v_cmp_gt_i32_e64 s0, 0, v5
	s_delay_alu instid0(VALU_DEP_1) | instskip(NEXT) | instid1(VALU_DEP_1)
	v_cndmask_b32_e64 v5, v5, v73, s0
	v_lshlrev_b32_e32 v5, 2, v5
	ds_bpermute_b32 v2, v5, v2
	s_and_saveexec_b32 s0, s2
	s_cbranch_execz .LBB36_100
; %bb.99:
	v_dual_mov_b32 v4, 0 :: v_dual_mov_b32 v55, 2
	s_wait_dscnt 0x1
	global_store_b64 v4, v[54:55], s[22:23] offset:256 scope:SCOPE_DEV
.LBB36_100:
	s_wait_xcnt 0x0
	s_or_b32 exec_lo, exec_lo, s0
	s_wait_dscnt 0x0
	v_cndmask_b32_e32 v2, v2, v3, vcc_lo
	s_wait_storecnt 0x0
	s_barrier_signal -1
	s_barrier_wait -1
	s_delay_alu instid0(VALU_DEP_1) | instskip(NEXT) | instid1(VALU_DEP_1)
	v_cndmask_b32_e64 v2, v2, 0, s2
	v_dual_mov_b32 v42, 0 :: v_dual_add_nc_u32 v3, v2, v1
	s_delay_alu instid0(VALU_DEP_1) | instskip(NEXT) | instid1(VALU_DEP_1)
	v_add_nc_u32_e32 v4, v3, v51
	v_add_nc_u32_e32 v5, v4, v53
	s_delay_alu instid0(VALU_DEP_1) | instskip(NEXT) | instid1(VALU_DEP_1)
	v_add_nc_u32_e32 v6, v5, v56
	v_add_nc_u32_e32 v7, v6, v57
	;; [unrolled: 3-line block ×5, first 2 shown]
	s_delay_alu instid0(VALU_DEP_1)
	v_add_nc_u32_e32 v14, v13, v72
.LBB36_101:
	v_add_nc_u32_e32 v51, v42, v54
	v_and_b32_e32 v15, 1, v38
	v_cmp_gt_u32_e64 s0, 0x101, v54
	v_lshlrev_b64_e32 v[16:17], 2, v[18:19]
	s_mov_b32 s4, -1
	v_cmp_lt_u32_e64 s1, v2, v51
	v_cmp_eq_u32_e64 s3, 1, v15
	s_and_b32 vcc_lo, exec_lo, s0
	s_cbranch_vccz .LBB36_129
; %bb.102:
	v_add_nc_u64_e32 v[56:57], s[28:29], v[16:17]
	s_or_b32 s1, s27, s1
	s_delay_alu instid0(SALU_CYCLE_1) | instskip(NEXT) | instid1(SALU_CYCLE_1)
	s_and_b32 s3, s1, s3
	s_and_saveexec_b32 s1, s3
	s_cbranch_execz .LBB36_104
; %bb.103:
	s_delay_alu instid0(VALU_DEP_1) | instskip(NEXT) | instid1(VALU_DEP_2)
	v_readfirstlane_b32 s4, v56
	v_readfirstlane_b32 s5, v57
	global_store_b32 v2, v48, s[4:5] scale_offset
.LBB36_104:
	s_wait_xcnt 0x0
	s_or_b32 exec_lo, exec_lo, s1
	v_and_b32_e32 v1, 1, v65
	v_cmp_lt_u32_e32 vcc_lo, v3, v51
	s_delay_alu instid0(VALU_DEP_2) | instskip(SKIP_1) | instid1(SALU_CYCLE_1)
	v_cmp_eq_u32_e64 s1, 1, v1
	s_or_b32 s3, s27, vcc_lo
	s_and_b32 s3, s3, s1
	s_delay_alu instid0(SALU_CYCLE_1)
	s_and_saveexec_b32 s1, s3
	s_cbranch_execz .LBB36_106
; %bb.105:
	v_readfirstlane_b32 s4, v56
	v_readfirstlane_b32 s5, v57
	global_store_b32 v3, v49, s[4:5] scale_offset
.LBB36_106:
	s_wait_xcnt 0x0
	s_or_b32 exec_lo, exec_lo, s1
	v_and_b32_e32 v1, 1, v63
	v_cmp_lt_u32_e32 vcc_lo, v4, v51
	s_delay_alu instid0(VALU_DEP_2) | instskip(SKIP_1) | instid1(SALU_CYCLE_1)
	v_cmp_eq_u32_e64 s1, 1, v1
	s_or_b32 s3, s27, vcc_lo
	s_and_b32 s3, s3, s1
	s_delay_alu instid0(SALU_CYCLE_1)
	s_and_saveexec_b32 s1, s3
	s_cbranch_execz .LBB36_108
; %bb.107:
	v_readfirstlane_b32 s4, v56
	v_readfirstlane_b32 s5, v57
	global_store_b32 v4, v44, s[4:5] scale_offset
.LBB36_108:
	;; [unrolled: 16-line block ×12, first 2 shown]
	s_wait_xcnt 0x0
	s_or_b32 exec_lo, exec_lo, s1
	s_mov_b32 s4, 0
.LBB36_129:
	s_delay_alu instid0(SALU_CYCLE_1)
	s_and_b32 vcc_lo, exec_lo, s4
	s_cbranch_vccz .LBB36_171
; %bb.130:
	s_mov_b32 s1, exec_lo
	v_cmpx_eq_u32_e32 1, v15
; %bb.131:
	v_sub_nc_u32_e32 v1, v2, v42
	s_delay_alu instid0(VALU_DEP_1)
	v_lshlrev_b32_e32 v1, 2, v1
	ds_store_b32 v1, v48
; %bb.132:
	s_or_b32 exec_lo, exec_lo, s1
	v_and_b32_e32 v1, 1, v65
	s_mov_b32 s1, exec_lo
	s_delay_alu instid0(VALU_DEP_1)
	v_cmpx_eq_u32_e32 1, v1
; %bb.133:
	v_sub_nc_u32_e32 v1, v3, v42
	s_delay_alu instid0(VALU_DEP_1)
	v_lshlrev_b32_e32 v1, 2, v1
	ds_store_b32 v1, v49
; %bb.134:
	s_or_b32 exec_lo, exec_lo, s1
	v_and_b32_e32 v1, 1, v63
	s_mov_b32 s1, exec_lo
	s_delay_alu instid0(VALU_DEP_1)
	;; [unrolled: 11-line block ×12, first 2 shown]
	v_cmpx_eq_u32_e32 1, v1
; %bb.155:
	v_sub_nc_u32_e32 v1, v14, v42
	s_delay_alu instid0(VALU_DEP_1)
	v_lshlrev_b32_e32 v1, 2, v1
	ds_store_b32 v1, v33
; %bb.156:
	s_or_b32 exec_lo, exec_lo, s1
	v_or_b32_e32 v1, 0x100, v0
	v_dual_mov_b32 v43, 0 :: v_dual_mov_b32 v34, v0
	v_add_nc_u64_e32 v[32:33], s[28:29], v[16:17]
	s_mov_b32 s5, -1
	s_delay_alu instid0(VALU_DEP_3) | instskip(NEXT) | instid1(VALU_DEP_3)
	v_max_u32_e32 v36, v54, v1
	v_lshlrev_b64_e32 v[40:41], 2, v[42:43]
	s_mov_b32 s3, exec_lo
	s_wait_storecnt_dscnt 0x0
	s_barrier_signal -1
	v_xad_u32 v35, v0, -1, v36
	s_barrier_wait -1
	s_delay_alu instid0(VALU_DEP_2) | instskip(NEXT) | instid1(VALU_DEP_2)
	v_add_nc_u64_e32 v[32:33], v[32:33], v[40:41]
	v_cmp_gt_u32_e64 s1, 0x1b00, v35
	v_cmpx_lt_u32_e32 0x1aff, v35
	s_cbranch_execz .LBB36_167
; %bb.157:
	v_sub_nc_u32_e32 v34, v0, v36
	s_delay_alu instid0(VALU_DEP_1) | instskip(NEXT) | instid1(VALU_DEP_1)
	v_or_b32_e32 v34, 0xff, v34
	v_cmp_ge_u32_e32 vcc_lo, v34, v0
	v_mov_b32_e32 v34, v0
	s_and_saveexec_b32 s4, vcc_lo
	s_cbranch_execz .LBB36_166
; %bb.158:
	v_dual_lshrrev_b32 v38, 8, v35 :: v_dual_mov_b32 v44, 0
	s_delay_alu instid0(VALU_DEP_1) | instskip(NEXT) | instid1(VALU_DEP_1)
	v_add_nc_u32_e32 v34, -1, v38
	v_lshrrev_b32_e32 v35, 1, v34
	v_cmp_lt_u32_e32 vcc_lo, 13, v34
	s_delay_alu instid0(VALU_DEP_2)
	v_add_nc_u32_e32 v40, 1, v35
	v_mov_b64_e32 v[34:35], v[0:1]
	s_and_saveexec_b32 s5, vcc_lo
	s_cbranch_execz .LBB36_162
; %bb.159:
	v_mov_b64_e32 v[34:35], v[0:1]
	v_dual_mov_b32 v37, 0 :: v_dual_bitop2_b32 v41, -8, v40 bitop3:0x40
	v_lshlrev_b32_e32 v43, 2, v0
	s_mov_b32 s6, 0
	s_mov_b32 s7, 0
.LBB36_160:                             ; =>This Inner Loop Header: Depth=1
	s_delay_alu instid0(VALU_DEP_2)
	v_dual_mov_b32 v36, v34 :: v_dual_mov_b32 v57, v37
	ds_load_2addr_stride64_b32 v[48:49], v43 offset1:4
	v_add_nc_u32_e32 v41, -8, v41
	ds_load_2addr_stride64_b32 v[66:67], v43 offset0:8 offset1:12
	v_lshl_add_u64 v[92:93], v[36:37], 2, v[32:33]
	v_mov_b32_e32 v36, v35
	ds_load_2addr_stride64_b32 v[70:71], v43 offset0:16 offset1:20
	ds_load_2addr_stride64_b32 v[74:75], v43 offset0:24 offset1:28
	v_dual_mov_b32 v69, v37 :: v_dual_add_nc_u32 v56, 0x200, v35
	v_lshl_add_u64 v[94:95], v[36:37], 2, v[32:33]
	v_add_nc_u32_e32 v36, 0x200, v34
	ds_load_2addr_stride64_b32 v[78:79], v43 offset0:32 offset1:36
	v_lshl_add_u64 v[56:57], v[56:57], 2, v[32:33]
	ds_load_2addr_stride64_b32 v[82:83], v43 offset0:40 offset1:44
	ds_load_2addr_stride64_b32 v[86:87], v43 offset0:48 offset1:52
	v_lshl_add_u64 v[96:97], v[36:37], 2, v[32:33]
	v_add_nc_u32_e32 v36, 0x400, v34
	ds_load_2addr_stride64_b32 v[90:91], v43 offset0:56 offset1:60
	s_wait_dscnt 0x7
	s_clause 0x1
	global_store_b32 v[92:93], v48, off
	global_store_b32 v[94:95], v49, off
	s_wait_dscnt 0x6
	s_clause 0x1
	global_store_b32 v[96:97], v66, off
	global_store_b32 v[56:57], v67, off
	v_lshl_add_u64 v[98:99], v[36:37], 2, v[32:33]
	v_add_nc_u32_e32 v36, 0x600, v34
	v_dual_mov_b32 v73, v37 :: v_dual_add_nc_u32 v68, 0x400, v35
	v_dual_mov_b32 v77, v37 :: v_dual_add_nc_u32 v72, 0x600, v35
	s_wait_xcnt 0x2
	s_delay_alu instid0(VALU_DEP_3)
	v_lshl_add_u64 v[48:49], v[36:37], 2, v[32:33]
	v_add_nc_u32_e32 v36, 0x800, v34
	v_lshl_add_u64 v[68:69], v[68:69], 2, v[32:33]
	v_dual_mov_b32 v81, v37 :: v_dual_add_nc_u32 v76, 0x800, v35
	v_lshl_add_u64 v[72:73], v[72:73], 2, v[32:33]
	s_wait_xcnt 0x0
	v_lshl_add_u64 v[56:57], v[36:37], 2, v[32:33]
	v_add_nc_u32_e32 v36, 0xa00, v34
	s_wait_dscnt 0x5
	s_clause 0x1
	global_store_b32 v[98:99], v70, off
	global_store_b32 v[68:69], v71, off
	s_wait_dscnt 0x4
	global_store_b32 v[48:49], v74, off
	v_dual_mov_b32 v85, v37 :: v_dual_add_nc_u32 v80, 0xa00, v35
	s_wait_xcnt 0x0
	v_lshl_add_u64 v[48:49], v[36:37], 2, v[32:33]
	v_add_nc_u32_e32 v36, 0xc00, v34
	v_dual_mov_b32 v89, v37 :: v_dual_add_nc_u32 v84, 0xc00, v35
	v_lshl_add_u64 v[76:77], v[76:77], 2, v[32:33]
	global_store_b32 v[72:73], v75, off
	s_wait_dscnt 0x3
	global_store_b32 v[56:57], v78, off
	s_wait_xcnt 0x0
	v_lshl_add_u64 v[56:57], v[36:37], 2, v[32:33]
	v_add_nc_u32_e32 v36, 0xe00, v34
	v_add_nc_u32_e32 v88, 0xe00, v35
	s_add_co_i32 s7, s7, 16
	v_cmp_eq_u32_e32 vcc_lo, 0, v41
	v_lshl_add_u64 v[80:81], v[80:81], 2, v[32:33]
	v_dual_mov_b32 v44, s7 :: v_dual_add_nc_u32 v43, 0x4000, v43
	v_add_nc_u32_e32 v35, 0x1000, v35
	v_add_nc_u32_e32 v34, 0x1000, v34
	v_lshl_add_u64 v[84:85], v[84:85], 2, v[32:33]
	global_store_b32 v[76:77], v79, off
	s_wait_dscnt 0x2
	s_clause 0x1
	global_store_b32 v[48:49], v82, off
	global_store_b32 v[80:81], v83, off
	s_wait_xcnt 0x1
	v_lshl_add_u64 v[48:49], v[36:37], 2, v[32:33]
	v_lshl_add_u64 v[88:89], v[88:89], 2, v[32:33]
	s_or_b32 s6, vcc_lo, s6
	s_wait_dscnt 0x1
	s_clause 0x1
	global_store_b32 v[56:57], v86, off
	global_store_b32 v[84:85], v87, off
	s_wait_dscnt 0x0
	s_clause 0x1
	global_store_b32 v[48:49], v90, off
	global_store_b32 v[88:89], v91, off
	s_wait_xcnt 0x0
	s_and_not1_b32 exec_lo, exec_lo, s6
	s_cbranch_execnz .LBB36_160
; %bb.161:
	s_or_b32 exec_lo, exec_lo, s6
.LBB36_162:
	s_delay_alu instid0(SALU_CYCLE_1) | instskip(SKIP_3) | instid1(VALU_DEP_1)
	s_or_b32 exec_lo, exec_lo, s5
	v_and_b32_e32 v1, 7, v40
	s_mov_b32 s6, 0
	s_mov_b32 s5, exec_lo
	v_cmpx_ne_u32_e32 0, v1
	s_cbranch_execz .LBB36_165
; %bb.163:
	v_dual_mov_b32 v37, 0 :: v_dual_lshlrev_b32 v36, 2, v0
	s_delay_alu instid0(VALU_DEP_1)
	v_lshl_or_b32 v40, v44, 10, v36
.LBB36_164:                             ; =>This Inner Loop Header: Depth=1
	ds_load_2addr_stride64_b32 v[44:45], v40 offset1:4
	v_dual_mov_b32 v36, v34 :: v_dual_add_nc_u32 v1, -1, v1
	v_add_nc_u32_e32 v34, 0x200, v34
	v_add_nc_u32_e32 v40, 0x800, v40
	s_delay_alu instid0(VALU_DEP_3) | instskip(SKIP_2) | instid1(VALU_DEP_2)
	v_lshl_add_u64 v[48:49], v[36:37], 2, v[32:33]
	v_dual_mov_b32 v36, v35 :: v_dual_add_nc_u32 v35, 0x200, v35
	v_cmp_eq_u32_e32 vcc_lo, 0, v1
	v_lshl_add_u64 v[56:57], v[36:37], 2, v[32:33]
	s_wait_dscnt 0x0
	s_clause 0x1
	global_store_b32 v[48:49], v44, off
	global_store_b32 v[56:57], v45, off
	s_or_b32 s6, vcc_lo, s6
	s_wait_xcnt 0x0
	s_and_not1_b32 exec_lo, exec_lo, s6
	s_cbranch_execnz .LBB36_164
.LBB36_165:
	s_or_b32 exec_lo, exec_lo, s5
	v_add_nc_u32_e32 v1, 1, v38
	s_delay_alu instid0(VALU_DEP_1) | instskip(NEXT) | instid1(VALU_DEP_1)
	v_and_b32_e32 v34, 0x1fffffe, v1
	v_cmp_ne_u32_e32 vcc_lo, v1, v34
	v_lshl_or_b32 v34, v34, 8, v0
	s_or_not1_b32 s5, vcc_lo, exec_lo
.LBB36_166:
	s_or_b32 exec_lo, exec_lo, s4
	s_delay_alu instid0(SALU_CYCLE_1) | instskip(SKIP_1) | instid1(SALU_CYCLE_1)
	s_and_not1_b32 s1, s1, exec_lo
	s_and_b32 s4, s5, exec_lo
	s_or_b32 s1, s1, s4
.LBB36_167:
	s_or_b32 exec_lo, exec_lo, s3
	s_and_saveexec_b32 s3, s1
	s_cbranch_execz .LBB36_170
; %bb.168:
	v_lshlrev_b32_e32 v1, 2, v34
	s_mov_b32 s1, 0
.LBB36_169:                             ; =>This Inner Loop Header: Depth=1
	ds_load_b32 v35, v1
	v_readfirstlane_b32 s4, v32
	v_readfirstlane_b32 s5, v33
	v_add_nc_u32_e32 v1, 0x400, v1
	s_wait_dscnt 0x0
	global_store_b32 v34, v35, s[4:5] scale_offset
	s_wait_xcnt 0x0
	v_add_nc_u32_e32 v34, 0x100, v34
	s_delay_alu instid0(VALU_DEP_1) | instskip(SKIP_1) | instid1(SALU_CYCLE_1)
	v_cmp_ge_u32_e32 vcc_lo, v34, v54
	s_or_b32 s1, vcc_lo, s1
	s_and_not1_b32 exec_lo, exec_lo, s1
	s_cbranch_execnz .LBB36_169
.LBB36_170:
	s_or_b32 exec_lo, exec_lo, s3
.LBB36_171:
	s_delay_alu instid0(SALU_CYCLE_1)
	s_and_b32 vcc_lo, exec_lo, s0
	s_mov_b32 s0, -1
	s_wait_storecnt 0x0
	s_barrier_signal -1
	s_barrier_wait -1
	s_cbranch_vccnz .LBB36_175
; %bb.172:
	s_and_b32 vcc_lo, exec_lo, s0
	s_cbranch_vccnz .LBB36_202
.LBB36_173:
	s_and_b32 s0, s2, s26
	s_delay_alu instid0(SALU_CYCLE_1)
	s_and_saveexec_b32 s1, s0
	s_cbranch_execnz .LBB36_243
.LBB36_174:
	s_sendmsg sendmsg(MSG_DEALLOC_VGPRS)
	s_endpgm
.LBB36_175:
	v_cmp_lt_u32_e32 vcc_lo, v2, v51
	v_add_nc_u64_e32 v[32:33], s[30:31], v[16:17]
	v_cmp_eq_u32_e64 s0, 1, v15
	s_or_b32 s1, s27, vcc_lo
	s_delay_alu instid0(SALU_CYCLE_1) | instskip(NEXT) | instid1(SALU_CYCLE_1)
	s_and_b32 s1, s1, s0
	s_and_saveexec_b32 s0, s1
	s_cbranch_execz .LBB36_177
; %bb.176:
	v_readfirstlane_b32 s4, v32
	v_readfirstlane_b32 s5, v33
	global_store_b32 v2, v30, s[4:5] scale_offset
.LBB36_177:
	s_wait_xcnt 0x0
	s_or_b32 exec_lo, exec_lo, s0
	v_and_b32_e32 v1, 1, v65
	v_cmp_lt_u32_e32 vcc_lo, v3, v51
	s_delay_alu instid0(VALU_DEP_2) | instskip(SKIP_1) | instid1(SALU_CYCLE_1)
	v_cmp_eq_u32_e64 s0, 1, v1
	s_or_b32 s1, s27, vcc_lo
	s_and_b32 s1, s1, s0
	s_delay_alu instid0(SALU_CYCLE_1)
	s_and_saveexec_b32 s0, s1
	s_cbranch_execz .LBB36_179
; %bb.178:
	v_readfirstlane_b32 s4, v32
	v_readfirstlane_b32 s5, v33
	global_store_b32 v3, v31, s[4:5] scale_offset
.LBB36_179:
	s_wait_xcnt 0x0
	s_or_b32 exec_lo, exec_lo, s0
	v_and_b32_e32 v1, 1, v63
	v_cmp_lt_u32_e32 vcc_lo, v4, v51
	s_delay_alu instid0(VALU_DEP_2) | instskip(SKIP_1) | instid1(SALU_CYCLE_1)
	v_cmp_eq_u32_e64 s0, 1, v1
	s_or_b32 s1, s27, vcc_lo
	s_and_b32 s1, s1, s0
	s_delay_alu instid0(SALU_CYCLE_1)
	;; [unrolled: 16-line block ×12, first 2 shown]
	s_and_saveexec_b32 s0, s1
	s_cbranch_execz .LBB36_201
; %bb.200:
	v_readfirstlane_b32 s4, v32
	v_readfirstlane_b32 s5, v33
	global_store_b32 v14, v58, s[4:5] scale_offset
.LBB36_201:
	s_wait_xcnt 0x0
	s_or_b32 exec_lo, exec_lo, s0
	s_branch .LBB36_173
.LBB36_202:
	s_mov_b32 s0, exec_lo
	v_cmpx_eq_u32_e32 1, v15
; %bb.203:
	v_sub_nc_u32_e32 v1, v2, v42
	s_delay_alu instid0(VALU_DEP_1)
	v_lshlrev_b32_e32 v1, 2, v1
	ds_store_b32 v1, v30
; %bb.204:
	s_or_b32 exec_lo, exec_lo, s0
	v_and_b32_e32 v1, 1, v65
	s_mov_b32 s0, exec_lo
	s_delay_alu instid0(VALU_DEP_1)
	v_cmpx_eq_u32_e32 1, v1
; %bb.205:
	v_sub_nc_u32_e32 v1, v3, v42
	s_delay_alu instid0(VALU_DEP_1)
	v_lshlrev_b32_e32 v1, 2, v1
	ds_store_b32 v1, v31
; %bb.206:
	s_or_b32 exec_lo, exec_lo, s0
	v_and_b32_e32 v1, 1, v63
	s_mov_b32 s0, exec_lo
	s_delay_alu instid0(VALU_DEP_1)
	v_cmpx_eq_u32_e32 1, v1
; %bb.207:
	v_sub_nc_u32_e32 v1, v4, v42
	s_delay_alu instid0(VALU_DEP_1)
	v_lshlrev_b32_e32 v1, 2, v1
	ds_store_b32 v1, v28
; %bb.208:
	s_or_b32 exec_lo, exec_lo, s0
	v_and_b32_e32 v1, 1, v52
	s_mov_b32 s0, exec_lo
	s_delay_alu instid0(VALU_DEP_1)
	v_cmpx_eq_u32_e32 1, v1
; %bb.209:
	v_sub_nc_u32_e32 v1, v5, v42
	s_delay_alu instid0(VALU_DEP_1)
	v_lshlrev_b32_e32 v1, 2, v1
	ds_store_b32 v1, v29
; %bb.210:
	s_or_b32 exec_lo, exec_lo, s0
	v_and_b32_e32 v1, 1, v39
	s_mov_b32 s0, exec_lo
	s_delay_alu instid0(VALU_DEP_1)
	v_cmpx_eq_u32_e32 1, v1
; %bb.211:
	v_sub_nc_u32_e32 v1, v6, v42
	s_delay_alu instid0(VALU_DEP_1)
	v_lshlrev_b32_e32 v1, 2, v1
	ds_store_b32 v1, v26
; %bb.212:
	s_or_b32 exec_lo, exec_lo, s0
	v_and_b32_e32 v1, 1, v64
	s_mov_b32 s0, exec_lo
	s_delay_alu instid0(VALU_DEP_1)
	v_cmpx_eq_u32_e32 1, v1
; %bb.213:
	v_sub_nc_u32_e32 v1, v7, v42
	s_delay_alu instid0(VALU_DEP_1)
	v_lshlrev_b32_e32 v1, 2, v1
	ds_store_b32 v1, v27
; %bb.214:
	s_or_b32 exec_lo, exec_lo, s0
	v_and_b32_e32 v1, 1, v61
	s_mov_b32 s0, exec_lo
	s_delay_alu instid0(VALU_DEP_1)
	v_cmpx_eq_u32_e32 1, v1
; %bb.215:
	v_sub_nc_u32_e32 v1, v8, v42
	s_delay_alu instid0(VALU_DEP_1)
	v_lshlrev_b32_e32 v1, 2, v1
	ds_store_b32 v1, v24
; %bb.216:
	s_or_b32 exec_lo, exec_lo, s0
	v_and_b32_e32 v1, 1, v62
	s_mov_b32 s0, exec_lo
	s_delay_alu instid0(VALU_DEP_1)
	v_cmpx_eq_u32_e32 1, v1
; %bb.217:
	v_sub_nc_u32_e32 v1, v9, v42
	s_delay_alu instid0(VALU_DEP_1)
	v_lshlrev_b32_e32 v1, 2, v1
	ds_store_b32 v1, v25
; %bb.218:
	s_or_b32 exec_lo, exec_lo, s0
	v_and_b32_e32 v1, 1, v50
	s_mov_b32 s0, exec_lo
	s_delay_alu instid0(VALU_DEP_1)
	v_cmpx_eq_u32_e32 1, v1
; %bb.219:
	v_sub_nc_u32_e32 v1, v10, v42
	s_delay_alu instid0(VALU_DEP_1)
	v_lshlrev_b32_e32 v1, 2, v1
	ds_store_b32 v1, v22
; %bb.220:
	s_or_b32 exec_lo, exec_lo, s0
	v_and_b32_e32 v1, 1, v47
	s_mov_b32 s0, exec_lo
	s_delay_alu instid0(VALU_DEP_1)
	v_cmpx_eq_u32_e32 1, v1
; %bb.221:
	v_sub_nc_u32_e32 v1, v11, v42
	s_delay_alu instid0(VALU_DEP_1)
	v_lshlrev_b32_e32 v1, 2, v1
	ds_store_b32 v1, v23
; %bb.222:
	s_or_b32 exec_lo, exec_lo, s0
	v_and_b32_e32 v1, 1, v60
	s_mov_b32 s0, exec_lo
	s_delay_alu instid0(VALU_DEP_1)
	v_cmpx_eq_u32_e32 1, v1
; %bb.223:
	v_sub_nc_u32_e32 v1, v12, v42
	s_delay_alu instid0(VALU_DEP_1)
	v_lshlrev_b32_e32 v1, 2, v1
	ds_store_b32 v1, v20
; %bb.224:
	s_or_b32 exec_lo, exec_lo, s0
	v_and_b32_e32 v1, 1, v46
	s_mov_b32 s0, exec_lo
	s_delay_alu instid0(VALU_DEP_1)
	v_cmpx_eq_u32_e32 1, v1
; %bb.225:
	v_sub_nc_u32_e32 v1, v13, v42
	s_delay_alu instid0(VALU_DEP_1)
	v_lshlrev_b32_e32 v1, 2, v1
	ds_store_b32 v1, v21
; %bb.226:
	s_or_b32 exec_lo, exec_lo, s0
	v_and_b32_e32 v1, 1, v59
	s_mov_b32 s0, exec_lo
	s_delay_alu instid0(VALU_DEP_1)
	v_cmpx_eq_u32_e32 1, v1
; %bb.227:
	v_sub_nc_u32_e32 v1, v14, v42
	s_delay_alu instid0(VALU_DEP_1)
	v_lshlrev_b32_e32 v1, 2, v1
	ds_store_b32 v1, v58
; %bb.228:
	s_or_b32 exec_lo, exec_lo, s0
	v_or_b32_e32 v1, 0x100, v0
	v_mov_b32_e32 v43, 0
	v_add_nc_u64_e32 v[2:3], s[30:31], v[16:17]
	s_mov_b32 s4, -1
	s_mov_b32 s1, exec_lo
	v_max_u32_e32 v5, v54, v1
	v_lshlrev_b64_e32 v[6:7], 2, v[42:43]
	s_wait_storecnt_dscnt 0x0
	s_barrier_signal -1
	s_barrier_wait -1
	v_xad_u32 v4, v0, -1, v5
	s_delay_alu instid0(VALU_DEP_2) | instskip(NEXT) | instid1(VALU_DEP_2)
	v_add_nc_u64_e32 v[2:3], v[2:3], v[6:7]
	v_cmp_gt_u32_e64 s0, 0x1b00, v4
	v_cmpx_lt_u32_e32 0x1aff, v4
	s_cbranch_execz .LBB36_239
; %bb.229:
	v_sub_nc_u32_e32 v5, v0, v5
	s_mov_b32 s3, exec_lo
	s_delay_alu instid0(VALU_DEP_1) | instskip(NEXT) | instid1(VALU_DEP_1)
	v_or_b32_e32 v5, 0xff, v5
	v_cmpx_ge_u32_e64 v5, v0
	s_cbranch_execz .LBB36_238
; %bb.230:
	v_dual_mov_b32 v13, 0 :: v_dual_lshrrev_b32 v8, 8, v4
	s_delay_alu instid0(VALU_DEP_1) | instskip(NEXT) | instid1(VALU_DEP_1)
	v_add_nc_u32_e32 v4, -1, v8
	v_lshrrev_b32_e32 v5, 1, v4
	v_lshlrev_b32_e32 v9, 2, v0
	v_cmp_lt_u32_e32 vcc_lo, 13, v4
	s_delay_alu instid0(VALU_DEP_3)
	v_add_nc_u32_e32 v10, 1, v5
	v_mov_b64_e32 v[4:5], v[0:1]
	s_and_saveexec_b32 s4, vcc_lo
	s_cbranch_execz .LBB36_234
; %bb.231:
	v_mov_b64_e32 v[4:5], v[0:1]
	v_dual_mov_b32 v7, 0 :: v_dual_bitop2_b32 v11, -8, v10 bitop3:0x40
	v_mov_b32_e32 v12, v9
	s_mov_b32 s5, 0
	s_mov_b32 s6, 0
.LBB36_232:                             ; =>This Inner Loop Header: Depth=1
	s_delay_alu instid0(VALU_DEP_2)
	v_dual_mov_b32 v6, v4 :: v_dual_mov_b32 v17, v7
	ds_load_2addr_stride64_b32 v[14:15], v12 offset1:4
	v_add_nc_u32_e32 v11, -8, v11
	ds_load_2addr_stride64_b32 v[20:21], v12 offset0:8 offset1:12
	v_lshl_add_u64 v[48:49], v[6:7], 2, v[2:3]
	v_mov_b32_e32 v6, v5
	ds_load_2addr_stride64_b32 v[24:25], v12 offset0:16 offset1:20
	ds_load_2addr_stride64_b32 v[28:29], v12 offset0:24 offset1:28
	v_dual_mov_b32 v23, v7 :: v_dual_add_nc_u32 v16, 0x200, v5
	v_lshl_add_u64 v[50:51], v[6:7], 2, v[2:3]
	v_add_nc_u32_e32 v6, 0x200, v4
	ds_load_2addr_stride64_b32 v[32:33], v12 offset0:32 offset1:36
	v_lshl_add_u64 v[16:17], v[16:17], 2, v[2:3]
	ds_load_2addr_stride64_b32 v[36:37], v12 offset0:40 offset1:44
	ds_load_2addr_stride64_b32 v[40:41], v12 offset0:48 offset1:52
	v_lshl_add_u64 v[52:53], v[6:7], 2, v[2:3]
	v_add_nc_u32_e32 v6, 0x400, v4
	ds_load_2addr_stride64_b32 v[46:47], v12 offset0:56 offset1:60
	s_wait_dscnt 0x7
	s_clause 0x1
	global_store_b32 v[48:49], v14, off
	global_store_b32 v[50:51], v15, off
	s_wait_dscnt 0x6
	s_clause 0x1
	global_store_b32 v[52:53], v20, off
	global_store_b32 v[16:17], v21, off
	v_lshl_add_u64 v[56:57], v[6:7], 2, v[2:3]
	v_add_nc_u32_e32 v6, 0x600, v4
	v_dual_mov_b32 v27, v7 :: v_dual_add_nc_u32 v22, 0x400, v5
	v_dual_mov_b32 v31, v7 :: v_dual_add_nc_u32 v26, 0x600, v5
	s_wait_xcnt 0x2
	s_delay_alu instid0(VALU_DEP_3)
	v_lshl_add_u64 v[14:15], v[6:7], 2, v[2:3]
	v_add_nc_u32_e32 v6, 0x800, v4
	v_lshl_add_u64 v[22:23], v[22:23], 2, v[2:3]
	v_dual_mov_b32 v35, v7 :: v_dual_add_nc_u32 v30, 0x800, v5
	v_lshl_add_u64 v[26:27], v[26:27], 2, v[2:3]
	s_wait_xcnt 0x0
	v_lshl_add_u64 v[16:17], v[6:7], 2, v[2:3]
	v_add_nc_u32_e32 v6, 0xa00, v4
	s_wait_dscnt 0x5
	s_clause 0x1
	global_store_b32 v[56:57], v24, off
	global_store_b32 v[22:23], v25, off
	s_wait_dscnt 0x4
	global_store_b32 v[14:15], v28, off
	v_dual_mov_b32 v39, v7 :: v_dual_add_nc_u32 v34, 0xa00, v5
	s_wait_xcnt 0x0
	v_lshl_add_u64 v[14:15], v[6:7], 2, v[2:3]
	v_add_nc_u32_e32 v6, 0xc00, v4
	v_dual_mov_b32 v45, v7 :: v_dual_add_nc_u32 v38, 0xc00, v5
	v_lshl_add_u64 v[30:31], v[30:31], 2, v[2:3]
	global_store_b32 v[26:27], v29, off
	s_wait_dscnt 0x3
	global_store_b32 v[16:17], v32, off
	s_wait_xcnt 0x0
	v_lshl_add_u64 v[16:17], v[6:7], 2, v[2:3]
	v_add_nc_u32_e32 v6, 0xe00, v4
	s_add_co_i32 s6, s6, 16
	s_delay_alu instid0(SALU_CYCLE_1)
	v_dual_mov_b32 v13, s6 :: v_dual_add_nc_u32 v44, 0xe00, v5
	v_cmp_eq_u32_e32 vcc_lo, 0, v11
	v_lshl_add_u64 v[34:35], v[34:35], 2, v[2:3]
	v_add_nc_u32_e32 v12, 0x4000, v12
	v_add_nc_u32_e32 v5, 0x1000, v5
	;; [unrolled: 1-line block ×3, first 2 shown]
	v_lshl_add_u64 v[38:39], v[38:39], 2, v[2:3]
	global_store_b32 v[30:31], v33, off
	s_wait_dscnt 0x2
	s_clause 0x1
	global_store_b32 v[14:15], v36, off
	global_store_b32 v[34:35], v37, off
	s_wait_xcnt 0x1
	v_lshl_add_u64 v[14:15], v[6:7], 2, v[2:3]
	v_lshl_add_u64 v[44:45], v[44:45], 2, v[2:3]
	s_or_b32 s5, vcc_lo, s5
	s_wait_dscnt 0x1
	s_clause 0x1
	global_store_b32 v[16:17], v40, off
	global_store_b32 v[38:39], v41, off
	s_wait_dscnt 0x0
	s_clause 0x1
	global_store_b32 v[14:15], v46, off
	global_store_b32 v[44:45], v47, off
	s_wait_xcnt 0x0
	s_and_not1_b32 exec_lo, exec_lo, s5
	s_cbranch_execnz .LBB36_232
; %bb.233:
	s_or_b32 exec_lo, exec_lo, s5
.LBB36_234:
	s_delay_alu instid0(SALU_CYCLE_1) | instskip(SKIP_3) | instid1(VALU_DEP_1)
	s_or_b32 exec_lo, exec_lo, s4
	v_and_b32_e32 v1, 7, v10
	s_mov_b32 s5, 0
	s_mov_b32 s4, exec_lo
	v_cmpx_ne_u32_e32 0, v1
	s_cbranch_execz .LBB36_237
; %bb.235:
	v_lshl_or_b32 v9, v13, 10, v9
	v_mov_b32_e32 v7, 0
.LBB36_236:                             ; =>This Inner Loop Header: Depth=1
	ds_load_2addr_stride64_b32 v[10:11], v9 offset1:4
	v_dual_mov_b32 v6, v4 :: v_dual_add_nc_u32 v1, -1, v1
	v_add_nc_u32_e32 v4, 0x200, v4
	v_add_nc_u32_e32 v9, 0x800, v9
	s_delay_alu instid0(VALU_DEP_3) | instskip(SKIP_3) | instid1(VALU_DEP_3)
	v_lshl_add_u64 v[12:13], v[6:7], 2, v[2:3]
	v_mov_b32_e32 v6, v5
	v_cmp_eq_u32_e32 vcc_lo, 0, v1
	v_add_nc_u32_e32 v5, 0x200, v5
	v_lshl_add_u64 v[14:15], v[6:7], 2, v[2:3]
	s_or_b32 s5, vcc_lo, s5
	s_wait_dscnt 0x0
	s_clause 0x1
	global_store_b32 v[12:13], v10, off
	global_store_b32 v[14:15], v11, off
	s_wait_xcnt 0x0
	s_and_not1_b32 exec_lo, exec_lo, s5
	s_cbranch_execnz .LBB36_236
.LBB36_237:
	s_or_b32 exec_lo, exec_lo, s4
	v_add_nc_u32_e32 v1, 1, v8
	s_delay_alu instid0(VALU_DEP_1) | instskip(NEXT) | instid1(VALU_DEP_1)
	v_and_b32_e32 v4, 0x1fffffe, v1
	v_cmp_ne_u32_e32 vcc_lo, v1, v4
	v_lshl_or_b32 v0, v4, 8, v0
	s_or_not1_b32 s4, vcc_lo, exec_lo
.LBB36_238:
	s_or_b32 exec_lo, exec_lo, s3
	s_delay_alu instid0(SALU_CYCLE_1) | instskip(SKIP_1) | instid1(SALU_CYCLE_1)
	s_and_not1_b32 s0, s0, exec_lo
	s_and_b32 s3, s4, exec_lo
	s_or_b32 s0, s0, s3
.LBB36_239:
	s_or_b32 exec_lo, exec_lo, s1
	s_and_saveexec_b32 s1, s0
	s_cbranch_execz .LBB36_242
; %bb.240:
	v_lshlrev_b32_e32 v1, 2, v0
	s_mov_b32 s0, 0
.LBB36_241:                             ; =>This Inner Loop Header: Depth=1
	ds_load_b32 v4, v1
	v_readfirstlane_b32 s4, v2
	v_readfirstlane_b32 s5, v3
	v_add_nc_u32_e32 v1, 0x400, v1
	s_wait_dscnt 0x0
	global_store_b32 v0, v4, s[4:5] scale_offset
	s_wait_xcnt 0x0
	v_add_nc_u32_e32 v0, 0x100, v0
	s_delay_alu instid0(VALU_DEP_1) | instskip(SKIP_1) | instid1(SALU_CYCLE_1)
	v_cmp_ge_u32_e32 vcc_lo, v0, v54
	s_or_b32 s0, vcc_lo, s0
	s_and_not1_b32 exec_lo, exec_lo, s0
	s_cbranch_execnz .LBB36_241
.LBB36_242:
	s_or_b32 exec_lo, exec_lo, s1
	s_and_b32 s0, s2, s26
	s_delay_alu instid0(SALU_CYCLE_1)
	s_and_saveexec_b32 s1, s0
	s_cbranch_execz .LBB36_174
.LBB36_243:
	v_mov_b32_e32 v55, 0
	s_delay_alu instid0(VALU_DEP_1) | instskip(SKIP_1) | instid1(VALU_DEP_1)
	v_add_nc_u64_e32 v[0:1], v[18:19], v[54:55]
	v_mov_b32_e32 v43, v55
	v_add_nc_u64_e32 v[0:1], v[0:1], v[42:43]
	global_store_b64 v55, v[0:1], s[24:25]
	s_sendmsg sendmsg(MSG_DEALLOC_VGPRS)
	s_endpgm
	.section	.rodata,"a",@progbits
	.p2align	6, 0x0
	.amdhsa_kernel _ZN7rocprim17ROCPRIM_400000_NS6detail17trampoline_kernelINS0_14default_configENS1_25partition_config_selectorILNS1_17partition_subalgoE9EiibEEZZNS1_14partition_implILS5_9ELb0ES3_jPKiN6thrust23THRUST_200600_302600_NS17counting_iteratorIiNSB_11use_defaultESD_SD_EEPNS0_10empty_typeENS0_5tupleIJPiSF_EEENSH_IJSI_SG_EEENS0_18inequality_wrapperIN6hipcub16HIPCUB_304000_NS8EqualityEEEPlJSF_EEE10hipError_tPvRmT3_T4_T5_T6_T7_T9_mT8_P12ihipStream_tbDpT10_ENKUlT_T0_E_clISt17integral_constantIbLb0EES19_IbLb1EEEEDaS15_S16_EUlS15_E_NS1_11comp_targetILNS1_3genE0ELNS1_11target_archE4294967295ELNS1_3gpuE0ELNS1_3repE0EEENS1_30default_config_static_selectorELNS0_4arch9wavefront6targetE0EEEvT1_
		.amdhsa_group_segment_fixed_size 13320
		.amdhsa_private_segment_fixed_size 0
		.amdhsa_kernarg_size 128
		.amdhsa_user_sgpr_count 2
		.amdhsa_user_sgpr_dispatch_ptr 0
		.amdhsa_user_sgpr_queue_ptr 0
		.amdhsa_user_sgpr_kernarg_segment_ptr 1
		.amdhsa_user_sgpr_dispatch_id 0
		.amdhsa_user_sgpr_kernarg_preload_length 0
		.amdhsa_user_sgpr_kernarg_preload_offset 0
		.amdhsa_user_sgpr_private_segment_size 0
		.amdhsa_wavefront_size32 1
		.amdhsa_uses_dynamic_stack 0
		.amdhsa_enable_private_segment 0
		.amdhsa_system_sgpr_workgroup_id_x 1
		.amdhsa_system_sgpr_workgroup_id_y 0
		.amdhsa_system_sgpr_workgroup_id_z 0
		.amdhsa_system_sgpr_workgroup_info 0
		.amdhsa_system_vgpr_workitem_id 0
		.amdhsa_next_free_vgpr 100
		.amdhsa_next_free_sgpr 37
		.amdhsa_named_barrier_count 0
		.amdhsa_reserve_vcc 1
		.amdhsa_float_round_mode_32 0
		.amdhsa_float_round_mode_16_64 0
		.amdhsa_float_denorm_mode_32 3
		.amdhsa_float_denorm_mode_16_64 3
		.amdhsa_fp16_overflow 0
		.amdhsa_memory_ordered 1
		.amdhsa_forward_progress 1
		.amdhsa_inst_pref_size 100
		.amdhsa_round_robin_scheduling 0
		.amdhsa_exception_fp_ieee_invalid_op 0
		.amdhsa_exception_fp_denorm_src 0
		.amdhsa_exception_fp_ieee_div_zero 0
		.amdhsa_exception_fp_ieee_overflow 0
		.amdhsa_exception_fp_ieee_underflow 0
		.amdhsa_exception_fp_ieee_inexact 0
		.amdhsa_exception_int_div_zero 0
	.end_amdhsa_kernel
	.section	.text._ZN7rocprim17ROCPRIM_400000_NS6detail17trampoline_kernelINS0_14default_configENS1_25partition_config_selectorILNS1_17partition_subalgoE9EiibEEZZNS1_14partition_implILS5_9ELb0ES3_jPKiN6thrust23THRUST_200600_302600_NS17counting_iteratorIiNSB_11use_defaultESD_SD_EEPNS0_10empty_typeENS0_5tupleIJPiSF_EEENSH_IJSI_SG_EEENS0_18inequality_wrapperIN6hipcub16HIPCUB_304000_NS8EqualityEEEPlJSF_EEE10hipError_tPvRmT3_T4_T5_T6_T7_T9_mT8_P12ihipStream_tbDpT10_ENKUlT_T0_E_clISt17integral_constantIbLb0EES19_IbLb1EEEEDaS15_S16_EUlS15_E_NS1_11comp_targetILNS1_3genE0ELNS1_11target_archE4294967295ELNS1_3gpuE0ELNS1_3repE0EEENS1_30default_config_static_selectorELNS0_4arch9wavefront6targetE0EEEvT1_,"axG",@progbits,_ZN7rocprim17ROCPRIM_400000_NS6detail17trampoline_kernelINS0_14default_configENS1_25partition_config_selectorILNS1_17partition_subalgoE9EiibEEZZNS1_14partition_implILS5_9ELb0ES3_jPKiN6thrust23THRUST_200600_302600_NS17counting_iteratorIiNSB_11use_defaultESD_SD_EEPNS0_10empty_typeENS0_5tupleIJPiSF_EEENSH_IJSI_SG_EEENS0_18inequality_wrapperIN6hipcub16HIPCUB_304000_NS8EqualityEEEPlJSF_EEE10hipError_tPvRmT3_T4_T5_T6_T7_T9_mT8_P12ihipStream_tbDpT10_ENKUlT_T0_E_clISt17integral_constantIbLb0EES19_IbLb1EEEEDaS15_S16_EUlS15_E_NS1_11comp_targetILNS1_3genE0ELNS1_11target_archE4294967295ELNS1_3gpuE0ELNS1_3repE0EEENS1_30default_config_static_selectorELNS0_4arch9wavefront6targetE0EEEvT1_,comdat
.Lfunc_end36:
	.size	_ZN7rocprim17ROCPRIM_400000_NS6detail17trampoline_kernelINS0_14default_configENS1_25partition_config_selectorILNS1_17partition_subalgoE9EiibEEZZNS1_14partition_implILS5_9ELb0ES3_jPKiN6thrust23THRUST_200600_302600_NS17counting_iteratorIiNSB_11use_defaultESD_SD_EEPNS0_10empty_typeENS0_5tupleIJPiSF_EEENSH_IJSI_SG_EEENS0_18inequality_wrapperIN6hipcub16HIPCUB_304000_NS8EqualityEEEPlJSF_EEE10hipError_tPvRmT3_T4_T5_T6_T7_T9_mT8_P12ihipStream_tbDpT10_ENKUlT_T0_E_clISt17integral_constantIbLb0EES19_IbLb1EEEEDaS15_S16_EUlS15_E_NS1_11comp_targetILNS1_3genE0ELNS1_11target_archE4294967295ELNS1_3gpuE0ELNS1_3repE0EEENS1_30default_config_static_selectorELNS0_4arch9wavefront6targetE0EEEvT1_, .Lfunc_end36-_ZN7rocprim17ROCPRIM_400000_NS6detail17trampoline_kernelINS0_14default_configENS1_25partition_config_selectorILNS1_17partition_subalgoE9EiibEEZZNS1_14partition_implILS5_9ELb0ES3_jPKiN6thrust23THRUST_200600_302600_NS17counting_iteratorIiNSB_11use_defaultESD_SD_EEPNS0_10empty_typeENS0_5tupleIJPiSF_EEENSH_IJSI_SG_EEENS0_18inequality_wrapperIN6hipcub16HIPCUB_304000_NS8EqualityEEEPlJSF_EEE10hipError_tPvRmT3_T4_T5_T6_T7_T9_mT8_P12ihipStream_tbDpT10_ENKUlT_T0_E_clISt17integral_constantIbLb0EES19_IbLb1EEEEDaS15_S16_EUlS15_E_NS1_11comp_targetILNS1_3genE0ELNS1_11target_archE4294967295ELNS1_3gpuE0ELNS1_3repE0EEENS1_30default_config_static_selectorELNS0_4arch9wavefront6targetE0EEEvT1_
                                        ; -- End function
	.set _ZN7rocprim17ROCPRIM_400000_NS6detail17trampoline_kernelINS0_14default_configENS1_25partition_config_selectorILNS1_17partition_subalgoE9EiibEEZZNS1_14partition_implILS5_9ELb0ES3_jPKiN6thrust23THRUST_200600_302600_NS17counting_iteratorIiNSB_11use_defaultESD_SD_EEPNS0_10empty_typeENS0_5tupleIJPiSF_EEENSH_IJSI_SG_EEENS0_18inequality_wrapperIN6hipcub16HIPCUB_304000_NS8EqualityEEEPlJSF_EEE10hipError_tPvRmT3_T4_T5_T6_T7_T9_mT8_P12ihipStream_tbDpT10_ENKUlT_T0_E_clISt17integral_constantIbLb0EES19_IbLb1EEEEDaS15_S16_EUlS15_E_NS1_11comp_targetILNS1_3genE0ELNS1_11target_archE4294967295ELNS1_3gpuE0ELNS1_3repE0EEENS1_30default_config_static_selectorELNS0_4arch9wavefront6targetE0EEEvT1_.num_vgpr, 100
	.set _ZN7rocprim17ROCPRIM_400000_NS6detail17trampoline_kernelINS0_14default_configENS1_25partition_config_selectorILNS1_17partition_subalgoE9EiibEEZZNS1_14partition_implILS5_9ELb0ES3_jPKiN6thrust23THRUST_200600_302600_NS17counting_iteratorIiNSB_11use_defaultESD_SD_EEPNS0_10empty_typeENS0_5tupleIJPiSF_EEENSH_IJSI_SG_EEENS0_18inequality_wrapperIN6hipcub16HIPCUB_304000_NS8EqualityEEEPlJSF_EEE10hipError_tPvRmT3_T4_T5_T6_T7_T9_mT8_P12ihipStream_tbDpT10_ENKUlT_T0_E_clISt17integral_constantIbLb0EES19_IbLb1EEEEDaS15_S16_EUlS15_E_NS1_11comp_targetILNS1_3genE0ELNS1_11target_archE4294967295ELNS1_3gpuE0ELNS1_3repE0EEENS1_30default_config_static_selectorELNS0_4arch9wavefront6targetE0EEEvT1_.num_agpr, 0
	.set _ZN7rocprim17ROCPRIM_400000_NS6detail17trampoline_kernelINS0_14default_configENS1_25partition_config_selectorILNS1_17partition_subalgoE9EiibEEZZNS1_14partition_implILS5_9ELb0ES3_jPKiN6thrust23THRUST_200600_302600_NS17counting_iteratorIiNSB_11use_defaultESD_SD_EEPNS0_10empty_typeENS0_5tupleIJPiSF_EEENSH_IJSI_SG_EEENS0_18inequality_wrapperIN6hipcub16HIPCUB_304000_NS8EqualityEEEPlJSF_EEE10hipError_tPvRmT3_T4_T5_T6_T7_T9_mT8_P12ihipStream_tbDpT10_ENKUlT_T0_E_clISt17integral_constantIbLb0EES19_IbLb1EEEEDaS15_S16_EUlS15_E_NS1_11comp_targetILNS1_3genE0ELNS1_11target_archE4294967295ELNS1_3gpuE0ELNS1_3repE0EEENS1_30default_config_static_selectorELNS0_4arch9wavefront6targetE0EEEvT1_.numbered_sgpr, 37
	.set _ZN7rocprim17ROCPRIM_400000_NS6detail17trampoline_kernelINS0_14default_configENS1_25partition_config_selectorILNS1_17partition_subalgoE9EiibEEZZNS1_14partition_implILS5_9ELb0ES3_jPKiN6thrust23THRUST_200600_302600_NS17counting_iteratorIiNSB_11use_defaultESD_SD_EEPNS0_10empty_typeENS0_5tupleIJPiSF_EEENSH_IJSI_SG_EEENS0_18inequality_wrapperIN6hipcub16HIPCUB_304000_NS8EqualityEEEPlJSF_EEE10hipError_tPvRmT3_T4_T5_T6_T7_T9_mT8_P12ihipStream_tbDpT10_ENKUlT_T0_E_clISt17integral_constantIbLb0EES19_IbLb1EEEEDaS15_S16_EUlS15_E_NS1_11comp_targetILNS1_3genE0ELNS1_11target_archE4294967295ELNS1_3gpuE0ELNS1_3repE0EEENS1_30default_config_static_selectorELNS0_4arch9wavefront6targetE0EEEvT1_.num_named_barrier, 0
	.set _ZN7rocprim17ROCPRIM_400000_NS6detail17trampoline_kernelINS0_14default_configENS1_25partition_config_selectorILNS1_17partition_subalgoE9EiibEEZZNS1_14partition_implILS5_9ELb0ES3_jPKiN6thrust23THRUST_200600_302600_NS17counting_iteratorIiNSB_11use_defaultESD_SD_EEPNS0_10empty_typeENS0_5tupleIJPiSF_EEENSH_IJSI_SG_EEENS0_18inequality_wrapperIN6hipcub16HIPCUB_304000_NS8EqualityEEEPlJSF_EEE10hipError_tPvRmT3_T4_T5_T6_T7_T9_mT8_P12ihipStream_tbDpT10_ENKUlT_T0_E_clISt17integral_constantIbLb0EES19_IbLb1EEEEDaS15_S16_EUlS15_E_NS1_11comp_targetILNS1_3genE0ELNS1_11target_archE4294967295ELNS1_3gpuE0ELNS1_3repE0EEENS1_30default_config_static_selectorELNS0_4arch9wavefront6targetE0EEEvT1_.private_seg_size, 0
	.set _ZN7rocprim17ROCPRIM_400000_NS6detail17trampoline_kernelINS0_14default_configENS1_25partition_config_selectorILNS1_17partition_subalgoE9EiibEEZZNS1_14partition_implILS5_9ELb0ES3_jPKiN6thrust23THRUST_200600_302600_NS17counting_iteratorIiNSB_11use_defaultESD_SD_EEPNS0_10empty_typeENS0_5tupleIJPiSF_EEENSH_IJSI_SG_EEENS0_18inequality_wrapperIN6hipcub16HIPCUB_304000_NS8EqualityEEEPlJSF_EEE10hipError_tPvRmT3_T4_T5_T6_T7_T9_mT8_P12ihipStream_tbDpT10_ENKUlT_T0_E_clISt17integral_constantIbLb0EES19_IbLb1EEEEDaS15_S16_EUlS15_E_NS1_11comp_targetILNS1_3genE0ELNS1_11target_archE4294967295ELNS1_3gpuE0ELNS1_3repE0EEENS1_30default_config_static_selectorELNS0_4arch9wavefront6targetE0EEEvT1_.uses_vcc, 1
	.set _ZN7rocprim17ROCPRIM_400000_NS6detail17trampoline_kernelINS0_14default_configENS1_25partition_config_selectorILNS1_17partition_subalgoE9EiibEEZZNS1_14partition_implILS5_9ELb0ES3_jPKiN6thrust23THRUST_200600_302600_NS17counting_iteratorIiNSB_11use_defaultESD_SD_EEPNS0_10empty_typeENS0_5tupleIJPiSF_EEENSH_IJSI_SG_EEENS0_18inequality_wrapperIN6hipcub16HIPCUB_304000_NS8EqualityEEEPlJSF_EEE10hipError_tPvRmT3_T4_T5_T6_T7_T9_mT8_P12ihipStream_tbDpT10_ENKUlT_T0_E_clISt17integral_constantIbLb0EES19_IbLb1EEEEDaS15_S16_EUlS15_E_NS1_11comp_targetILNS1_3genE0ELNS1_11target_archE4294967295ELNS1_3gpuE0ELNS1_3repE0EEENS1_30default_config_static_selectorELNS0_4arch9wavefront6targetE0EEEvT1_.uses_flat_scratch, 0
	.set _ZN7rocprim17ROCPRIM_400000_NS6detail17trampoline_kernelINS0_14default_configENS1_25partition_config_selectorILNS1_17partition_subalgoE9EiibEEZZNS1_14partition_implILS5_9ELb0ES3_jPKiN6thrust23THRUST_200600_302600_NS17counting_iteratorIiNSB_11use_defaultESD_SD_EEPNS0_10empty_typeENS0_5tupleIJPiSF_EEENSH_IJSI_SG_EEENS0_18inequality_wrapperIN6hipcub16HIPCUB_304000_NS8EqualityEEEPlJSF_EEE10hipError_tPvRmT3_T4_T5_T6_T7_T9_mT8_P12ihipStream_tbDpT10_ENKUlT_T0_E_clISt17integral_constantIbLb0EES19_IbLb1EEEEDaS15_S16_EUlS15_E_NS1_11comp_targetILNS1_3genE0ELNS1_11target_archE4294967295ELNS1_3gpuE0ELNS1_3repE0EEENS1_30default_config_static_selectorELNS0_4arch9wavefront6targetE0EEEvT1_.has_dyn_sized_stack, 0
	.set _ZN7rocprim17ROCPRIM_400000_NS6detail17trampoline_kernelINS0_14default_configENS1_25partition_config_selectorILNS1_17partition_subalgoE9EiibEEZZNS1_14partition_implILS5_9ELb0ES3_jPKiN6thrust23THRUST_200600_302600_NS17counting_iteratorIiNSB_11use_defaultESD_SD_EEPNS0_10empty_typeENS0_5tupleIJPiSF_EEENSH_IJSI_SG_EEENS0_18inequality_wrapperIN6hipcub16HIPCUB_304000_NS8EqualityEEEPlJSF_EEE10hipError_tPvRmT3_T4_T5_T6_T7_T9_mT8_P12ihipStream_tbDpT10_ENKUlT_T0_E_clISt17integral_constantIbLb0EES19_IbLb1EEEEDaS15_S16_EUlS15_E_NS1_11comp_targetILNS1_3genE0ELNS1_11target_archE4294967295ELNS1_3gpuE0ELNS1_3repE0EEENS1_30default_config_static_selectorELNS0_4arch9wavefront6targetE0EEEvT1_.has_recursion, 0
	.set _ZN7rocprim17ROCPRIM_400000_NS6detail17trampoline_kernelINS0_14default_configENS1_25partition_config_selectorILNS1_17partition_subalgoE9EiibEEZZNS1_14partition_implILS5_9ELb0ES3_jPKiN6thrust23THRUST_200600_302600_NS17counting_iteratorIiNSB_11use_defaultESD_SD_EEPNS0_10empty_typeENS0_5tupleIJPiSF_EEENSH_IJSI_SG_EEENS0_18inequality_wrapperIN6hipcub16HIPCUB_304000_NS8EqualityEEEPlJSF_EEE10hipError_tPvRmT3_T4_T5_T6_T7_T9_mT8_P12ihipStream_tbDpT10_ENKUlT_T0_E_clISt17integral_constantIbLb0EES19_IbLb1EEEEDaS15_S16_EUlS15_E_NS1_11comp_targetILNS1_3genE0ELNS1_11target_archE4294967295ELNS1_3gpuE0ELNS1_3repE0EEENS1_30default_config_static_selectorELNS0_4arch9wavefront6targetE0EEEvT1_.has_indirect_call, 0
	.section	.AMDGPU.csdata,"",@progbits
; Kernel info:
; codeLenInByte = 12768
; TotalNumSgprs: 39
; NumVgprs: 100
; ScratchSize: 0
; MemoryBound: 0
; FloatMode: 240
; IeeeMode: 1
; LDSByteSize: 13320 bytes/workgroup (compile time only)
; SGPRBlocks: 0
; VGPRBlocks: 6
; NumSGPRsForWavesPerEU: 39
; NumVGPRsForWavesPerEU: 100
; NamedBarCnt: 0
; Occupancy: 9
; WaveLimiterHint : 1
; COMPUTE_PGM_RSRC2:SCRATCH_EN: 0
; COMPUTE_PGM_RSRC2:USER_SGPR: 2
; COMPUTE_PGM_RSRC2:TRAP_HANDLER: 0
; COMPUTE_PGM_RSRC2:TGID_X_EN: 1
; COMPUTE_PGM_RSRC2:TGID_Y_EN: 0
; COMPUTE_PGM_RSRC2:TGID_Z_EN: 0
; COMPUTE_PGM_RSRC2:TIDIG_COMP_CNT: 0
	.section	.text._ZN7rocprim17ROCPRIM_400000_NS6detail17trampoline_kernelINS0_14default_configENS1_25partition_config_selectorILNS1_17partition_subalgoE9EiibEEZZNS1_14partition_implILS5_9ELb0ES3_jPKiN6thrust23THRUST_200600_302600_NS17counting_iteratorIiNSB_11use_defaultESD_SD_EEPNS0_10empty_typeENS0_5tupleIJPiSF_EEENSH_IJSI_SG_EEENS0_18inequality_wrapperIN6hipcub16HIPCUB_304000_NS8EqualityEEEPlJSF_EEE10hipError_tPvRmT3_T4_T5_T6_T7_T9_mT8_P12ihipStream_tbDpT10_ENKUlT_T0_E_clISt17integral_constantIbLb0EES19_IbLb1EEEEDaS15_S16_EUlS15_E_NS1_11comp_targetILNS1_3genE5ELNS1_11target_archE942ELNS1_3gpuE9ELNS1_3repE0EEENS1_30default_config_static_selectorELNS0_4arch9wavefront6targetE0EEEvT1_,"axG",@progbits,_ZN7rocprim17ROCPRIM_400000_NS6detail17trampoline_kernelINS0_14default_configENS1_25partition_config_selectorILNS1_17partition_subalgoE9EiibEEZZNS1_14partition_implILS5_9ELb0ES3_jPKiN6thrust23THRUST_200600_302600_NS17counting_iteratorIiNSB_11use_defaultESD_SD_EEPNS0_10empty_typeENS0_5tupleIJPiSF_EEENSH_IJSI_SG_EEENS0_18inequality_wrapperIN6hipcub16HIPCUB_304000_NS8EqualityEEEPlJSF_EEE10hipError_tPvRmT3_T4_T5_T6_T7_T9_mT8_P12ihipStream_tbDpT10_ENKUlT_T0_E_clISt17integral_constantIbLb0EES19_IbLb1EEEEDaS15_S16_EUlS15_E_NS1_11comp_targetILNS1_3genE5ELNS1_11target_archE942ELNS1_3gpuE9ELNS1_3repE0EEENS1_30default_config_static_selectorELNS0_4arch9wavefront6targetE0EEEvT1_,comdat
	.protected	_ZN7rocprim17ROCPRIM_400000_NS6detail17trampoline_kernelINS0_14default_configENS1_25partition_config_selectorILNS1_17partition_subalgoE9EiibEEZZNS1_14partition_implILS5_9ELb0ES3_jPKiN6thrust23THRUST_200600_302600_NS17counting_iteratorIiNSB_11use_defaultESD_SD_EEPNS0_10empty_typeENS0_5tupleIJPiSF_EEENSH_IJSI_SG_EEENS0_18inequality_wrapperIN6hipcub16HIPCUB_304000_NS8EqualityEEEPlJSF_EEE10hipError_tPvRmT3_T4_T5_T6_T7_T9_mT8_P12ihipStream_tbDpT10_ENKUlT_T0_E_clISt17integral_constantIbLb0EES19_IbLb1EEEEDaS15_S16_EUlS15_E_NS1_11comp_targetILNS1_3genE5ELNS1_11target_archE942ELNS1_3gpuE9ELNS1_3repE0EEENS1_30default_config_static_selectorELNS0_4arch9wavefront6targetE0EEEvT1_ ; -- Begin function _ZN7rocprim17ROCPRIM_400000_NS6detail17trampoline_kernelINS0_14default_configENS1_25partition_config_selectorILNS1_17partition_subalgoE9EiibEEZZNS1_14partition_implILS5_9ELb0ES3_jPKiN6thrust23THRUST_200600_302600_NS17counting_iteratorIiNSB_11use_defaultESD_SD_EEPNS0_10empty_typeENS0_5tupleIJPiSF_EEENSH_IJSI_SG_EEENS0_18inequality_wrapperIN6hipcub16HIPCUB_304000_NS8EqualityEEEPlJSF_EEE10hipError_tPvRmT3_T4_T5_T6_T7_T9_mT8_P12ihipStream_tbDpT10_ENKUlT_T0_E_clISt17integral_constantIbLb0EES19_IbLb1EEEEDaS15_S16_EUlS15_E_NS1_11comp_targetILNS1_3genE5ELNS1_11target_archE942ELNS1_3gpuE9ELNS1_3repE0EEENS1_30default_config_static_selectorELNS0_4arch9wavefront6targetE0EEEvT1_
	.globl	_ZN7rocprim17ROCPRIM_400000_NS6detail17trampoline_kernelINS0_14default_configENS1_25partition_config_selectorILNS1_17partition_subalgoE9EiibEEZZNS1_14partition_implILS5_9ELb0ES3_jPKiN6thrust23THRUST_200600_302600_NS17counting_iteratorIiNSB_11use_defaultESD_SD_EEPNS0_10empty_typeENS0_5tupleIJPiSF_EEENSH_IJSI_SG_EEENS0_18inequality_wrapperIN6hipcub16HIPCUB_304000_NS8EqualityEEEPlJSF_EEE10hipError_tPvRmT3_T4_T5_T6_T7_T9_mT8_P12ihipStream_tbDpT10_ENKUlT_T0_E_clISt17integral_constantIbLb0EES19_IbLb1EEEEDaS15_S16_EUlS15_E_NS1_11comp_targetILNS1_3genE5ELNS1_11target_archE942ELNS1_3gpuE9ELNS1_3repE0EEENS1_30default_config_static_selectorELNS0_4arch9wavefront6targetE0EEEvT1_
	.p2align	8
	.type	_ZN7rocprim17ROCPRIM_400000_NS6detail17trampoline_kernelINS0_14default_configENS1_25partition_config_selectorILNS1_17partition_subalgoE9EiibEEZZNS1_14partition_implILS5_9ELb0ES3_jPKiN6thrust23THRUST_200600_302600_NS17counting_iteratorIiNSB_11use_defaultESD_SD_EEPNS0_10empty_typeENS0_5tupleIJPiSF_EEENSH_IJSI_SG_EEENS0_18inequality_wrapperIN6hipcub16HIPCUB_304000_NS8EqualityEEEPlJSF_EEE10hipError_tPvRmT3_T4_T5_T6_T7_T9_mT8_P12ihipStream_tbDpT10_ENKUlT_T0_E_clISt17integral_constantIbLb0EES19_IbLb1EEEEDaS15_S16_EUlS15_E_NS1_11comp_targetILNS1_3genE5ELNS1_11target_archE942ELNS1_3gpuE9ELNS1_3repE0EEENS1_30default_config_static_selectorELNS0_4arch9wavefront6targetE0EEEvT1_,@function
_ZN7rocprim17ROCPRIM_400000_NS6detail17trampoline_kernelINS0_14default_configENS1_25partition_config_selectorILNS1_17partition_subalgoE9EiibEEZZNS1_14partition_implILS5_9ELb0ES3_jPKiN6thrust23THRUST_200600_302600_NS17counting_iteratorIiNSB_11use_defaultESD_SD_EEPNS0_10empty_typeENS0_5tupleIJPiSF_EEENSH_IJSI_SG_EEENS0_18inequality_wrapperIN6hipcub16HIPCUB_304000_NS8EqualityEEEPlJSF_EEE10hipError_tPvRmT3_T4_T5_T6_T7_T9_mT8_P12ihipStream_tbDpT10_ENKUlT_T0_E_clISt17integral_constantIbLb0EES19_IbLb1EEEEDaS15_S16_EUlS15_E_NS1_11comp_targetILNS1_3genE5ELNS1_11target_archE942ELNS1_3gpuE9ELNS1_3repE0EEENS1_30default_config_static_selectorELNS0_4arch9wavefront6targetE0EEEvT1_: ; @_ZN7rocprim17ROCPRIM_400000_NS6detail17trampoline_kernelINS0_14default_configENS1_25partition_config_selectorILNS1_17partition_subalgoE9EiibEEZZNS1_14partition_implILS5_9ELb0ES3_jPKiN6thrust23THRUST_200600_302600_NS17counting_iteratorIiNSB_11use_defaultESD_SD_EEPNS0_10empty_typeENS0_5tupleIJPiSF_EEENSH_IJSI_SG_EEENS0_18inequality_wrapperIN6hipcub16HIPCUB_304000_NS8EqualityEEEPlJSF_EEE10hipError_tPvRmT3_T4_T5_T6_T7_T9_mT8_P12ihipStream_tbDpT10_ENKUlT_T0_E_clISt17integral_constantIbLb0EES19_IbLb1EEEEDaS15_S16_EUlS15_E_NS1_11comp_targetILNS1_3genE5ELNS1_11target_archE942ELNS1_3gpuE9ELNS1_3repE0EEENS1_30default_config_static_selectorELNS0_4arch9wavefront6targetE0EEEvT1_
; %bb.0:
	.section	.rodata,"a",@progbits
	.p2align	6, 0x0
	.amdhsa_kernel _ZN7rocprim17ROCPRIM_400000_NS6detail17trampoline_kernelINS0_14default_configENS1_25partition_config_selectorILNS1_17partition_subalgoE9EiibEEZZNS1_14partition_implILS5_9ELb0ES3_jPKiN6thrust23THRUST_200600_302600_NS17counting_iteratorIiNSB_11use_defaultESD_SD_EEPNS0_10empty_typeENS0_5tupleIJPiSF_EEENSH_IJSI_SG_EEENS0_18inequality_wrapperIN6hipcub16HIPCUB_304000_NS8EqualityEEEPlJSF_EEE10hipError_tPvRmT3_T4_T5_T6_T7_T9_mT8_P12ihipStream_tbDpT10_ENKUlT_T0_E_clISt17integral_constantIbLb0EES19_IbLb1EEEEDaS15_S16_EUlS15_E_NS1_11comp_targetILNS1_3genE5ELNS1_11target_archE942ELNS1_3gpuE9ELNS1_3repE0EEENS1_30default_config_static_selectorELNS0_4arch9wavefront6targetE0EEEvT1_
		.amdhsa_group_segment_fixed_size 0
		.amdhsa_private_segment_fixed_size 0
		.amdhsa_kernarg_size 128
		.amdhsa_user_sgpr_count 2
		.amdhsa_user_sgpr_dispatch_ptr 0
		.amdhsa_user_sgpr_queue_ptr 0
		.amdhsa_user_sgpr_kernarg_segment_ptr 1
		.amdhsa_user_sgpr_dispatch_id 0
		.amdhsa_user_sgpr_kernarg_preload_length 0
		.amdhsa_user_sgpr_kernarg_preload_offset 0
		.amdhsa_user_sgpr_private_segment_size 0
		.amdhsa_wavefront_size32 1
		.amdhsa_uses_dynamic_stack 0
		.amdhsa_enable_private_segment 0
		.amdhsa_system_sgpr_workgroup_id_x 1
		.amdhsa_system_sgpr_workgroup_id_y 0
		.amdhsa_system_sgpr_workgroup_id_z 0
		.amdhsa_system_sgpr_workgroup_info 0
		.amdhsa_system_vgpr_workitem_id 0
		.amdhsa_next_free_vgpr 1
		.amdhsa_next_free_sgpr 1
		.amdhsa_named_barrier_count 0
		.amdhsa_reserve_vcc 0
		.amdhsa_float_round_mode_32 0
		.amdhsa_float_round_mode_16_64 0
		.amdhsa_float_denorm_mode_32 3
		.amdhsa_float_denorm_mode_16_64 3
		.amdhsa_fp16_overflow 0
		.amdhsa_memory_ordered 1
		.amdhsa_forward_progress 1
		.amdhsa_inst_pref_size 0
		.amdhsa_round_robin_scheduling 0
		.amdhsa_exception_fp_ieee_invalid_op 0
		.amdhsa_exception_fp_denorm_src 0
		.amdhsa_exception_fp_ieee_div_zero 0
		.amdhsa_exception_fp_ieee_overflow 0
		.amdhsa_exception_fp_ieee_underflow 0
		.amdhsa_exception_fp_ieee_inexact 0
		.amdhsa_exception_int_div_zero 0
	.end_amdhsa_kernel
	.section	.text._ZN7rocprim17ROCPRIM_400000_NS6detail17trampoline_kernelINS0_14default_configENS1_25partition_config_selectorILNS1_17partition_subalgoE9EiibEEZZNS1_14partition_implILS5_9ELb0ES3_jPKiN6thrust23THRUST_200600_302600_NS17counting_iteratorIiNSB_11use_defaultESD_SD_EEPNS0_10empty_typeENS0_5tupleIJPiSF_EEENSH_IJSI_SG_EEENS0_18inequality_wrapperIN6hipcub16HIPCUB_304000_NS8EqualityEEEPlJSF_EEE10hipError_tPvRmT3_T4_T5_T6_T7_T9_mT8_P12ihipStream_tbDpT10_ENKUlT_T0_E_clISt17integral_constantIbLb0EES19_IbLb1EEEEDaS15_S16_EUlS15_E_NS1_11comp_targetILNS1_3genE5ELNS1_11target_archE942ELNS1_3gpuE9ELNS1_3repE0EEENS1_30default_config_static_selectorELNS0_4arch9wavefront6targetE0EEEvT1_,"axG",@progbits,_ZN7rocprim17ROCPRIM_400000_NS6detail17trampoline_kernelINS0_14default_configENS1_25partition_config_selectorILNS1_17partition_subalgoE9EiibEEZZNS1_14partition_implILS5_9ELb0ES3_jPKiN6thrust23THRUST_200600_302600_NS17counting_iteratorIiNSB_11use_defaultESD_SD_EEPNS0_10empty_typeENS0_5tupleIJPiSF_EEENSH_IJSI_SG_EEENS0_18inequality_wrapperIN6hipcub16HIPCUB_304000_NS8EqualityEEEPlJSF_EEE10hipError_tPvRmT3_T4_T5_T6_T7_T9_mT8_P12ihipStream_tbDpT10_ENKUlT_T0_E_clISt17integral_constantIbLb0EES19_IbLb1EEEEDaS15_S16_EUlS15_E_NS1_11comp_targetILNS1_3genE5ELNS1_11target_archE942ELNS1_3gpuE9ELNS1_3repE0EEENS1_30default_config_static_selectorELNS0_4arch9wavefront6targetE0EEEvT1_,comdat
.Lfunc_end37:
	.size	_ZN7rocprim17ROCPRIM_400000_NS6detail17trampoline_kernelINS0_14default_configENS1_25partition_config_selectorILNS1_17partition_subalgoE9EiibEEZZNS1_14partition_implILS5_9ELb0ES3_jPKiN6thrust23THRUST_200600_302600_NS17counting_iteratorIiNSB_11use_defaultESD_SD_EEPNS0_10empty_typeENS0_5tupleIJPiSF_EEENSH_IJSI_SG_EEENS0_18inequality_wrapperIN6hipcub16HIPCUB_304000_NS8EqualityEEEPlJSF_EEE10hipError_tPvRmT3_T4_T5_T6_T7_T9_mT8_P12ihipStream_tbDpT10_ENKUlT_T0_E_clISt17integral_constantIbLb0EES19_IbLb1EEEEDaS15_S16_EUlS15_E_NS1_11comp_targetILNS1_3genE5ELNS1_11target_archE942ELNS1_3gpuE9ELNS1_3repE0EEENS1_30default_config_static_selectorELNS0_4arch9wavefront6targetE0EEEvT1_, .Lfunc_end37-_ZN7rocprim17ROCPRIM_400000_NS6detail17trampoline_kernelINS0_14default_configENS1_25partition_config_selectorILNS1_17partition_subalgoE9EiibEEZZNS1_14partition_implILS5_9ELb0ES3_jPKiN6thrust23THRUST_200600_302600_NS17counting_iteratorIiNSB_11use_defaultESD_SD_EEPNS0_10empty_typeENS0_5tupleIJPiSF_EEENSH_IJSI_SG_EEENS0_18inequality_wrapperIN6hipcub16HIPCUB_304000_NS8EqualityEEEPlJSF_EEE10hipError_tPvRmT3_T4_T5_T6_T7_T9_mT8_P12ihipStream_tbDpT10_ENKUlT_T0_E_clISt17integral_constantIbLb0EES19_IbLb1EEEEDaS15_S16_EUlS15_E_NS1_11comp_targetILNS1_3genE5ELNS1_11target_archE942ELNS1_3gpuE9ELNS1_3repE0EEENS1_30default_config_static_selectorELNS0_4arch9wavefront6targetE0EEEvT1_
                                        ; -- End function
	.set _ZN7rocprim17ROCPRIM_400000_NS6detail17trampoline_kernelINS0_14default_configENS1_25partition_config_selectorILNS1_17partition_subalgoE9EiibEEZZNS1_14partition_implILS5_9ELb0ES3_jPKiN6thrust23THRUST_200600_302600_NS17counting_iteratorIiNSB_11use_defaultESD_SD_EEPNS0_10empty_typeENS0_5tupleIJPiSF_EEENSH_IJSI_SG_EEENS0_18inequality_wrapperIN6hipcub16HIPCUB_304000_NS8EqualityEEEPlJSF_EEE10hipError_tPvRmT3_T4_T5_T6_T7_T9_mT8_P12ihipStream_tbDpT10_ENKUlT_T0_E_clISt17integral_constantIbLb0EES19_IbLb1EEEEDaS15_S16_EUlS15_E_NS1_11comp_targetILNS1_3genE5ELNS1_11target_archE942ELNS1_3gpuE9ELNS1_3repE0EEENS1_30default_config_static_selectorELNS0_4arch9wavefront6targetE0EEEvT1_.num_vgpr, 0
	.set _ZN7rocprim17ROCPRIM_400000_NS6detail17trampoline_kernelINS0_14default_configENS1_25partition_config_selectorILNS1_17partition_subalgoE9EiibEEZZNS1_14partition_implILS5_9ELb0ES3_jPKiN6thrust23THRUST_200600_302600_NS17counting_iteratorIiNSB_11use_defaultESD_SD_EEPNS0_10empty_typeENS0_5tupleIJPiSF_EEENSH_IJSI_SG_EEENS0_18inequality_wrapperIN6hipcub16HIPCUB_304000_NS8EqualityEEEPlJSF_EEE10hipError_tPvRmT3_T4_T5_T6_T7_T9_mT8_P12ihipStream_tbDpT10_ENKUlT_T0_E_clISt17integral_constantIbLb0EES19_IbLb1EEEEDaS15_S16_EUlS15_E_NS1_11comp_targetILNS1_3genE5ELNS1_11target_archE942ELNS1_3gpuE9ELNS1_3repE0EEENS1_30default_config_static_selectorELNS0_4arch9wavefront6targetE0EEEvT1_.num_agpr, 0
	.set _ZN7rocprim17ROCPRIM_400000_NS6detail17trampoline_kernelINS0_14default_configENS1_25partition_config_selectorILNS1_17partition_subalgoE9EiibEEZZNS1_14partition_implILS5_9ELb0ES3_jPKiN6thrust23THRUST_200600_302600_NS17counting_iteratorIiNSB_11use_defaultESD_SD_EEPNS0_10empty_typeENS0_5tupleIJPiSF_EEENSH_IJSI_SG_EEENS0_18inequality_wrapperIN6hipcub16HIPCUB_304000_NS8EqualityEEEPlJSF_EEE10hipError_tPvRmT3_T4_T5_T6_T7_T9_mT8_P12ihipStream_tbDpT10_ENKUlT_T0_E_clISt17integral_constantIbLb0EES19_IbLb1EEEEDaS15_S16_EUlS15_E_NS1_11comp_targetILNS1_3genE5ELNS1_11target_archE942ELNS1_3gpuE9ELNS1_3repE0EEENS1_30default_config_static_selectorELNS0_4arch9wavefront6targetE0EEEvT1_.numbered_sgpr, 0
	.set _ZN7rocprim17ROCPRIM_400000_NS6detail17trampoline_kernelINS0_14default_configENS1_25partition_config_selectorILNS1_17partition_subalgoE9EiibEEZZNS1_14partition_implILS5_9ELb0ES3_jPKiN6thrust23THRUST_200600_302600_NS17counting_iteratorIiNSB_11use_defaultESD_SD_EEPNS0_10empty_typeENS0_5tupleIJPiSF_EEENSH_IJSI_SG_EEENS0_18inequality_wrapperIN6hipcub16HIPCUB_304000_NS8EqualityEEEPlJSF_EEE10hipError_tPvRmT3_T4_T5_T6_T7_T9_mT8_P12ihipStream_tbDpT10_ENKUlT_T0_E_clISt17integral_constantIbLb0EES19_IbLb1EEEEDaS15_S16_EUlS15_E_NS1_11comp_targetILNS1_3genE5ELNS1_11target_archE942ELNS1_3gpuE9ELNS1_3repE0EEENS1_30default_config_static_selectorELNS0_4arch9wavefront6targetE0EEEvT1_.num_named_barrier, 0
	.set _ZN7rocprim17ROCPRIM_400000_NS6detail17trampoline_kernelINS0_14default_configENS1_25partition_config_selectorILNS1_17partition_subalgoE9EiibEEZZNS1_14partition_implILS5_9ELb0ES3_jPKiN6thrust23THRUST_200600_302600_NS17counting_iteratorIiNSB_11use_defaultESD_SD_EEPNS0_10empty_typeENS0_5tupleIJPiSF_EEENSH_IJSI_SG_EEENS0_18inequality_wrapperIN6hipcub16HIPCUB_304000_NS8EqualityEEEPlJSF_EEE10hipError_tPvRmT3_T4_T5_T6_T7_T9_mT8_P12ihipStream_tbDpT10_ENKUlT_T0_E_clISt17integral_constantIbLb0EES19_IbLb1EEEEDaS15_S16_EUlS15_E_NS1_11comp_targetILNS1_3genE5ELNS1_11target_archE942ELNS1_3gpuE9ELNS1_3repE0EEENS1_30default_config_static_selectorELNS0_4arch9wavefront6targetE0EEEvT1_.private_seg_size, 0
	.set _ZN7rocprim17ROCPRIM_400000_NS6detail17trampoline_kernelINS0_14default_configENS1_25partition_config_selectorILNS1_17partition_subalgoE9EiibEEZZNS1_14partition_implILS5_9ELb0ES3_jPKiN6thrust23THRUST_200600_302600_NS17counting_iteratorIiNSB_11use_defaultESD_SD_EEPNS0_10empty_typeENS0_5tupleIJPiSF_EEENSH_IJSI_SG_EEENS0_18inequality_wrapperIN6hipcub16HIPCUB_304000_NS8EqualityEEEPlJSF_EEE10hipError_tPvRmT3_T4_T5_T6_T7_T9_mT8_P12ihipStream_tbDpT10_ENKUlT_T0_E_clISt17integral_constantIbLb0EES19_IbLb1EEEEDaS15_S16_EUlS15_E_NS1_11comp_targetILNS1_3genE5ELNS1_11target_archE942ELNS1_3gpuE9ELNS1_3repE0EEENS1_30default_config_static_selectorELNS0_4arch9wavefront6targetE0EEEvT1_.uses_vcc, 0
	.set _ZN7rocprim17ROCPRIM_400000_NS6detail17trampoline_kernelINS0_14default_configENS1_25partition_config_selectorILNS1_17partition_subalgoE9EiibEEZZNS1_14partition_implILS5_9ELb0ES3_jPKiN6thrust23THRUST_200600_302600_NS17counting_iteratorIiNSB_11use_defaultESD_SD_EEPNS0_10empty_typeENS0_5tupleIJPiSF_EEENSH_IJSI_SG_EEENS0_18inequality_wrapperIN6hipcub16HIPCUB_304000_NS8EqualityEEEPlJSF_EEE10hipError_tPvRmT3_T4_T5_T6_T7_T9_mT8_P12ihipStream_tbDpT10_ENKUlT_T0_E_clISt17integral_constantIbLb0EES19_IbLb1EEEEDaS15_S16_EUlS15_E_NS1_11comp_targetILNS1_3genE5ELNS1_11target_archE942ELNS1_3gpuE9ELNS1_3repE0EEENS1_30default_config_static_selectorELNS0_4arch9wavefront6targetE0EEEvT1_.uses_flat_scratch, 0
	.set _ZN7rocprim17ROCPRIM_400000_NS6detail17trampoline_kernelINS0_14default_configENS1_25partition_config_selectorILNS1_17partition_subalgoE9EiibEEZZNS1_14partition_implILS5_9ELb0ES3_jPKiN6thrust23THRUST_200600_302600_NS17counting_iteratorIiNSB_11use_defaultESD_SD_EEPNS0_10empty_typeENS0_5tupleIJPiSF_EEENSH_IJSI_SG_EEENS0_18inequality_wrapperIN6hipcub16HIPCUB_304000_NS8EqualityEEEPlJSF_EEE10hipError_tPvRmT3_T4_T5_T6_T7_T9_mT8_P12ihipStream_tbDpT10_ENKUlT_T0_E_clISt17integral_constantIbLb0EES19_IbLb1EEEEDaS15_S16_EUlS15_E_NS1_11comp_targetILNS1_3genE5ELNS1_11target_archE942ELNS1_3gpuE9ELNS1_3repE0EEENS1_30default_config_static_selectorELNS0_4arch9wavefront6targetE0EEEvT1_.has_dyn_sized_stack, 0
	.set _ZN7rocprim17ROCPRIM_400000_NS6detail17trampoline_kernelINS0_14default_configENS1_25partition_config_selectorILNS1_17partition_subalgoE9EiibEEZZNS1_14partition_implILS5_9ELb0ES3_jPKiN6thrust23THRUST_200600_302600_NS17counting_iteratorIiNSB_11use_defaultESD_SD_EEPNS0_10empty_typeENS0_5tupleIJPiSF_EEENSH_IJSI_SG_EEENS0_18inequality_wrapperIN6hipcub16HIPCUB_304000_NS8EqualityEEEPlJSF_EEE10hipError_tPvRmT3_T4_T5_T6_T7_T9_mT8_P12ihipStream_tbDpT10_ENKUlT_T0_E_clISt17integral_constantIbLb0EES19_IbLb1EEEEDaS15_S16_EUlS15_E_NS1_11comp_targetILNS1_3genE5ELNS1_11target_archE942ELNS1_3gpuE9ELNS1_3repE0EEENS1_30default_config_static_selectorELNS0_4arch9wavefront6targetE0EEEvT1_.has_recursion, 0
	.set _ZN7rocprim17ROCPRIM_400000_NS6detail17trampoline_kernelINS0_14default_configENS1_25partition_config_selectorILNS1_17partition_subalgoE9EiibEEZZNS1_14partition_implILS5_9ELb0ES3_jPKiN6thrust23THRUST_200600_302600_NS17counting_iteratorIiNSB_11use_defaultESD_SD_EEPNS0_10empty_typeENS0_5tupleIJPiSF_EEENSH_IJSI_SG_EEENS0_18inequality_wrapperIN6hipcub16HIPCUB_304000_NS8EqualityEEEPlJSF_EEE10hipError_tPvRmT3_T4_T5_T6_T7_T9_mT8_P12ihipStream_tbDpT10_ENKUlT_T0_E_clISt17integral_constantIbLb0EES19_IbLb1EEEEDaS15_S16_EUlS15_E_NS1_11comp_targetILNS1_3genE5ELNS1_11target_archE942ELNS1_3gpuE9ELNS1_3repE0EEENS1_30default_config_static_selectorELNS0_4arch9wavefront6targetE0EEEvT1_.has_indirect_call, 0
	.section	.AMDGPU.csdata,"",@progbits
; Kernel info:
; codeLenInByte = 0
; TotalNumSgprs: 0
; NumVgprs: 0
; ScratchSize: 0
; MemoryBound: 0
; FloatMode: 240
; IeeeMode: 1
; LDSByteSize: 0 bytes/workgroup (compile time only)
; SGPRBlocks: 0
; VGPRBlocks: 0
; NumSGPRsForWavesPerEU: 1
; NumVGPRsForWavesPerEU: 1
; NamedBarCnt: 0
; Occupancy: 16
; WaveLimiterHint : 0
; COMPUTE_PGM_RSRC2:SCRATCH_EN: 0
; COMPUTE_PGM_RSRC2:USER_SGPR: 2
; COMPUTE_PGM_RSRC2:TRAP_HANDLER: 0
; COMPUTE_PGM_RSRC2:TGID_X_EN: 1
; COMPUTE_PGM_RSRC2:TGID_Y_EN: 0
; COMPUTE_PGM_RSRC2:TGID_Z_EN: 0
; COMPUTE_PGM_RSRC2:TIDIG_COMP_CNT: 0
	.section	.text._ZN7rocprim17ROCPRIM_400000_NS6detail17trampoline_kernelINS0_14default_configENS1_25partition_config_selectorILNS1_17partition_subalgoE9EiibEEZZNS1_14partition_implILS5_9ELb0ES3_jPKiN6thrust23THRUST_200600_302600_NS17counting_iteratorIiNSB_11use_defaultESD_SD_EEPNS0_10empty_typeENS0_5tupleIJPiSF_EEENSH_IJSI_SG_EEENS0_18inequality_wrapperIN6hipcub16HIPCUB_304000_NS8EqualityEEEPlJSF_EEE10hipError_tPvRmT3_T4_T5_T6_T7_T9_mT8_P12ihipStream_tbDpT10_ENKUlT_T0_E_clISt17integral_constantIbLb0EES19_IbLb1EEEEDaS15_S16_EUlS15_E_NS1_11comp_targetILNS1_3genE4ELNS1_11target_archE910ELNS1_3gpuE8ELNS1_3repE0EEENS1_30default_config_static_selectorELNS0_4arch9wavefront6targetE0EEEvT1_,"axG",@progbits,_ZN7rocprim17ROCPRIM_400000_NS6detail17trampoline_kernelINS0_14default_configENS1_25partition_config_selectorILNS1_17partition_subalgoE9EiibEEZZNS1_14partition_implILS5_9ELb0ES3_jPKiN6thrust23THRUST_200600_302600_NS17counting_iteratorIiNSB_11use_defaultESD_SD_EEPNS0_10empty_typeENS0_5tupleIJPiSF_EEENSH_IJSI_SG_EEENS0_18inequality_wrapperIN6hipcub16HIPCUB_304000_NS8EqualityEEEPlJSF_EEE10hipError_tPvRmT3_T4_T5_T6_T7_T9_mT8_P12ihipStream_tbDpT10_ENKUlT_T0_E_clISt17integral_constantIbLb0EES19_IbLb1EEEEDaS15_S16_EUlS15_E_NS1_11comp_targetILNS1_3genE4ELNS1_11target_archE910ELNS1_3gpuE8ELNS1_3repE0EEENS1_30default_config_static_selectorELNS0_4arch9wavefront6targetE0EEEvT1_,comdat
	.protected	_ZN7rocprim17ROCPRIM_400000_NS6detail17trampoline_kernelINS0_14default_configENS1_25partition_config_selectorILNS1_17partition_subalgoE9EiibEEZZNS1_14partition_implILS5_9ELb0ES3_jPKiN6thrust23THRUST_200600_302600_NS17counting_iteratorIiNSB_11use_defaultESD_SD_EEPNS0_10empty_typeENS0_5tupleIJPiSF_EEENSH_IJSI_SG_EEENS0_18inequality_wrapperIN6hipcub16HIPCUB_304000_NS8EqualityEEEPlJSF_EEE10hipError_tPvRmT3_T4_T5_T6_T7_T9_mT8_P12ihipStream_tbDpT10_ENKUlT_T0_E_clISt17integral_constantIbLb0EES19_IbLb1EEEEDaS15_S16_EUlS15_E_NS1_11comp_targetILNS1_3genE4ELNS1_11target_archE910ELNS1_3gpuE8ELNS1_3repE0EEENS1_30default_config_static_selectorELNS0_4arch9wavefront6targetE0EEEvT1_ ; -- Begin function _ZN7rocprim17ROCPRIM_400000_NS6detail17trampoline_kernelINS0_14default_configENS1_25partition_config_selectorILNS1_17partition_subalgoE9EiibEEZZNS1_14partition_implILS5_9ELb0ES3_jPKiN6thrust23THRUST_200600_302600_NS17counting_iteratorIiNSB_11use_defaultESD_SD_EEPNS0_10empty_typeENS0_5tupleIJPiSF_EEENSH_IJSI_SG_EEENS0_18inequality_wrapperIN6hipcub16HIPCUB_304000_NS8EqualityEEEPlJSF_EEE10hipError_tPvRmT3_T4_T5_T6_T7_T9_mT8_P12ihipStream_tbDpT10_ENKUlT_T0_E_clISt17integral_constantIbLb0EES19_IbLb1EEEEDaS15_S16_EUlS15_E_NS1_11comp_targetILNS1_3genE4ELNS1_11target_archE910ELNS1_3gpuE8ELNS1_3repE0EEENS1_30default_config_static_selectorELNS0_4arch9wavefront6targetE0EEEvT1_
	.globl	_ZN7rocprim17ROCPRIM_400000_NS6detail17trampoline_kernelINS0_14default_configENS1_25partition_config_selectorILNS1_17partition_subalgoE9EiibEEZZNS1_14partition_implILS5_9ELb0ES3_jPKiN6thrust23THRUST_200600_302600_NS17counting_iteratorIiNSB_11use_defaultESD_SD_EEPNS0_10empty_typeENS0_5tupleIJPiSF_EEENSH_IJSI_SG_EEENS0_18inequality_wrapperIN6hipcub16HIPCUB_304000_NS8EqualityEEEPlJSF_EEE10hipError_tPvRmT3_T4_T5_T6_T7_T9_mT8_P12ihipStream_tbDpT10_ENKUlT_T0_E_clISt17integral_constantIbLb0EES19_IbLb1EEEEDaS15_S16_EUlS15_E_NS1_11comp_targetILNS1_3genE4ELNS1_11target_archE910ELNS1_3gpuE8ELNS1_3repE0EEENS1_30default_config_static_selectorELNS0_4arch9wavefront6targetE0EEEvT1_
	.p2align	8
	.type	_ZN7rocprim17ROCPRIM_400000_NS6detail17trampoline_kernelINS0_14default_configENS1_25partition_config_selectorILNS1_17partition_subalgoE9EiibEEZZNS1_14partition_implILS5_9ELb0ES3_jPKiN6thrust23THRUST_200600_302600_NS17counting_iteratorIiNSB_11use_defaultESD_SD_EEPNS0_10empty_typeENS0_5tupleIJPiSF_EEENSH_IJSI_SG_EEENS0_18inequality_wrapperIN6hipcub16HIPCUB_304000_NS8EqualityEEEPlJSF_EEE10hipError_tPvRmT3_T4_T5_T6_T7_T9_mT8_P12ihipStream_tbDpT10_ENKUlT_T0_E_clISt17integral_constantIbLb0EES19_IbLb1EEEEDaS15_S16_EUlS15_E_NS1_11comp_targetILNS1_3genE4ELNS1_11target_archE910ELNS1_3gpuE8ELNS1_3repE0EEENS1_30default_config_static_selectorELNS0_4arch9wavefront6targetE0EEEvT1_,@function
_ZN7rocprim17ROCPRIM_400000_NS6detail17trampoline_kernelINS0_14default_configENS1_25partition_config_selectorILNS1_17partition_subalgoE9EiibEEZZNS1_14partition_implILS5_9ELb0ES3_jPKiN6thrust23THRUST_200600_302600_NS17counting_iteratorIiNSB_11use_defaultESD_SD_EEPNS0_10empty_typeENS0_5tupleIJPiSF_EEENSH_IJSI_SG_EEENS0_18inequality_wrapperIN6hipcub16HIPCUB_304000_NS8EqualityEEEPlJSF_EEE10hipError_tPvRmT3_T4_T5_T6_T7_T9_mT8_P12ihipStream_tbDpT10_ENKUlT_T0_E_clISt17integral_constantIbLb0EES19_IbLb1EEEEDaS15_S16_EUlS15_E_NS1_11comp_targetILNS1_3genE4ELNS1_11target_archE910ELNS1_3gpuE8ELNS1_3repE0EEENS1_30default_config_static_selectorELNS0_4arch9wavefront6targetE0EEEvT1_: ; @_ZN7rocprim17ROCPRIM_400000_NS6detail17trampoline_kernelINS0_14default_configENS1_25partition_config_selectorILNS1_17partition_subalgoE9EiibEEZZNS1_14partition_implILS5_9ELb0ES3_jPKiN6thrust23THRUST_200600_302600_NS17counting_iteratorIiNSB_11use_defaultESD_SD_EEPNS0_10empty_typeENS0_5tupleIJPiSF_EEENSH_IJSI_SG_EEENS0_18inequality_wrapperIN6hipcub16HIPCUB_304000_NS8EqualityEEEPlJSF_EEE10hipError_tPvRmT3_T4_T5_T6_T7_T9_mT8_P12ihipStream_tbDpT10_ENKUlT_T0_E_clISt17integral_constantIbLb0EES19_IbLb1EEEEDaS15_S16_EUlS15_E_NS1_11comp_targetILNS1_3genE4ELNS1_11target_archE910ELNS1_3gpuE8ELNS1_3repE0EEENS1_30default_config_static_selectorELNS0_4arch9wavefront6targetE0EEEvT1_
; %bb.0:
	.section	.rodata,"a",@progbits
	.p2align	6, 0x0
	.amdhsa_kernel _ZN7rocprim17ROCPRIM_400000_NS6detail17trampoline_kernelINS0_14default_configENS1_25partition_config_selectorILNS1_17partition_subalgoE9EiibEEZZNS1_14partition_implILS5_9ELb0ES3_jPKiN6thrust23THRUST_200600_302600_NS17counting_iteratorIiNSB_11use_defaultESD_SD_EEPNS0_10empty_typeENS0_5tupleIJPiSF_EEENSH_IJSI_SG_EEENS0_18inequality_wrapperIN6hipcub16HIPCUB_304000_NS8EqualityEEEPlJSF_EEE10hipError_tPvRmT3_T4_T5_T6_T7_T9_mT8_P12ihipStream_tbDpT10_ENKUlT_T0_E_clISt17integral_constantIbLb0EES19_IbLb1EEEEDaS15_S16_EUlS15_E_NS1_11comp_targetILNS1_3genE4ELNS1_11target_archE910ELNS1_3gpuE8ELNS1_3repE0EEENS1_30default_config_static_selectorELNS0_4arch9wavefront6targetE0EEEvT1_
		.amdhsa_group_segment_fixed_size 0
		.amdhsa_private_segment_fixed_size 0
		.amdhsa_kernarg_size 128
		.amdhsa_user_sgpr_count 2
		.amdhsa_user_sgpr_dispatch_ptr 0
		.amdhsa_user_sgpr_queue_ptr 0
		.amdhsa_user_sgpr_kernarg_segment_ptr 1
		.amdhsa_user_sgpr_dispatch_id 0
		.amdhsa_user_sgpr_kernarg_preload_length 0
		.amdhsa_user_sgpr_kernarg_preload_offset 0
		.amdhsa_user_sgpr_private_segment_size 0
		.amdhsa_wavefront_size32 1
		.amdhsa_uses_dynamic_stack 0
		.amdhsa_enable_private_segment 0
		.amdhsa_system_sgpr_workgroup_id_x 1
		.amdhsa_system_sgpr_workgroup_id_y 0
		.amdhsa_system_sgpr_workgroup_id_z 0
		.amdhsa_system_sgpr_workgroup_info 0
		.amdhsa_system_vgpr_workitem_id 0
		.amdhsa_next_free_vgpr 1
		.amdhsa_next_free_sgpr 1
		.amdhsa_named_barrier_count 0
		.amdhsa_reserve_vcc 0
		.amdhsa_float_round_mode_32 0
		.amdhsa_float_round_mode_16_64 0
		.amdhsa_float_denorm_mode_32 3
		.amdhsa_float_denorm_mode_16_64 3
		.amdhsa_fp16_overflow 0
		.amdhsa_memory_ordered 1
		.amdhsa_forward_progress 1
		.amdhsa_inst_pref_size 0
		.amdhsa_round_robin_scheduling 0
		.amdhsa_exception_fp_ieee_invalid_op 0
		.amdhsa_exception_fp_denorm_src 0
		.amdhsa_exception_fp_ieee_div_zero 0
		.amdhsa_exception_fp_ieee_overflow 0
		.amdhsa_exception_fp_ieee_underflow 0
		.amdhsa_exception_fp_ieee_inexact 0
		.amdhsa_exception_int_div_zero 0
	.end_amdhsa_kernel
	.section	.text._ZN7rocprim17ROCPRIM_400000_NS6detail17trampoline_kernelINS0_14default_configENS1_25partition_config_selectorILNS1_17partition_subalgoE9EiibEEZZNS1_14partition_implILS5_9ELb0ES3_jPKiN6thrust23THRUST_200600_302600_NS17counting_iteratorIiNSB_11use_defaultESD_SD_EEPNS0_10empty_typeENS0_5tupleIJPiSF_EEENSH_IJSI_SG_EEENS0_18inequality_wrapperIN6hipcub16HIPCUB_304000_NS8EqualityEEEPlJSF_EEE10hipError_tPvRmT3_T4_T5_T6_T7_T9_mT8_P12ihipStream_tbDpT10_ENKUlT_T0_E_clISt17integral_constantIbLb0EES19_IbLb1EEEEDaS15_S16_EUlS15_E_NS1_11comp_targetILNS1_3genE4ELNS1_11target_archE910ELNS1_3gpuE8ELNS1_3repE0EEENS1_30default_config_static_selectorELNS0_4arch9wavefront6targetE0EEEvT1_,"axG",@progbits,_ZN7rocprim17ROCPRIM_400000_NS6detail17trampoline_kernelINS0_14default_configENS1_25partition_config_selectorILNS1_17partition_subalgoE9EiibEEZZNS1_14partition_implILS5_9ELb0ES3_jPKiN6thrust23THRUST_200600_302600_NS17counting_iteratorIiNSB_11use_defaultESD_SD_EEPNS0_10empty_typeENS0_5tupleIJPiSF_EEENSH_IJSI_SG_EEENS0_18inequality_wrapperIN6hipcub16HIPCUB_304000_NS8EqualityEEEPlJSF_EEE10hipError_tPvRmT3_T4_T5_T6_T7_T9_mT8_P12ihipStream_tbDpT10_ENKUlT_T0_E_clISt17integral_constantIbLb0EES19_IbLb1EEEEDaS15_S16_EUlS15_E_NS1_11comp_targetILNS1_3genE4ELNS1_11target_archE910ELNS1_3gpuE8ELNS1_3repE0EEENS1_30default_config_static_selectorELNS0_4arch9wavefront6targetE0EEEvT1_,comdat
.Lfunc_end38:
	.size	_ZN7rocprim17ROCPRIM_400000_NS6detail17trampoline_kernelINS0_14default_configENS1_25partition_config_selectorILNS1_17partition_subalgoE9EiibEEZZNS1_14partition_implILS5_9ELb0ES3_jPKiN6thrust23THRUST_200600_302600_NS17counting_iteratorIiNSB_11use_defaultESD_SD_EEPNS0_10empty_typeENS0_5tupleIJPiSF_EEENSH_IJSI_SG_EEENS0_18inequality_wrapperIN6hipcub16HIPCUB_304000_NS8EqualityEEEPlJSF_EEE10hipError_tPvRmT3_T4_T5_T6_T7_T9_mT8_P12ihipStream_tbDpT10_ENKUlT_T0_E_clISt17integral_constantIbLb0EES19_IbLb1EEEEDaS15_S16_EUlS15_E_NS1_11comp_targetILNS1_3genE4ELNS1_11target_archE910ELNS1_3gpuE8ELNS1_3repE0EEENS1_30default_config_static_selectorELNS0_4arch9wavefront6targetE0EEEvT1_, .Lfunc_end38-_ZN7rocprim17ROCPRIM_400000_NS6detail17trampoline_kernelINS0_14default_configENS1_25partition_config_selectorILNS1_17partition_subalgoE9EiibEEZZNS1_14partition_implILS5_9ELb0ES3_jPKiN6thrust23THRUST_200600_302600_NS17counting_iteratorIiNSB_11use_defaultESD_SD_EEPNS0_10empty_typeENS0_5tupleIJPiSF_EEENSH_IJSI_SG_EEENS0_18inequality_wrapperIN6hipcub16HIPCUB_304000_NS8EqualityEEEPlJSF_EEE10hipError_tPvRmT3_T4_T5_T6_T7_T9_mT8_P12ihipStream_tbDpT10_ENKUlT_T0_E_clISt17integral_constantIbLb0EES19_IbLb1EEEEDaS15_S16_EUlS15_E_NS1_11comp_targetILNS1_3genE4ELNS1_11target_archE910ELNS1_3gpuE8ELNS1_3repE0EEENS1_30default_config_static_selectorELNS0_4arch9wavefront6targetE0EEEvT1_
                                        ; -- End function
	.set _ZN7rocprim17ROCPRIM_400000_NS6detail17trampoline_kernelINS0_14default_configENS1_25partition_config_selectorILNS1_17partition_subalgoE9EiibEEZZNS1_14partition_implILS5_9ELb0ES3_jPKiN6thrust23THRUST_200600_302600_NS17counting_iteratorIiNSB_11use_defaultESD_SD_EEPNS0_10empty_typeENS0_5tupleIJPiSF_EEENSH_IJSI_SG_EEENS0_18inequality_wrapperIN6hipcub16HIPCUB_304000_NS8EqualityEEEPlJSF_EEE10hipError_tPvRmT3_T4_T5_T6_T7_T9_mT8_P12ihipStream_tbDpT10_ENKUlT_T0_E_clISt17integral_constantIbLb0EES19_IbLb1EEEEDaS15_S16_EUlS15_E_NS1_11comp_targetILNS1_3genE4ELNS1_11target_archE910ELNS1_3gpuE8ELNS1_3repE0EEENS1_30default_config_static_selectorELNS0_4arch9wavefront6targetE0EEEvT1_.num_vgpr, 0
	.set _ZN7rocprim17ROCPRIM_400000_NS6detail17trampoline_kernelINS0_14default_configENS1_25partition_config_selectorILNS1_17partition_subalgoE9EiibEEZZNS1_14partition_implILS5_9ELb0ES3_jPKiN6thrust23THRUST_200600_302600_NS17counting_iteratorIiNSB_11use_defaultESD_SD_EEPNS0_10empty_typeENS0_5tupleIJPiSF_EEENSH_IJSI_SG_EEENS0_18inequality_wrapperIN6hipcub16HIPCUB_304000_NS8EqualityEEEPlJSF_EEE10hipError_tPvRmT3_T4_T5_T6_T7_T9_mT8_P12ihipStream_tbDpT10_ENKUlT_T0_E_clISt17integral_constantIbLb0EES19_IbLb1EEEEDaS15_S16_EUlS15_E_NS1_11comp_targetILNS1_3genE4ELNS1_11target_archE910ELNS1_3gpuE8ELNS1_3repE0EEENS1_30default_config_static_selectorELNS0_4arch9wavefront6targetE0EEEvT1_.num_agpr, 0
	.set _ZN7rocprim17ROCPRIM_400000_NS6detail17trampoline_kernelINS0_14default_configENS1_25partition_config_selectorILNS1_17partition_subalgoE9EiibEEZZNS1_14partition_implILS5_9ELb0ES3_jPKiN6thrust23THRUST_200600_302600_NS17counting_iteratorIiNSB_11use_defaultESD_SD_EEPNS0_10empty_typeENS0_5tupleIJPiSF_EEENSH_IJSI_SG_EEENS0_18inequality_wrapperIN6hipcub16HIPCUB_304000_NS8EqualityEEEPlJSF_EEE10hipError_tPvRmT3_T4_T5_T6_T7_T9_mT8_P12ihipStream_tbDpT10_ENKUlT_T0_E_clISt17integral_constantIbLb0EES19_IbLb1EEEEDaS15_S16_EUlS15_E_NS1_11comp_targetILNS1_3genE4ELNS1_11target_archE910ELNS1_3gpuE8ELNS1_3repE0EEENS1_30default_config_static_selectorELNS0_4arch9wavefront6targetE0EEEvT1_.numbered_sgpr, 0
	.set _ZN7rocprim17ROCPRIM_400000_NS6detail17trampoline_kernelINS0_14default_configENS1_25partition_config_selectorILNS1_17partition_subalgoE9EiibEEZZNS1_14partition_implILS5_9ELb0ES3_jPKiN6thrust23THRUST_200600_302600_NS17counting_iteratorIiNSB_11use_defaultESD_SD_EEPNS0_10empty_typeENS0_5tupleIJPiSF_EEENSH_IJSI_SG_EEENS0_18inequality_wrapperIN6hipcub16HIPCUB_304000_NS8EqualityEEEPlJSF_EEE10hipError_tPvRmT3_T4_T5_T6_T7_T9_mT8_P12ihipStream_tbDpT10_ENKUlT_T0_E_clISt17integral_constantIbLb0EES19_IbLb1EEEEDaS15_S16_EUlS15_E_NS1_11comp_targetILNS1_3genE4ELNS1_11target_archE910ELNS1_3gpuE8ELNS1_3repE0EEENS1_30default_config_static_selectorELNS0_4arch9wavefront6targetE0EEEvT1_.num_named_barrier, 0
	.set _ZN7rocprim17ROCPRIM_400000_NS6detail17trampoline_kernelINS0_14default_configENS1_25partition_config_selectorILNS1_17partition_subalgoE9EiibEEZZNS1_14partition_implILS5_9ELb0ES3_jPKiN6thrust23THRUST_200600_302600_NS17counting_iteratorIiNSB_11use_defaultESD_SD_EEPNS0_10empty_typeENS0_5tupleIJPiSF_EEENSH_IJSI_SG_EEENS0_18inequality_wrapperIN6hipcub16HIPCUB_304000_NS8EqualityEEEPlJSF_EEE10hipError_tPvRmT3_T4_T5_T6_T7_T9_mT8_P12ihipStream_tbDpT10_ENKUlT_T0_E_clISt17integral_constantIbLb0EES19_IbLb1EEEEDaS15_S16_EUlS15_E_NS1_11comp_targetILNS1_3genE4ELNS1_11target_archE910ELNS1_3gpuE8ELNS1_3repE0EEENS1_30default_config_static_selectorELNS0_4arch9wavefront6targetE0EEEvT1_.private_seg_size, 0
	.set _ZN7rocprim17ROCPRIM_400000_NS6detail17trampoline_kernelINS0_14default_configENS1_25partition_config_selectorILNS1_17partition_subalgoE9EiibEEZZNS1_14partition_implILS5_9ELb0ES3_jPKiN6thrust23THRUST_200600_302600_NS17counting_iteratorIiNSB_11use_defaultESD_SD_EEPNS0_10empty_typeENS0_5tupleIJPiSF_EEENSH_IJSI_SG_EEENS0_18inequality_wrapperIN6hipcub16HIPCUB_304000_NS8EqualityEEEPlJSF_EEE10hipError_tPvRmT3_T4_T5_T6_T7_T9_mT8_P12ihipStream_tbDpT10_ENKUlT_T0_E_clISt17integral_constantIbLb0EES19_IbLb1EEEEDaS15_S16_EUlS15_E_NS1_11comp_targetILNS1_3genE4ELNS1_11target_archE910ELNS1_3gpuE8ELNS1_3repE0EEENS1_30default_config_static_selectorELNS0_4arch9wavefront6targetE0EEEvT1_.uses_vcc, 0
	.set _ZN7rocprim17ROCPRIM_400000_NS6detail17trampoline_kernelINS0_14default_configENS1_25partition_config_selectorILNS1_17partition_subalgoE9EiibEEZZNS1_14partition_implILS5_9ELb0ES3_jPKiN6thrust23THRUST_200600_302600_NS17counting_iteratorIiNSB_11use_defaultESD_SD_EEPNS0_10empty_typeENS0_5tupleIJPiSF_EEENSH_IJSI_SG_EEENS0_18inequality_wrapperIN6hipcub16HIPCUB_304000_NS8EqualityEEEPlJSF_EEE10hipError_tPvRmT3_T4_T5_T6_T7_T9_mT8_P12ihipStream_tbDpT10_ENKUlT_T0_E_clISt17integral_constantIbLb0EES19_IbLb1EEEEDaS15_S16_EUlS15_E_NS1_11comp_targetILNS1_3genE4ELNS1_11target_archE910ELNS1_3gpuE8ELNS1_3repE0EEENS1_30default_config_static_selectorELNS0_4arch9wavefront6targetE0EEEvT1_.uses_flat_scratch, 0
	.set _ZN7rocprim17ROCPRIM_400000_NS6detail17trampoline_kernelINS0_14default_configENS1_25partition_config_selectorILNS1_17partition_subalgoE9EiibEEZZNS1_14partition_implILS5_9ELb0ES3_jPKiN6thrust23THRUST_200600_302600_NS17counting_iteratorIiNSB_11use_defaultESD_SD_EEPNS0_10empty_typeENS0_5tupleIJPiSF_EEENSH_IJSI_SG_EEENS0_18inequality_wrapperIN6hipcub16HIPCUB_304000_NS8EqualityEEEPlJSF_EEE10hipError_tPvRmT3_T4_T5_T6_T7_T9_mT8_P12ihipStream_tbDpT10_ENKUlT_T0_E_clISt17integral_constantIbLb0EES19_IbLb1EEEEDaS15_S16_EUlS15_E_NS1_11comp_targetILNS1_3genE4ELNS1_11target_archE910ELNS1_3gpuE8ELNS1_3repE0EEENS1_30default_config_static_selectorELNS0_4arch9wavefront6targetE0EEEvT1_.has_dyn_sized_stack, 0
	.set _ZN7rocprim17ROCPRIM_400000_NS6detail17trampoline_kernelINS0_14default_configENS1_25partition_config_selectorILNS1_17partition_subalgoE9EiibEEZZNS1_14partition_implILS5_9ELb0ES3_jPKiN6thrust23THRUST_200600_302600_NS17counting_iteratorIiNSB_11use_defaultESD_SD_EEPNS0_10empty_typeENS0_5tupleIJPiSF_EEENSH_IJSI_SG_EEENS0_18inequality_wrapperIN6hipcub16HIPCUB_304000_NS8EqualityEEEPlJSF_EEE10hipError_tPvRmT3_T4_T5_T6_T7_T9_mT8_P12ihipStream_tbDpT10_ENKUlT_T0_E_clISt17integral_constantIbLb0EES19_IbLb1EEEEDaS15_S16_EUlS15_E_NS1_11comp_targetILNS1_3genE4ELNS1_11target_archE910ELNS1_3gpuE8ELNS1_3repE0EEENS1_30default_config_static_selectorELNS0_4arch9wavefront6targetE0EEEvT1_.has_recursion, 0
	.set _ZN7rocprim17ROCPRIM_400000_NS6detail17trampoline_kernelINS0_14default_configENS1_25partition_config_selectorILNS1_17partition_subalgoE9EiibEEZZNS1_14partition_implILS5_9ELb0ES3_jPKiN6thrust23THRUST_200600_302600_NS17counting_iteratorIiNSB_11use_defaultESD_SD_EEPNS0_10empty_typeENS0_5tupleIJPiSF_EEENSH_IJSI_SG_EEENS0_18inequality_wrapperIN6hipcub16HIPCUB_304000_NS8EqualityEEEPlJSF_EEE10hipError_tPvRmT3_T4_T5_T6_T7_T9_mT8_P12ihipStream_tbDpT10_ENKUlT_T0_E_clISt17integral_constantIbLb0EES19_IbLb1EEEEDaS15_S16_EUlS15_E_NS1_11comp_targetILNS1_3genE4ELNS1_11target_archE910ELNS1_3gpuE8ELNS1_3repE0EEENS1_30default_config_static_selectorELNS0_4arch9wavefront6targetE0EEEvT1_.has_indirect_call, 0
	.section	.AMDGPU.csdata,"",@progbits
; Kernel info:
; codeLenInByte = 0
; TotalNumSgprs: 0
; NumVgprs: 0
; ScratchSize: 0
; MemoryBound: 0
; FloatMode: 240
; IeeeMode: 1
; LDSByteSize: 0 bytes/workgroup (compile time only)
; SGPRBlocks: 0
; VGPRBlocks: 0
; NumSGPRsForWavesPerEU: 1
; NumVGPRsForWavesPerEU: 1
; NamedBarCnt: 0
; Occupancy: 16
; WaveLimiterHint : 0
; COMPUTE_PGM_RSRC2:SCRATCH_EN: 0
; COMPUTE_PGM_RSRC2:USER_SGPR: 2
; COMPUTE_PGM_RSRC2:TRAP_HANDLER: 0
; COMPUTE_PGM_RSRC2:TGID_X_EN: 1
; COMPUTE_PGM_RSRC2:TGID_Y_EN: 0
; COMPUTE_PGM_RSRC2:TGID_Z_EN: 0
; COMPUTE_PGM_RSRC2:TIDIG_COMP_CNT: 0
	.section	.text._ZN7rocprim17ROCPRIM_400000_NS6detail17trampoline_kernelINS0_14default_configENS1_25partition_config_selectorILNS1_17partition_subalgoE9EiibEEZZNS1_14partition_implILS5_9ELb0ES3_jPKiN6thrust23THRUST_200600_302600_NS17counting_iteratorIiNSB_11use_defaultESD_SD_EEPNS0_10empty_typeENS0_5tupleIJPiSF_EEENSH_IJSI_SG_EEENS0_18inequality_wrapperIN6hipcub16HIPCUB_304000_NS8EqualityEEEPlJSF_EEE10hipError_tPvRmT3_T4_T5_T6_T7_T9_mT8_P12ihipStream_tbDpT10_ENKUlT_T0_E_clISt17integral_constantIbLb0EES19_IbLb1EEEEDaS15_S16_EUlS15_E_NS1_11comp_targetILNS1_3genE3ELNS1_11target_archE908ELNS1_3gpuE7ELNS1_3repE0EEENS1_30default_config_static_selectorELNS0_4arch9wavefront6targetE0EEEvT1_,"axG",@progbits,_ZN7rocprim17ROCPRIM_400000_NS6detail17trampoline_kernelINS0_14default_configENS1_25partition_config_selectorILNS1_17partition_subalgoE9EiibEEZZNS1_14partition_implILS5_9ELb0ES3_jPKiN6thrust23THRUST_200600_302600_NS17counting_iteratorIiNSB_11use_defaultESD_SD_EEPNS0_10empty_typeENS0_5tupleIJPiSF_EEENSH_IJSI_SG_EEENS0_18inequality_wrapperIN6hipcub16HIPCUB_304000_NS8EqualityEEEPlJSF_EEE10hipError_tPvRmT3_T4_T5_T6_T7_T9_mT8_P12ihipStream_tbDpT10_ENKUlT_T0_E_clISt17integral_constantIbLb0EES19_IbLb1EEEEDaS15_S16_EUlS15_E_NS1_11comp_targetILNS1_3genE3ELNS1_11target_archE908ELNS1_3gpuE7ELNS1_3repE0EEENS1_30default_config_static_selectorELNS0_4arch9wavefront6targetE0EEEvT1_,comdat
	.protected	_ZN7rocprim17ROCPRIM_400000_NS6detail17trampoline_kernelINS0_14default_configENS1_25partition_config_selectorILNS1_17partition_subalgoE9EiibEEZZNS1_14partition_implILS5_9ELb0ES3_jPKiN6thrust23THRUST_200600_302600_NS17counting_iteratorIiNSB_11use_defaultESD_SD_EEPNS0_10empty_typeENS0_5tupleIJPiSF_EEENSH_IJSI_SG_EEENS0_18inequality_wrapperIN6hipcub16HIPCUB_304000_NS8EqualityEEEPlJSF_EEE10hipError_tPvRmT3_T4_T5_T6_T7_T9_mT8_P12ihipStream_tbDpT10_ENKUlT_T0_E_clISt17integral_constantIbLb0EES19_IbLb1EEEEDaS15_S16_EUlS15_E_NS1_11comp_targetILNS1_3genE3ELNS1_11target_archE908ELNS1_3gpuE7ELNS1_3repE0EEENS1_30default_config_static_selectorELNS0_4arch9wavefront6targetE0EEEvT1_ ; -- Begin function _ZN7rocprim17ROCPRIM_400000_NS6detail17trampoline_kernelINS0_14default_configENS1_25partition_config_selectorILNS1_17partition_subalgoE9EiibEEZZNS1_14partition_implILS5_9ELb0ES3_jPKiN6thrust23THRUST_200600_302600_NS17counting_iteratorIiNSB_11use_defaultESD_SD_EEPNS0_10empty_typeENS0_5tupleIJPiSF_EEENSH_IJSI_SG_EEENS0_18inequality_wrapperIN6hipcub16HIPCUB_304000_NS8EqualityEEEPlJSF_EEE10hipError_tPvRmT3_T4_T5_T6_T7_T9_mT8_P12ihipStream_tbDpT10_ENKUlT_T0_E_clISt17integral_constantIbLb0EES19_IbLb1EEEEDaS15_S16_EUlS15_E_NS1_11comp_targetILNS1_3genE3ELNS1_11target_archE908ELNS1_3gpuE7ELNS1_3repE0EEENS1_30default_config_static_selectorELNS0_4arch9wavefront6targetE0EEEvT1_
	.globl	_ZN7rocprim17ROCPRIM_400000_NS6detail17trampoline_kernelINS0_14default_configENS1_25partition_config_selectorILNS1_17partition_subalgoE9EiibEEZZNS1_14partition_implILS5_9ELb0ES3_jPKiN6thrust23THRUST_200600_302600_NS17counting_iteratorIiNSB_11use_defaultESD_SD_EEPNS0_10empty_typeENS0_5tupleIJPiSF_EEENSH_IJSI_SG_EEENS0_18inequality_wrapperIN6hipcub16HIPCUB_304000_NS8EqualityEEEPlJSF_EEE10hipError_tPvRmT3_T4_T5_T6_T7_T9_mT8_P12ihipStream_tbDpT10_ENKUlT_T0_E_clISt17integral_constantIbLb0EES19_IbLb1EEEEDaS15_S16_EUlS15_E_NS1_11comp_targetILNS1_3genE3ELNS1_11target_archE908ELNS1_3gpuE7ELNS1_3repE0EEENS1_30default_config_static_selectorELNS0_4arch9wavefront6targetE0EEEvT1_
	.p2align	8
	.type	_ZN7rocprim17ROCPRIM_400000_NS6detail17trampoline_kernelINS0_14default_configENS1_25partition_config_selectorILNS1_17partition_subalgoE9EiibEEZZNS1_14partition_implILS5_9ELb0ES3_jPKiN6thrust23THRUST_200600_302600_NS17counting_iteratorIiNSB_11use_defaultESD_SD_EEPNS0_10empty_typeENS0_5tupleIJPiSF_EEENSH_IJSI_SG_EEENS0_18inequality_wrapperIN6hipcub16HIPCUB_304000_NS8EqualityEEEPlJSF_EEE10hipError_tPvRmT3_T4_T5_T6_T7_T9_mT8_P12ihipStream_tbDpT10_ENKUlT_T0_E_clISt17integral_constantIbLb0EES19_IbLb1EEEEDaS15_S16_EUlS15_E_NS1_11comp_targetILNS1_3genE3ELNS1_11target_archE908ELNS1_3gpuE7ELNS1_3repE0EEENS1_30default_config_static_selectorELNS0_4arch9wavefront6targetE0EEEvT1_,@function
_ZN7rocprim17ROCPRIM_400000_NS6detail17trampoline_kernelINS0_14default_configENS1_25partition_config_selectorILNS1_17partition_subalgoE9EiibEEZZNS1_14partition_implILS5_9ELb0ES3_jPKiN6thrust23THRUST_200600_302600_NS17counting_iteratorIiNSB_11use_defaultESD_SD_EEPNS0_10empty_typeENS0_5tupleIJPiSF_EEENSH_IJSI_SG_EEENS0_18inequality_wrapperIN6hipcub16HIPCUB_304000_NS8EqualityEEEPlJSF_EEE10hipError_tPvRmT3_T4_T5_T6_T7_T9_mT8_P12ihipStream_tbDpT10_ENKUlT_T0_E_clISt17integral_constantIbLb0EES19_IbLb1EEEEDaS15_S16_EUlS15_E_NS1_11comp_targetILNS1_3genE3ELNS1_11target_archE908ELNS1_3gpuE7ELNS1_3repE0EEENS1_30default_config_static_selectorELNS0_4arch9wavefront6targetE0EEEvT1_: ; @_ZN7rocprim17ROCPRIM_400000_NS6detail17trampoline_kernelINS0_14default_configENS1_25partition_config_selectorILNS1_17partition_subalgoE9EiibEEZZNS1_14partition_implILS5_9ELb0ES3_jPKiN6thrust23THRUST_200600_302600_NS17counting_iteratorIiNSB_11use_defaultESD_SD_EEPNS0_10empty_typeENS0_5tupleIJPiSF_EEENSH_IJSI_SG_EEENS0_18inequality_wrapperIN6hipcub16HIPCUB_304000_NS8EqualityEEEPlJSF_EEE10hipError_tPvRmT3_T4_T5_T6_T7_T9_mT8_P12ihipStream_tbDpT10_ENKUlT_T0_E_clISt17integral_constantIbLb0EES19_IbLb1EEEEDaS15_S16_EUlS15_E_NS1_11comp_targetILNS1_3genE3ELNS1_11target_archE908ELNS1_3gpuE7ELNS1_3repE0EEENS1_30default_config_static_selectorELNS0_4arch9wavefront6targetE0EEEvT1_
; %bb.0:
	.section	.rodata,"a",@progbits
	.p2align	6, 0x0
	.amdhsa_kernel _ZN7rocprim17ROCPRIM_400000_NS6detail17trampoline_kernelINS0_14default_configENS1_25partition_config_selectorILNS1_17partition_subalgoE9EiibEEZZNS1_14partition_implILS5_9ELb0ES3_jPKiN6thrust23THRUST_200600_302600_NS17counting_iteratorIiNSB_11use_defaultESD_SD_EEPNS0_10empty_typeENS0_5tupleIJPiSF_EEENSH_IJSI_SG_EEENS0_18inequality_wrapperIN6hipcub16HIPCUB_304000_NS8EqualityEEEPlJSF_EEE10hipError_tPvRmT3_T4_T5_T6_T7_T9_mT8_P12ihipStream_tbDpT10_ENKUlT_T0_E_clISt17integral_constantIbLb0EES19_IbLb1EEEEDaS15_S16_EUlS15_E_NS1_11comp_targetILNS1_3genE3ELNS1_11target_archE908ELNS1_3gpuE7ELNS1_3repE0EEENS1_30default_config_static_selectorELNS0_4arch9wavefront6targetE0EEEvT1_
		.amdhsa_group_segment_fixed_size 0
		.amdhsa_private_segment_fixed_size 0
		.amdhsa_kernarg_size 128
		.amdhsa_user_sgpr_count 2
		.amdhsa_user_sgpr_dispatch_ptr 0
		.amdhsa_user_sgpr_queue_ptr 0
		.amdhsa_user_sgpr_kernarg_segment_ptr 1
		.amdhsa_user_sgpr_dispatch_id 0
		.amdhsa_user_sgpr_kernarg_preload_length 0
		.amdhsa_user_sgpr_kernarg_preload_offset 0
		.amdhsa_user_sgpr_private_segment_size 0
		.amdhsa_wavefront_size32 1
		.amdhsa_uses_dynamic_stack 0
		.amdhsa_enable_private_segment 0
		.amdhsa_system_sgpr_workgroup_id_x 1
		.amdhsa_system_sgpr_workgroup_id_y 0
		.amdhsa_system_sgpr_workgroup_id_z 0
		.amdhsa_system_sgpr_workgroup_info 0
		.amdhsa_system_vgpr_workitem_id 0
		.amdhsa_next_free_vgpr 1
		.amdhsa_next_free_sgpr 1
		.amdhsa_named_barrier_count 0
		.amdhsa_reserve_vcc 0
		.amdhsa_float_round_mode_32 0
		.amdhsa_float_round_mode_16_64 0
		.amdhsa_float_denorm_mode_32 3
		.amdhsa_float_denorm_mode_16_64 3
		.amdhsa_fp16_overflow 0
		.amdhsa_memory_ordered 1
		.amdhsa_forward_progress 1
		.amdhsa_inst_pref_size 0
		.amdhsa_round_robin_scheduling 0
		.amdhsa_exception_fp_ieee_invalid_op 0
		.amdhsa_exception_fp_denorm_src 0
		.amdhsa_exception_fp_ieee_div_zero 0
		.amdhsa_exception_fp_ieee_overflow 0
		.amdhsa_exception_fp_ieee_underflow 0
		.amdhsa_exception_fp_ieee_inexact 0
		.amdhsa_exception_int_div_zero 0
	.end_amdhsa_kernel
	.section	.text._ZN7rocprim17ROCPRIM_400000_NS6detail17trampoline_kernelINS0_14default_configENS1_25partition_config_selectorILNS1_17partition_subalgoE9EiibEEZZNS1_14partition_implILS5_9ELb0ES3_jPKiN6thrust23THRUST_200600_302600_NS17counting_iteratorIiNSB_11use_defaultESD_SD_EEPNS0_10empty_typeENS0_5tupleIJPiSF_EEENSH_IJSI_SG_EEENS0_18inequality_wrapperIN6hipcub16HIPCUB_304000_NS8EqualityEEEPlJSF_EEE10hipError_tPvRmT3_T4_T5_T6_T7_T9_mT8_P12ihipStream_tbDpT10_ENKUlT_T0_E_clISt17integral_constantIbLb0EES19_IbLb1EEEEDaS15_S16_EUlS15_E_NS1_11comp_targetILNS1_3genE3ELNS1_11target_archE908ELNS1_3gpuE7ELNS1_3repE0EEENS1_30default_config_static_selectorELNS0_4arch9wavefront6targetE0EEEvT1_,"axG",@progbits,_ZN7rocprim17ROCPRIM_400000_NS6detail17trampoline_kernelINS0_14default_configENS1_25partition_config_selectorILNS1_17partition_subalgoE9EiibEEZZNS1_14partition_implILS5_9ELb0ES3_jPKiN6thrust23THRUST_200600_302600_NS17counting_iteratorIiNSB_11use_defaultESD_SD_EEPNS0_10empty_typeENS0_5tupleIJPiSF_EEENSH_IJSI_SG_EEENS0_18inequality_wrapperIN6hipcub16HIPCUB_304000_NS8EqualityEEEPlJSF_EEE10hipError_tPvRmT3_T4_T5_T6_T7_T9_mT8_P12ihipStream_tbDpT10_ENKUlT_T0_E_clISt17integral_constantIbLb0EES19_IbLb1EEEEDaS15_S16_EUlS15_E_NS1_11comp_targetILNS1_3genE3ELNS1_11target_archE908ELNS1_3gpuE7ELNS1_3repE0EEENS1_30default_config_static_selectorELNS0_4arch9wavefront6targetE0EEEvT1_,comdat
.Lfunc_end39:
	.size	_ZN7rocprim17ROCPRIM_400000_NS6detail17trampoline_kernelINS0_14default_configENS1_25partition_config_selectorILNS1_17partition_subalgoE9EiibEEZZNS1_14partition_implILS5_9ELb0ES3_jPKiN6thrust23THRUST_200600_302600_NS17counting_iteratorIiNSB_11use_defaultESD_SD_EEPNS0_10empty_typeENS0_5tupleIJPiSF_EEENSH_IJSI_SG_EEENS0_18inequality_wrapperIN6hipcub16HIPCUB_304000_NS8EqualityEEEPlJSF_EEE10hipError_tPvRmT3_T4_T5_T6_T7_T9_mT8_P12ihipStream_tbDpT10_ENKUlT_T0_E_clISt17integral_constantIbLb0EES19_IbLb1EEEEDaS15_S16_EUlS15_E_NS1_11comp_targetILNS1_3genE3ELNS1_11target_archE908ELNS1_3gpuE7ELNS1_3repE0EEENS1_30default_config_static_selectorELNS0_4arch9wavefront6targetE0EEEvT1_, .Lfunc_end39-_ZN7rocprim17ROCPRIM_400000_NS6detail17trampoline_kernelINS0_14default_configENS1_25partition_config_selectorILNS1_17partition_subalgoE9EiibEEZZNS1_14partition_implILS5_9ELb0ES3_jPKiN6thrust23THRUST_200600_302600_NS17counting_iteratorIiNSB_11use_defaultESD_SD_EEPNS0_10empty_typeENS0_5tupleIJPiSF_EEENSH_IJSI_SG_EEENS0_18inequality_wrapperIN6hipcub16HIPCUB_304000_NS8EqualityEEEPlJSF_EEE10hipError_tPvRmT3_T4_T5_T6_T7_T9_mT8_P12ihipStream_tbDpT10_ENKUlT_T0_E_clISt17integral_constantIbLb0EES19_IbLb1EEEEDaS15_S16_EUlS15_E_NS1_11comp_targetILNS1_3genE3ELNS1_11target_archE908ELNS1_3gpuE7ELNS1_3repE0EEENS1_30default_config_static_selectorELNS0_4arch9wavefront6targetE0EEEvT1_
                                        ; -- End function
	.set _ZN7rocprim17ROCPRIM_400000_NS6detail17trampoline_kernelINS0_14default_configENS1_25partition_config_selectorILNS1_17partition_subalgoE9EiibEEZZNS1_14partition_implILS5_9ELb0ES3_jPKiN6thrust23THRUST_200600_302600_NS17counting_iteratorIiNSB_11use_defaultESD_SD_EEPNS0_10empty_typeENS0_5tupleIJPiSF_EEENSH_IJSI_SG_EEENS0_18inequality_wrapperIN6hipcub16HIPCUB_304000_NS8EqualityEEEPlJSF_EEE10hipError_tPvRmT3_T4_T5_T6_T7_T9_mT8_P12ihipStream_tbDpT10_ENKUlT_T0_E_clISt17integral_constantIbLb0EES19_IbLb1EEEEDaS15_S16_EUlS15_E_NS1_11comp_targetILNS1_3genE3ELNS1_11target_archE908ELNS1_3gpuE7ELNS1_3repE0EEENS1_30default_config_static_selectorELNS0_4arch9wavefront6targetE0EEEvT1_.num_vgpr, 0
	.set _ZN7rocprim17ROCPRIM_400000_NS6detail17trampoline_kernelINS0_14default_configENS1_25partition_config_selectorILNS1_17partition_subalgoE9EiibEEZZNS1_14partition_implILS5_9ELb0ES3_jPKiN6thrust23THRUST_200600_302600_NS17counting_iteratorIiNSB_11use_defaultESD_SD_EEPNS0_10empty_typeENS0_5tupleIJPiSF_EEENSH_IJSI_SG_EEENS0_18inequality_wrapperIN6hipcub16HIPCUB_304000_NS8EqualityEEEPlJSF_EEE10hipError_tPvRmT3_T4_T5_T6_T7_T9_mT8_P12ihipStream_tbDpT10_ENKUlT_T0_E_clISt17integral_constantIbLb0EES19_IbLb1EEEEDaS15_S16_EUlS15_E_NS1_11comp_targetILNS1_3genE3ELNS1_11target_archE908ELNS1_3gpuE7ELNS1_3repE0EEENS1_30default_config_static_selectorELNS0_4arch9wavefront6targetE0EEEvT1_.num_agpr, 0
	.set _ZN7rocprim17ROCPRIM_400000_NS6detail17trampoline_kernelINS0_14default_configENS1_25partition_config_selectorILNS1_17partition_subalgoE9EiibEEZZNS1_14partition_implILS5_9ELb0ES3_jPKiN6thrust23THRUST_200600_302600_NS17counting_iteratorIiNSB_11use_defaultESD_SD_EEPNS0_10empty_typeENS0_5tupleIJPiSF_EEENSH_IJSI_SG_EEENS0_18inequality_wrapperIN6hipcub16HIPCUB_304000_NS8EqualityEEEPlJSF_EEE10hipError_tPvRmT3_T4_T5_T6_T7_T9_mT8_P12ihipStream_tbDpT10_ENKUlT_T0_E_clISt17integral_constantIbLb0EES19_IbLb1EEEEDaS15_S16_EUlS15_E_NS1_11comp_targetILNS1_3genE3ELNS1_11target_archE908ELNS1_3gpuE7ELNS1_3repE0EEENS1_30default_config_static_selectorELNS0_4arch9wavefront6targetE0EEEvT1_.numbered_sgpr, 0
	.set _ZN7rocprim17ROCPRIM_400000_NS6detail17trampoline_kernelINS0_14default_configENS1_25partition_config_selectorILNS1_17partition_subalgoE9EiibEEZZNS1_14partition_implILS5_9ELb0ES3_jPKiN6thrust23THRUST_200600_302600_NS17counting_iteratorIiNSB_11use_defaultESD_SD_EEPNS0_10empty_typeENS0_5tupleIJPiSF_EEENSH_IJSI_SG_EEENS0_18inequality_wrapperIN6hipcub16HIPCUB_304000_NS8EqualityEEEPlJSF_EEE10hipError_tPvRmT3_T4_T5_T6_T7_T9_mT8_P12ihipStream_tbDpT10_ENKUlT_T0_E_clISt17integral_constantIbLb0EES19_IbLb1EEEEDaS15_S16_EUlS15_E_NS1_11comp_targetILNS1_3genE3ELNS1_11target_archE908ELNS1_3gpuE7ELNS1_3repE0EEENS1_30default_config_static_selectorELNS0_4arch9wavefront6targetE0EEEvT1_.num_named_barrier, 0
	.set _ZN7rocprim17ROCPRIM_400000_NS6detail17trampoline_kernelINS0_14default_configENS1_25partition_config_selectorILNS1_17partition_subalgoE9EiibEEZZNS1_14partition_implILS5_9ELb0ES3_jPKiN6thrust23THRUST_200600_302600_NS17counting_iteratorIiNSB_11use_defaultESD_SD_EEPNS0_10empty_typeENS0_5tupleIJPiSF_EEENSH_IJSI_SG_EEENS0_18inequality_wrapperIN6hipcub16HIPCUB_304000_NS8EqualityEEEPlJSF_EEE10hipError_tPvRmT3_T4_T5_T6_T7_T9_mT8_P12ihipStream_tbDpT10_ENKUlT_T0_E_clISt17integral_constantIbLb0EES19_IbLb1EEEEDaS15_S16_EUlS15_E_NS1_11comp_targetILNS1_3genE3ELNS1_11target_archE908ELNS1_3gpuE7ELNS1_3repE0EEENS1_30default_config_static_selectorELNS0_4arch9wavefront6targetE0EEEvT1_.private_seg_size, 0
	.set _ZN7rocprim17ROCPRIM_400000_NS6detail17trampoline_kernelINS0_14default_configENS1_25partition_config_selectorILNS1_17partition_subalgoE9EiibEEZZNS1_14partition_implILS5_9ELb0ES3_jPKiN6thrust23THRUST_200600_302600_NS17counting_iteratorIiNSB_11use_defaultESD_SD_EEPNS0_10empty_typeENS0_5tupleIJPiSF_EEENSH_IJSI_SG_EEENS0_18inequality_wrapperIN6hipcub16HIPCUB_304000_NS8EqualityEEEPlJSF_EEE10hipError_tPvRmT3_T4_T5_T6_T7_T9_mT8_P12ihipStream_tbDpT10_ENKUlT_T0_E_clISt17integral_constantIbLb0EES19_IbLb1EEEEDaS15_S16_EUlS15_E_NS1_11comp_targetILNS1_3genE3ELNS1_11target_archE908ELNS1_3gpuE7ELNS1_3repE0EEENS1_30default_config_static_selectorELNS0_4arch9wavefront6targetE0EEEvT1_.uses_vcc, 0
	.set _ZN7rocprim17ROCPRIM_400000_NS6detail17trampoline_kernelINS0_14default_configENS1_25partition_config_selectorILNS1_17partition_subalgoE9EiibEEZZNS1_14partition_implILS5_9ELb0ES3_jPKiN6thrust23THRUST_200600_302600_NS17counting_iteratorIiNSB_11use_defaultESD_SD_EEPNS0_10empty_typeENS0_5tupleIJPiSF_EEENSH_IJSI_SG_EEENS0_18inequality_wrapperIN6hipcub16HIPCUB_304000_NS8EqualityEEEPlJSF_EEE10hipError_tPvRmT3_T4_T5_T6_T7_T9_mT8_P12ihipStream_tbDpT10_ENKUlT_T0_E_clISt17integral_constantIbLb0EES19_IbLb1EEEEDaS15_S16_EUlS15_E_NS1_11comp_targetILNS1_3genE3ELNS1_11target_archE908ELNS1_3gpuE7ELNS1_3repE0EEENS1_30default_config_static_selectorELNS0_4arch9wavefront6targetE0EEEvT1_.uses_flat_scratch, 0
	.set _ZN7rocprim17ROCPRIM_400000_NS6detail17trampoline_kernelINS0_14default_configENS1_25partition_config_selectorILNS1_17partition_subalgoE9EiibEEZZNS1_14partition_implILS5_9ELb0ES3_jPKiN6thrust23THRUST_200600_302600_NS17counting_iteratorIiNSB_11use_defaultESD_SD_EEPNS0_10empty_typeENS0_5tupleIJPiSF_EEENSH_IJSI_SG_EEENS0_18inequality_wrapperIN6hipcub16HIPCUB_304000_NS8EqualityEEEPlJSF_EEE10hipError_tPvRmT3_T4_T5_T6_T7_T9_mT8_P12ihipStream_tbDpT10_ENKUlT_T0_E_clISt17integral_constantIbLb0EES19_IbLb1EEEEDaS15_S16_EUlS15_E_NS1_11comp_targetILNS1_3genE3ELNS1_11target_archE908ELNS1_3gpuE7ELNS1_3repE0EEENS1_30default_config_static_selectorELNS0_4arch9wavefront6targetE0EEEvT1_.has_dyn_sized_stack, 0
	.set _ZN7rocprim17ROCPRIM_400000_NS6detail17trampoline_kernelINS0_14default_configENS1_25partition_config_selectorILNS1_17partition_subalgoE9EiibEEZZNS1_14partition_implILS5_9ELb0ES3_jPKiN6thrust23THRUST_200600_302600_NS17counting_iteratorIiNSB_11use_defaultESD_SD_EEPNS0_10empty_typeENS0_5tupleIJPiSF_EEENSH_IJSI_SG_EEENS0_18inequality_wrapperIN6hipcub16HIPCUB_304000_NS8EqualityEEEPlJSF_EEE10hipError_tPvRmT3_T4_T5_T6_T7_T9_mT8_P12ihipStream_tbDpT10_ENKUlT_T0_E_clISt17integral_constantIbLb0EES19_IbLb1EEEEDaS15_S16_EUlS15_E_NS1_11comp_targetILNS1_3genE3ELNS1_11target_archE908ELNS1_3gpuE7ELNS1_3repE0EEENS1_30default_config_static_selectorELNS0_4arch9wavefront6targetE0EEEvT1_.has_recursion, 0
	.set _ZN7rocprim17ROCPRIM_400000_NS6detail17trampoline_kernelINS0_14default_configENS1_25partition_config_selectorILNS1_17partition_subalgoE9EiibEEZZNS1_14partition_implILS5_9ELb0ES3_jPKiN6thrust23THRUST_200600_302600_NS17counting_iteratorIiNSB_11use_defaultESD_SD_EEPNS0_10empty_typeENS0_5tupleIJPiSF_EEENSH_IJSI_SG_EEENS0_18inequality_wrapperIN6hipcub16HIPCUB_304000_NS8EqualityEEEPlJSF_EEE10hipError_tPvRmT3_T4_T5_T6_T7_T9_mT8_P12ihipStream_tbDpT10_ENKUlT_T0_E_clISt17integral_constantIbLb0EES19_IbLb1EEEEDaS15_S16_EUlS15_E_NS1_11comp_targetILNS1_3genE3ELNS1_11target_archE908ELNS1_3gpuE7ELNS1_3repE0EEENS1_30default_config_static_selectorELNS0_4arch9wavefront6targetE0EEEvT1_.has_indirect_call, 0
	.section	.AMDGPU.csdata,"",@progbits
; Kernel info:
; codeLenInByte = 0
; TotalNumSgprs: 0
; NumVgprs: 0
; ScratchSize: 0
; MemoryBound: 0
; FloatMode: 240
; IeeeMode: 1
; LDSByteSize: 0 bytes/workgroup (compile time only)
; SGPRBlocks: 0
; VGPRBlocks: 0
; NumSGPRsForWavesPerEU: 1
; NumVGPRsForWavesPerEU: 1
; NamedBarCnt: 0
; Occupancy: 16
; WaveLimiterHint : 0
; COMPUTE_PGM_RSRC2:SCRATCH_EN: 0
; COMPUTE_PGM_RSRC2:USER_SGPR: 2
; COMPUTE_PGM_RSRC2:TRAP_HANDLER: 0
; COMPUTE_PGM_RSRC2:TGID_X_EN: 1
; COMPUTE_PGM_RSRC2:TGID_Y_EN: 0
; COMPUTE_PGM_RSRC2:TGID_Z_EN: 0
; COMPUTE_PGM_RSRC2:TIDIG_COMP_CNT: 0
	.section	.text._ZN7rocprim17ROCPRIM_400000_NS6detail17trampoline_kernelINS0_14default_configENS1_25partition_config_selectorILNS1_17partition_subalgoE9EiibEEZZNS1_14partition_implILS5_9ELb0ES3_jPKiN6thrust23THRUST_200600_302600_NS17counting_iteratorIiNSB_11use_defaultESD_SD_EEPNS0_10empty_typeENS0_5tupleIJPiSF_EEENSH_IJSI_SG_EEENS0_18inequality_wrapperIN6hipcub16HIPCUB_304000_NS8EqualityEEEPlJSF_EEE10hipError_tPvRmT3_T4_T5_T6_T7_T9_mT8_P12ihipStream_tbDpT10_ENKUlT_T0_E_clISt17integral_constantIbLb0EES19_IbLb1EEEEDaS15_S16_EUlS15_E_NS1_11comp_targetILNS1_3genE2ELNS1_11target_archE906ELNS1_3gpuE6ELNS1_3repE0EEENS1_30default_config_static_selectorELNS0_4arch9wavefront6targetE0EEEvT1_,"axG",@progbits,_ZN7rocprim17ROCPRIM_400000_NS6detail17trampoline_kernelINS0_14default_configENS1_25partition_config_selectorILNS1_17partition_subalgoE9EiibEEZZNS1_14partition_implILS5_9ELb0ES3_jPKiN6thrust23THRUST_200600_302600_NS17counting_iteratorIiNSB_11use_defaultESD_SD_EEPNS0_10empty_typeENS0_5tupleIJPiSF_EEENSH_IJSI_SG_EEENS0_18inequality_wrapperIN6hipcub16HIPCUB_304000_NS8EqualityEEEPlJSF_EEE10hipError_tPvRmT3_T4_T5_T6_T7_T9_mT8_P12ihipStream_tbDpT10_ENKUlT_T0_E_clISt17integral_constantIbLb0EES19_IbLb1EEEEDaS15_S16_EUlS15_E_NS1_11comp_targetILNS1_3genE2ELNS1_11target_archE906ELNS1_3gpuE6ELNS1_3repE0EEENS1_30default_config_static_selectorELNS0_4arch9wavefront6targetE0EEEvT1_,comdat
	.protected	_ZN7rocprim17ROCPRIM_400000_NS6detail17trampoline_kernelINS0_14default_configENS1_25partition_config_selectorILNS1_17partition_subalgoE9EiibEEZZNS1_14partition_implILS5_9ELb0ES3_jPKiN6thrust23THRUST_200600_302600_NS17counting_iteratorIiNSB_11use_defaultESD_SD_EEPNS0_10empty_typeENS0_5tupleIJPiSF_EEENSH_IJSI_SG_EEENS0_18inequality_wrapperIN6hipcub16HIPCUB_304000_NS8EqualityEEEPlJSF_EEE10hipError_tPvRmT3_T4_T5_T6_T7_T9_mT8_P12ihipStream_tbDpT10_ENKUlT_T0_E_clISt17integral_constantIbLb0EES19_IbLb1EEEEDaS15_S16_EUlS15_E_NS1_11comp_targetILNS1_3genE2ELNS1_11target_archE906ELNS1_3gpuE6ELNS1_3repE0EEENS1_30default_config_static_selectorELNS0_4arch9wavefront6targetE0EEEvT1_ ; -- Begin function _ZN7rocprim17ROCPRIM_400000_NS6detail17trampoline_kernelINS0_14default_configENS1_25partition_config_selectorILNS1_17partition_subalgoE9EiibEEZZNS1_14partition_implILS5_9ELb0ES3_jPKiN6thrust23THRUST_200600_302600_NS17counting_iteratorIiNSB_11use_defaultESD_SD_EEPNS0_10empty_typeENS0_5tupleIJPiSF_EEENSH_IJSI_SG_EEENS0_18inequality_wrapperIN6hipcub16HIPCUB_304000_NS8EqualityEEEPlJSF_EEE10hipError_tPvRmT3_T4_T5_T6_T7_T9_mT8_P12ihipStream_tbDpT10_ENKUlT_T0_E_clISt17integral_constantIbLb0EES19_IbLb1EEEEDaS15_S16_EUlS15_E_NS1_11comp_targetILNS1_3genE2ELNS1_11target_archE906ELNS1_3gpuE6ELNS1_3repE0EEENS1_30default_config_static_selectorELNS0_4arch9wavefront6targetE0EEEvT1_
	.globl	_ZN7rocprim17ROCPRIM_400000_NS6detail17trampoline_kernelINS0_14default_configENS1_25partition_config_selectorILNS1_17partition_subalgoE9EiibEEZZNS1_14partition_implILS5_9ELb0ES3_jPKiN6thrust23THRUST_200600_302600_NS17counting_iteratorIiNSB_11use_defaultESD_SD_EEPNS0_10empty_typeENS0_5tupleIJPiSF_EEENSH_IJSI_SG_EEENS0_18inequality_wrapperIN6hipcub16HIPCUB_304000_NS8EqualityEEEPlJSF_EEE10hipError_tPvRmT3_T4_T5_T6_T7_T9_mT8_P12ihipStream_tbDpT10_ENKUlT_T0_E_clISt17integral_constantIbLb0EES19_IbLb1EEEEDaS15_S16_EUlS15_E_NS1_11comp_targetILNS1_3genE2ELNS1_11target_archE906ELNS1_3gpuE6ELNS1_3repE0EEENS1_30default_config_static_selectorELNS0_4arch9wavefront6targetE0EEEvT1_
	.p2align	8
	.type	_ZN7rocprim17ROCPRIM_400000_NS6detail17trampoline_kernelINS0_14default_configENS1_25partition_config_selectorILNS1_17partition_subalgoE9EiibEEZZNS1_14partition_implILS5_9ELb0ES3_jPKiN6thrust23THRUST_200600_302600_NS17counting_iteratorIiNSB_11use_defaultESD_SD_EEPNS0_10empty_typeENS0_5tupleIJPiSF_EEENSH_IJSI_SG_EEENS0_18inequality_wrapperIN6hipcub16HIPCUB_304000_NS8EqualityEEEPlJSF_EEE10hipError_tPvRmT3_T4_T5_T6_T7_T9_mT8_P12ihipStream_tbDpT10_ENKUlT_T0_E_clISt17integral_constantIbLb0EES19_IbLb1EEEEDaS15_S16_EUlS15_E_NS1_11comp_targetILNS1_3genE2ELNS1_11target_archE906ELNS1_3gpuE6ELNS1_3repE0EEENS1_30default_config_static_selectorELNS0_4arch9wavefront6targetE0EEEvT1_,@function
_ZN7rocprim17ROCPRIM_400000_NS6detail17trampoline_kernelINS0_14default_configENS1_25partition_config_selectorILNS1_17partition_subalgoE9EiibEEZZNS1_14partition_implILS5_9ELb0ES3_jPKiN6thrust23THRUST_200600_302600_NS17counting_iteratorIiNSB_11use_defaultESD_SD_EEPNS0_10empty_typeENS0_5tupleIJPiSF_EEENSH_IJSI_SG_EEENS0_18inequality_wrapperIN6hipcub16HIPCUB_304000_NS8EqualityEEEPlJSF_EEE10hipError_tPvRmT3_T4_T5_T6_T7_T9_mT8_P12ihipStream_tbDpT10_ENKUlT_T0_E_clISt17integral_constantIbLb0EES19_IbLb1EEEEDaS15_S16_EUlS15_E_NS1_11comp_targetILNS1_3genE2ELNS1_11target_archE906ELNS1_3gpuE6ELNS1_3repE0EEENS1_30default_config_static_selectorELNS0_4arch9wavefront6targetE0EEEvT1_: ; @_ZN7rocprim17ROCPRIM_400000_NS6detail17trampoline_kernelINS0_14default_configENS1_25partition_config_selectorILNS1_17partition_subalgoE9EiibEEZZNS1_14partition_implILS5_9ELb0ES3_jPKiN6thrust23THRUST_200600_302600_NS17counting_iteratorIiNSB_11use_defaultESD_SD_EEPNS0_10empty_typeENS0_5tupleIJPiSF_EEENSH_IJSI_SG_EEENS0_18inequality_wrapperIN6hipcub16HIPCUB_304000_NS8EqualityEEEPlJSF_EEE10hipError_tPvRmT3_T4_T5_T6_T7_T9_mT8_P12ihipStream_tbDpT10_ENKUlT_T0_E_clISt17integral_constantIbLb0EES19_IbLb1EEEEDaS15_S16_EUlS15_E_NS1_11comp_targetILNS1_3genE2ELNS1_11target_archE906ELNS1_3gpuE6ELNS1_3repE0EEENS1_30default_config_static_selectorELNS0_4arch9wavefront6targetE0EEEvT1_
; %bb.0:
	.section	.rodata,"a",@progbits
	.p2align	6, 0x0
	.amdhsa_kernel _ZN7rocprim17ROCPRIM_400000_NS6detail17trampoline_kernelINS0_14default_configENS1_25partition_config_selectorILNS1_17partition_subalgoE9EiibEEZZNS1_14partition_implILS5_9ELb0ES3_jPKiN6thrust23THRUST_200600_302600_NS17counting_iteratorIiNSB_11use_defaultESD_SD_EEPNS0_10empty_typeENS0_5tupleIJPiSF_EEENSH_IJSI_SG_EEENS0_18inequality_wrapperIN6hipcub16HIPCUB_304000_NS8EqualityEEEPlJSF_EEE10hipError_tPvRmT3_T4_T5_T6_T7_T9_mT8_P12ihipStream_tbDpT10_ENKUlT_T0_E_clISt17integral_constantIbLb0EES19_IbLb1EEEEDaS15_S16_EUlS15_E_NS1_11comp_targetILNS1_3genE2ELNS1_11target_archE906ELNS1_3gpuE6ELNS1_3repE0EEENS1_30default_config_static_selectorELNS0_4arch9wavefront6targetE0EEEvT1_
		.amdhsa_group_segment_fixed_size 0
		.amdhsa_private_segment_fixed_size 0
		.amdhsa_kernarg_size 128
		.amdhsa_user_sgpr_count 2
		.amdhsa_user_sgpr_dispatch_ptr 0
		.amdhsa_user_sgpr_queue_ptr 0
		.amdhsa_user_sgpr_kernarg_segment_ptr 1
		.amdhsa_user_sgpr_dispatch_id 0
		.amdhsa_user_sgpr_kernarg_preload_length 0
		.amdhsa_user_sgpr_kernarg_preload_offset 0
		.amdhsa_user_sgpr_private_segment_size 0
		.amdhsa_wavefront_size32 1
		.amdhsa_uses_dynamic_stack 0
		.amdhsa_enable_private_segment 0
		.amdhsa_system_sgpr_workgroup_id_x 1
		.amdhsa_system_sgpr_workgroup_id_y 0
		.amdhsa_system_sgpr_workgroup_id_z 0
		.amdhsa_system_sgpr_workgroup_info 0
		.amdhsa_system_vgpr_workitem_id 0
		.amdhsa_next_free_vgpr 1
		.amdhsa_next_free_sgpr 1
		.amdhsa_named_barrier_count 0
		.amdhsa_reserve_vcc 0
		.amdhsa_float_round_mode_32 0
		.amdhsa_float_round_mode_16_64 0
		.amdhsa_float_denorm_mode_32 3
		.amdhsa_float_denorm_mode_16_64 3
		.amdhsa_fp16_overflow 0
		.amdhsa_memory_ordered 1
		.amdhsa_forward_progress 1
		.amdhsa_inst_pref_size 0
		.amdhsa_round_robin_scheduling 0
		.amdhsa_exception_fp_ieee_invalid_op 0
		.amdhsa_exception_fp_denorm_src 0
		.amdhsa_exception_fp_ieee_div_zero 0
		.amdhsa_exception_fp_ieee_overflow 0
		.amdhsa_exception_fp_ieee_underflow 0
		.amdhsa_exception_fp_ieee_inexact 0
		.amdhsa_exception_int_div_zero 0
	.end_amdhsa_kernel
	.section	.text._ZN7rocprim17ROCPRIM_400000_NS6detail17trampoline_kernelINS0_14default_configENS1_25partition_config_selectorILNS1_17partition_subalgoE9EiibEEZZNS1_14partition_implILS5_9ELb0ES3_jPKiN6thrust23THRUST_200600_302600_NS17counting_iteratorIiNSB_11use_defaultESD_SD_EEPNS0_10empty_typeENS0_5tupleIJPiSF_EEENSH_IJSI_SG_EEENS0_18inequality_wrapperIN6hipcub16HIPCUB_304000_NS8EqualityEEEPlJSF_EEE10hipError_tPvRmT3_T4_T5_T6_T7_T9_mT8_P12ihipStream_tbDpT10_ENKUlT_T0_E_clISt17integral_constantIbLb0EES19_IbLb1EEEEDaS15_S16_EUlS15_E_NS1_11comp_targetILNS1_3genE2ELNS1_11target_archE906ELNS1_3gpuE6ELNS1_3repE0EEENS1_30default_config_static_selectorELNS0_4arch9wavefront6targetE0EEEvT1_,"axG",@progbits,_ZN7rocprim17ROCPRIM_400000_NS6detail17trampoline_kernelINS0_14default_configENS1_25partition_config_selectorILNS1_17partition_subalgoE9EiibEEZZNS1_14partition_implILS5_9ELb0ES3_jPKiN6thrust23THRUST_200600_302600_NS17counting_iteratorIiNSB_11use_defaultESD_SD_EEPNS0_10empty_typeENS0_5tupleIJPiSF_EEENSH_IJSI_SG_EEENS0_18inequality_wrapperIN6hipcub16HIPCUB_304000_NS8EqualityEEEPlJSF_EEE10hipError_tPvRmT3_T4_T5_T6_T7_T9_mT8_P12ihipStream_tbDpT10_ENKUlT_T0_E_clISt17integral_constantIbLb0EES19_IbLb1EEEEDaS15_S16_EUlS15_E_NS1_11comp_targetILNS1_3genE2ELNS1_11target_archE906ELNS1_3gpuE6ELNS1_3repE0EEENS1_30default_config_static_selectorELNS0_4arch9wavefront6targetE0EEEvT1_,comdat
.Lfunc_end40:
	.size	_ZN7rocprim17ROCPRIM_400000_NS6detail17trampoline_kernelINS0_14default_configENS1_25partition_config_selectorILNS1_17partition_subalgoE9EiibEEZZNS1_14partition_implILS5_9ELb0ES3_jPKiN6thrust23THRUST_200600_302600_NS17counting_iteratorIiNSB_11use_defaultESD_SD_EEPNS0_10empty_typeENS0_5tupleIJPiSF_EEENSH_IJSI_SG_EEENS0_18inequality_wrapperIN6hipcub16HIPCUB_304000_NS8EqualityEEEPlJSF_EEE10hipError_tPvRmT3_T4_T5_T6_T7_T9_mT8_P12ihipStream_tbDpT10_ENKUlT_T0_E_clISt17integral_constantIbLb0EES19_IbLb1EEEEDaS15_S16_EUlS15_E_NS1_11comp_targetILNS1_3genE2ELNS1_11target_archE906ELNS1_3gpuE6ELNS1_3repE0EEENS1_30default_config_static_selectorELNS0_4arch9wavefront6targetE0EEEvT1_, .Lfunc_end40-_ZN7rocprim17ROCPRIM_400000_NS6detail17trampoline_kernelINS0_14default_configENS1_25partition_config_selectorILNS1_17partition_subalgoE9EiibEEZZNS1_14partition_implILS5_9ELb0ES3_jPKiN6thrust23THRUST_200600_302600_NS17counting_iteratorIiNSB_11use_defaultESD_SD_EEPNS0_10empty_typeENS0_5tupleIJPiSF_EEENSH_IJSI_SG_EEENS0_18inequality_wrapperIN6hipcub16HIPCUB_304000_NS8EqualityEEEPlJSF_EEE10hipError_tPvRmT3_T4_T5_T6_T7_T9_mT8_P12ihipStream_tbDpT10_ENKUlT_T0_E_clISt17integral_constantIbLb0EES19_IbLb1EEEEDaS15_S16_EUlS15_E_NS1_11comp_targetILNS1_3genE2ELNS1_11target_archE906ELNS1_3gpuE6ELNS1_3repE0EEENS1_30default_config_static_selectorELNS0_4arch9wavefront6targetE0EEEvT1_
                                        ; -- End function
	.set _ZN7rocprim17ROCPRIM_400000_NS6detail17trampoline_kernelINS0_14default_configENS1_25partition_config_selectorILNS1_17partition_subalgoE9EiibEEZZNS1_14partition_implILS5_9ELb0ES3_jPKiN6thrust23THRUST_200600_302600_NS17counting_iteratorIiNSB_11use_defaultESD_SD_EEPNS0_10empty_typeENS0_5tupleIJPiSF_EEENSH_IJSI_SG_EEENS0_18inequality_wrapperIN6hipcub16HIPCUB_304000_NS8EqualityEEEPlJSF_EEE10hipError_tPvRmT3_T4_T5_T6_T7_T9_mT8_P12ihipStream_tbDpT10_ENKUlT_T0_E_clISt17integral_constantIbLb0EES19_IbLb1EEEEDaS15_S16_EUlS15_E_NS1_11comp_targetILNS1_3genE2ELNS1_11target_archE906ELNS1_3gpuE6ELNS1_3repE0EEENS1_30default_config_static_selectorELNS0_4arch9wavefront6targetE0EEEvT1_.num_vgpr, 0
	.set _ZN7rocprim17ROCPRIM_400000_NS6detail17trampoline_kernelINS0_14default_configENS1_25partition_config_selectorILNS1_17partition_subalgoE9EiibEEZZNS1_14partition_implILS5_9ELb0ES3_jPKiN6thrust23THRUST_200600_302600_NS17counting_iteratorIiNSB_11use_defaultESD_SD_EEPNS0_10empty_typeENS0_5tupleIJPiSF_EEENSH_IJSI_SG_EEENS0_18inequality_wrapperIN6hipcub16HIPCUB_304000_NS8EqualityEEEPlJSF_EEE10hipError_tPvRmT3_T4_T5_T6_T7_T9_mT8_P12ihipStream_tbDpT10_ENKUlT_T0_E_clISt17integral_constantIbLb0EES19_IbLb1EEEEDaS15_S16_EUlS15_E_NS1_11comp_targetILNS1_3genE2ELNS1_11target_archE906ELNS1_3gpuE6ELNS1_3repE0EEENS1_30default_config_static_selectorELNS0_4arch9wavefront6targetE0EEEvT1_.num_agpr, 0
	.set _ZN7rocprim17ROCPRIM_400000_NS6detail17trampoline_kernelINS0_14default_configENS1_25partition_config_selectorILNS1_17partition_subalgoE9EiibEEZZNS1_14partition_implILS5_9ELb0ES3_jPKiN6thrust23THRUST_200600_302600_NS17counting_iteratorIiNSB_11use_defaultESD_SD_EEPNS0_10empty_typeENS0_5tupleIJPiSF_EEENSH_IJSI_SG_EEENS0_18inequality_wrapperIN6hipcub16HIPCUB_304000_NS8EqualityEEEPlJSF_EEE10hipError_tPvRmT3_T4_T5_T6_T7_T9_mT8_P12ihipStream_tbDpT10_ENKUlT_T0_E_clISt17integral_constantIbLb0EES19_IbLb1EEEEDaS15_S16_EUlS15_E_NS1_11comp_targetILNS1_3genE2ELNS1_11target_archE906ELNS1_3gpuE6ELNS1_3repE0EEENS1_30default_config_static_selectorELNS0_4arch9wavefront6targetE0EEEvT1_.numbered_sgpr, 0
	.set _ZN7rocprim17ROCPRIM_400000_NS6detail17trampoline_kernelINS0_14default_configENS1_25partition_config_selectorILNS1_17partition_subalgoE9EiibEEZZNS1_14partition_implILS5_9ELb0ES3_jPKiN6thrust23THRUST_200600_302600_NS17counting_iteratorIiNSB_11use_defaultESD_SD_EEPNS0_10empty_typeENS0_5tupleIJPiSF_EEENSH_IJSI_SG_EEENS0_18inequality_wrapperIN6hipcub16HIPCUB_304000_NS8EqualityEEEPlJSF_EEE10hipError_tPvRmT3_T4_T5_T6_T7_T9_mT8_P12ihipStream_tbDpT10_ENKUlT_T0_E_clISt17integral_constantIbLb0EES19_IbLb1EEEEDaS15_S16_EUlS15_E_NS1_11comp_targetILNS1_3genE2ELNS1_11target_archE906ELNS1_3gpuE6ELNS1_3repE0EEENS1_30default_config_static_selectorELNS0_4arch9wavefront6targetE0EEEvT1_.num_named_barrier, 0
	.set _ZN7rocprim17ROCPRIM_400000_NS6detail17trampoline_kernelINS0_14default_configENS1_25partition_config_selectorILNS1_17partition_subalgoE9EiibEEZZNS1_14partition_implILS5_9ELb0ES3_jPKiN6thrust23THRUST_200600_302600_NS17counting_iteratorIiNSB_11use_defaultESD_SD_EEPNS0_10empty_typeENS0_5tupleIJPiSF_EEENSH_IJSI_SG_EEENS0_18inequality_wrapperIN6hipcub16HIPCUB_304000_NS8EqualityEEEPlJSF_EEE10hipError_tPvRmT3_T4_T5_T6_T7_T9_mT8_P12ihipStream_tbDpT10_ENKUlT_T0_E_clISt17integral_constantIbLb0EES19_IbLb1EEEEDaS15_S16_EUlS15_E_NS1_11comp_targetILNS1_3genE2ELNS1_11target_archE906ELNS1_3gpuE6ELNS1_3repE0EEENS1_30default_config_static_selectorELNS0_4arch9wavefront6targetE0EEEvT1_.private_seg_size, 0
	.set _ZN7rocprim17ROCPRIM_400000_NS6detail17trampoline_kernelINS0_14default_configENS1_25partition_config_selectorILNS1_17partition_subalgoE9EiibEEZZNS1_14partition_implILS5_9ELb0ES3_jPKiN6thrust23THRUST_200600_302600_NS17counting_iteratorIiNSB_11use_defaultESD_SD_EEPNS0_10empty_typeENS0_5tupleIJPiSF_EEENSH_IJSI_SG_EEENS0_18inequality_wrapperIN6hipcub16HIPCUB_304000_NS8EqualityEEEPlJSF_EEE10hipError_tPvRmT3_T4_T5_T6_T7_T9_mT8_P12ihipStream_tbDpT10_ENKUlT_T0_E_clISt17integral_constantIbLb0EES19_IbLb1EEEEDaS15_S16_EUlS15_E_NS1_11comp_targetILNS1_3genE2ELNS1_11target_archE906ELNS1_3gpuE6ELNS1_3repE0EEENS1_30default_config_static_selectorELNS0_4arch9wavefront6targetE0EEEvT1_.uses_vcc, 0
	.set _ZN7rocprim17ROCPRIM_400000_NS6detail17trampoline_kernelINS0_14default_configENS1_25partition_config_selectorILNS1_17partition_subalgoE9EiibEEZZNS1_14partition_implILS5_9ELb0ES3_jPKiN6thrust23THRUST_200600_302600_NS17counting_iteratorIiNSB_11use_defaultESD_SD_EEPNS0_10empty_typeENS0_5tupleIJPiSF_EEENSH_IJSI_SG_EEENS0_18inequality_wrapperIN6hipcub16HIPCUB_304000_NS8EqualityEEEPlJSF_EEE10hipError_tPvRmT3_T4_T5_T6_T7_T9_mT8_P12ihipStream_tbDpT10_ENKUlT_T0_E_clISt17integral_constantIbLb0EES19_IbLb1EEEEDaS15_S16_EUlS15_E_NS1_11comp_targetILNS1_3genE2ELNS1_11target_archE906ELNS1_3gpuE6ELNS1_3repE0EEENS1_30default_config_static_selectorELNS0_4arch9wavefront6targetE0EEEvT1_.uses_flat_scratch, 0
	.set _ZN7rocprim17ROCPRIM_400000_NS6detail17trampoline_kernelINS0_14default_configENS1_25partition_config_selectorILNS1_17partition_subalgoE9EiibEEZZNS1_14partition_implILS5_9ELb0ES3_jPKiN6thrust23THRUST_200600_302600_NS17counting_iteratorIiNSB_11use_defaultESD_SD_EEPNS0_10empty_typeENS0_5tupleIJPiSF_EEENSH_IJSI_SG_EEENS0_18inequality_wrapperIN6hipcub16HIPCUB_304000_NS8EqualityEEEPlJSF_EEE10hipError_tPvRmT3_T4_T5_T6_T7_T9_mT8_P12ihipStream_tbDpT10_ENKUlT_T0_E_clISt17integral_constantIbLb0EES19_IbLb1EEEEDaS15_S16_EUlS15_E_NS1_11comp_targetILNS1_3genE2ELNS1_11target_archE906ELNS1_3gpuE6ELNS1_3repE0EEENS1_30default_config_static_selectorELNS0_4arch9wavefront6targetE0EEEvT1_.has_dyn_sized_stack, 0
	.set _ZN7rocprim17ROCPRIM_400000_NS6detail17trampoline_kernelINS0_14default_configENS1_25partition_config_selectorILNS1_17partition_subalgoE9EiibEEZZNS1_14partition_implILS5_9ELb0ES3_jPKiN6thrust23THRUST_200600_302600_NS17counting_iteratorIiNSB_11use_defaultESD_SD_EEPNS0_10empty_typeENS0_5tupleIJPiSF_EEENSH_IJSI_SG_EEENS0_18inequality_wrapperIN6hipcub16HIPCUB_304000_NS8EqualityEEEPlJSF_EEE10hipError_tPvRmT3_T4_T5_T6_T7_T9_mT8_P12ihipStream_tbDpT10_ENKUlT_T0_E_clISt17integral_constantIbLb0EES19_IbLb1EEEEDaS15_S16_EUlS15_E_NS1_11comp_targetILNS1_3genE2ELNS1_11target_archE906ELNS1_3gpuE6ELNS1_3repE0EEENS1_30default_config_static_selectorELNS0_4arch9wavefront6targetE0EEEvT1_.has_recursion, 0
	.set _ZN7rocprim17ROCPRIM_400000_NS6detail17trampoline_kernelINS0_14default_configENS1_25partition_config_selectorILNS1_17partition_subalgoE9EiibEEZZNS1_14partition_implILS5_9ELb0ES3_jPKiN6thrust23THRUST_200600_302600_NS17counting_iteratorIiNSB_11use_defaultESD_SD_EEPNS0_10empty_typeENS0_5tupleIJPiSF_EEENSH_IJSI_SG_EEENS0_18inequality_wrapperIN6hipcub16HIPCUB_304000_NS8EqualityEEEPlJSF_EEE10hipError_tPvRmT3_T4_T5_T6_T7_T9_mT8_P12ihipStream_tbDpT10_ENKUlT_T0_E_clISt17integral_constantIbLb0EES19_IbLb1EEEEDaS15_S16_EUlS15_E_NS1_11comp_targetILNS1_3genE2ELNS1_11target_archE906ELNS1_3gpuE6ELNS1_3repE0EEENS1_30default_config_static_selectorELNS0_4arch9wavefront6targetE0EEEvT1_.has_indirect_call, 0
	.section	.AMDGPU.csdata,"",@progbits
; Kernel info:
; codeLenInByte = 0
; TotalNumSgprs: 0
; NumVgprs: 0
; ScratchSize: 0
; MemoryBound: 0
; FloatMode: 240
; IeeeMode: 1
; LDSByteSize: 0 bytes/workgroup (compile time only)
; SGPRBlocks: 0
; VGPRBlocks: 0
; NumSGPRsForWavesPerEU: 1
; NumVGPRsForWavesPerEU: 1
; NamedBarCnt: 0
; Occupancy: 16
; WaveLimiterHint : 0
; COMPUTE_PGM_RSRC2:SCRATCH_EN: 0
; COMPUTE_PGM_RSRC2:USER_SGPR: 2
; COMPUTE_PGM_RSRC2:TRAP_HANDLER: 0
; COMPUTE_PGM_RSRC2:TGID_X_EN: 1
; COMPUTE_PGM_RSRC2:TGID_Y_EN: 0
; COMPUTE_PGM_RSRC2:TGID_Z_EN: 0
; COMPUTE_PGM_RSRC2:TIDIG_COMP_CNT: 0
	.section	.text._ZN7rocprim17ROCPRIM_400000_NS6detail17trampoline_kernelINS0_14default_configENS1_25partition_config_selectorILNS1_17partition_subalgoE9EiibEEZZNS1_14partition_implILS5_9ELb0ES3_jPKiN6thrust23THRUST_200600_302600_NS17counting_iteratorIiNSB_11use_defaultESD_SD_EEPNS0_10empty_typeENS0_5tupleIJPiSF_EEENSH_IJSI_SG_EEENS0_18inequality_wrapperIN6hipcub16HIPCUB_304000_NS8EqualityEEEPlJSF_EEE10hipError_tPvRmT3_T4_T5_T6_T7_T9_mT8_P12ihipStream_tbDpT10_ENKUlT_T0_E_clISt17integral_constantIbLb0EES19_IbLb1EEEEDaS15_S16_EUlS15_E_NS1_11comp_targetILNS1_3genE10ELNS1_11target_archE1200ELNS1_3gpuE4ELNS1_3repE0EEENS1_30default_config_static_selectorELNS0_4arch9wavefront6targetE0EEEvT1_,"axG",@progbits,_ZN7rocprim17ROCPRIM_400000_NS6detail17trampoline_kernelINS0_14default_configENS1_25partition_config_selectorILNS1_17partition_subalgoE9EiibEEZZNS1_14partition_implILS5_9ELb0ES3_jPKiN6thrust23THRUST_200600_302600_NS17counting_iteratorIiNSB_11use_defaultESD_SD_EEPNS0_10empty_typeENS0_5tupleIJPiSF_EEENSH_IJSI_SG_EEENS0_18inequality_wrapperIN6hipcub16HIPCUB_304000_NS8EqualityEEEPlJSF_EEE10hipError_tPvRmT3_T4_T5_T6_T7_T9_mT8_P12ihipStream_tbDpT10_ENKUlT_T0_E_clISt17integral_constantIbLb0EES19_IbLb1EEEEDaS15_S16_EUlS15_E_NS1_11comp_targetILNS1_3genE10ELNS1_11target_archE1200ELNS1_3gpuE4ELNS1_3repE0EEENS1_30default_config_static_selectorELNS0_4arch9wavefront6targetE0EEEvT1_,comdat
	.protected	_ZN7rocprim17ROCPRIM_400000_NS6detail17trampoline_kernelINS0_14default_configENS1_25partition_config_selectorILNS1_17partition_subalgoE9EiibEEZZNS1_14partition_implILS5_9ELb0ES3_jPKiN6thrust23THRUST_200600_302600_NS17counting_iteratorIiNSB_11use_defaultESD_SD_EEPNS0_10empty_typeENS0_5tupleIJPiSF_EEENSH_IJSI_SG_EEENS0_18inequality_wrapperIN6hipcub16HIPCUB_304000_NS8EqualityEEEPlJSF_EEE10hipError_tPvRmT3_T4_T5_T6_T7_T9_mT8_P12ihipStream_tbDpT10_ENKUlT_T0_E_clISt17integral_constantIbLb0EES19_IbLb1EEEEDaS15_S16_EUlS15_E_NS1_11comp_targetILNS1_3genE10ELNS1_11target_archE1200ELNS1_3gpuE4ELNS1_3repE0EEENS1_30default_config_static_selectorELNS0_4arch9wavefront6targetE0EEEvT1_ ; -- Begin function _ZN7rocprim17ROCPRIM_400000_NS6detail17trampoline_kernelINS0_14default_configENS1_25partition_config_selectorILNS1_17partition_subalgoE9EiibEEZZNS1_14partition_implILS5_9ELb0ES3_jPKiN6thrust23THRUST_200600_302600_NS17counting_iteratorIiNSB_11use_defaultESD_SD_EEPNS0_10empty_typeENS0_5tupleIJPiSF_EEENSH_IJSI_SG_EEENS0_18inequality_wrapperIN6hipcub16HIPCUB_304000_NS8EqualityEEEPlJSF_EEE10hipError_tPvRmT3_T4_T5_T6_T7_T9_mT8_P12ihipStream_tbDpT10_ENKUlT_T0_E_clISt17integral_constantIbLb0EES19_IbLb1EEEEDaS15_S16_EUlS15_E_NS1_11comp_targetILNS1_3genE10ELNS1_11target_archE1200ELNS1_3gpuE4ELNS1_3repE0EEENS1_30default_config_static_selectorELNS0_4arch9wavefront6targetE0EEEvT1_
	.globl	_ZN7rocprim17ROCPRIM_400000_NS6detail17trampoline_kernelINS0_14default_configENS1_25partition_config_selectorILNS1_17partition_subalgoE9EiibEEZZNS1_14partition_implILS5_9ELb0ES3_jPKiN6thrust23THRUST_200600_302600_NS17counting_iteratorIiNSB_11use_defaultESD_SD_EEPNS0_10empty_typeENS0_5tupleIJPiSF_EEENSH_IJSI_SG_EEENS0_18inequality_wrapperIN6hipcub16HIPCUB_304000_NS8EqualityEEEPlJSF_EEE10hipError_tPvRmT3_T4_T5_T6_T7_T9_mT8_P12ihipStream_tbDpT10_ENKUlT_T0_E_clISt17integral_constantIbLb0EES19_IbLb1EEEEDaS15_S16_EUlS15_E_NS1_11comp_targetILNS1_3genE10ELNS1_11target_archE1200ELNS1_3gpuE4ELNS1_3repE0EEENS1_30default_config_static_selectorELNS0_4arch9wavefront6targetE0EEEvT1_
	.p2align	8
	.type	_ZN7rocprim17ROCPRIM_400000_NS6detail17trampoline_kernelINS0_14default_configENS1_25partition_config_selectorILNS1_17partition_subalgoE9EiibEEZZNS1_14partition_implILS5_9ELb0ES3_jPKiN6thrust23THRUST_200600_302600_NS17counting_iteratorIiNSB_11use_defaultESD_SD_EEPNS0_10empty_typeENS0_5tupleIJPiSF_EEENSH_IJSI_SG_EEENS0_18inequality_wrapperIN6hipcub16HIPCUB_304000_NS8EqualityEEEPlJSF_EEE10hipError_tPvRmT3_T4_T5_T6_T7_T9_mT8_P12ihipStream_tbDpT10_ENKUlT_T0_E_clISt17integral_constantIbLb0EES19_IbLb1EEEEDaS15_S16_EUlS15_E_NS1_11comp_targetILNS1_3genE10ELNS1_11target_archE1200ELNS1_3gpuE4ELNS1_3repE0EEENS1_30default_config_static_selectorELNS0_4arch9wavefront6targetE0EEEvT1_,@function
_ZN7rocprim17ROCPRIM_400000_NS6detail17trampoline_kernelINS0_14default_configENS1_25partition_config_selectorILNS1_17partition_subalgoE9EiibEEZZNS1_14partition_implILS5_9ELb0ES3_jPKiN6thrust23THRUST_200600_302600_NS17counting_iteratorIiNSB_11use_defaultESD_SD_EEPNS0_10empty_typeENS0_5tupleIJPiSF_EEENSH_IJSI_SG_EEENS0_18inequality_wrapperIN6hipcub16HIPCUB_304000_NS8EqualityEEEPlJSF_EEE10hipError_tPvRmT3_T4_T5_T6_T7_T9_mT8_P12ihipStream_tbDpT10_ENKUlT_T0_E_clISt17integral_constantIbLb0EES19_IbLb1EEEEDaS15_S16_EUlS15_E_NS1_11comp_targetILNS1_3genE10ELNS1_11target_archE1200ELNS1_3gpuE4ELNS1_3repE0EEENS1_30default_config_static_selectorELNS0_4arch9wavefront6targetE0EEEvT1_: ; @_ZN7rocprim17ROCPRIM_400000_NS6detail17trampoline_kernelINS0_14default_configENS1_25partition_config_selectorILNS1_17partition_subalgoE9EiibEEZZNS1_14partition_implILS5_9ELb0ES3_jPKiN6thrust23THRUST_200600_302600_NS17counting_iteratorIiNSB_11use_defaultESD_SD_EEPNS0_10empty_typeENS0_5tupleIJPiSF_EEENSH_IJSI_SG_EEENS0_18inequality_wrapperIN6hipcub16HIPCUB_304000_NS8EqualityEEEPlJSF_EEE10hipError_tPvRmT3_T4_T5_T6_T7_T9_mT8_P12ihipStream_tbDpT10_ENKUlT_T0_E_clISt17integral_constantIbLb0EES19_IbLb1EEEEDaS15_S16_EUlS15_E_NS1_11comp_targetILNS1_3genE10ELNS1_11target_archE1200ELNS1_3gpuE4ELNS1_3repE0EEENS1_30default_config_static_selectorELNS0_4arch9wavefront6targetE0EEEvT1_
; %bb.0:
	.section	.rodata,"a",@progbits
	.p2align	6, 0x0
	.amdhsa_kernel _ZN7rocprim17ROCPRIM_400000_NS6detail17trampoline_kernelINS0_14default_configENS1_25partition_config_selectorILNS1_17partition_subalgoE9EiibEEZZNS1_14partition_implILS5_9ELb0ES3_jPKiN6thrust23THRUST_200600_302600_NS17counting_iteratorIiNSB_11use_defaultESD_SD_EEPNS0_10empty_typeENS0_5tupleIJPiSF_EEENSH_IJSI_SG_EEENS0_18inequality_wrapperIN6hipcub16HIPCUB_304000_NS8EqualityEEEPlJSF_EEE10hipError_tPvRmT3_T4_T5_T6_T7_T9_mT8_P12ihipStream_tbDpT10_ENKUlT_T0_E_clISt17integral_constantIbLb0EES19_IbLb1EEEEDaS15_S16_EUlS15_E_NS1_11comp_targetILNS1_3genE10ELNS1_11target_archE1200ELNS1_3gpuE4ELNS1_3repE0EEENS1_30default_config_static_selectorELNS0_4arch9wavefront6targetE0EEEvT1_
		.amdhsa_group_segment_fixed_size 0
		.amdhsa_private_segment_fixed_size 0
		.amdhsa_kernarg_size 128
		.amdhsa_user_sgpr_count 2
		.amdhsa_user_sgpr_dispatch_ptr 0
		.amdhsa_user_sgpr_queue_ptr 0
		.amdhsa_user_sgpr_kernarg_segment_ptr 1
		.amdhsa_user_sgpr_dispatch_id 0
		.amdhsa_user_sgpr_kernarg_preload_length 0
		.amdhsa_user_sgpr_kernarg_preload_offset 0
		.amdhsa_user_sgpr_private_segment_size 0
		.amdhsa_wavefront_size32 1
		.amdhsa_uses_dynamic_stack 0
		.amdhsa_enable_private_segment 0
		.amdhsa_system_sgpr_workgroup_id_x 1
		.amdhsa_system_sgpr_workgroup_id_y 0
		.amdhsa_system_sgpr_workgroup_id_z 0
		.amdhsa_system_sgpr_workgroup_info 0
		.amdhsa_system_vgpr_workitem_id 0
		.amdhsa_next_free_vgpr 1
		.amdhsa_next_free_sgpr 1
		.amdhsa_named_barrier_count 0
		.amdhsa_reserve_vcc 0
		.amdhsa_float_round_mode_32 0
		.amdhsa_float_round_mode_16_64 0
		.amdhsa_float_denorm_mode_32 3
		.amdhsa_float_denorm_mode_16_64 3
		.amdhsa_fp16_overflow 0
		.amdhsa_memory_ordered 1
		.amdhsa_forward_progress 1
		.amdhsa_inst_pref_size 0
		.amdhsa_round_robin_scheduling 0
		.amdhsa_exception_fp_ieee_invalid_op 0
		.amdhsa_exception_fp_denorm_src 0
		.amdhsa_exception_fp_ieee_div_zero 0
		.amdhsa_exception_fp_ieee_overflow 0
		.amdhsa_exception_fp_ieee_underflow 0
		.amdhsa_exception_fp_ieee_inexact 0
		.amdhsa_exception_int_div_zero 0
	.end_amdhsa_kernel
	.section	.text._ZN7rocprim17ROCPRIM_400000_NS6detail17trampoline_kernelINS0_14default_configENS1_25partition_config_selectorILNS1_17partition_subalgoE9EiibEEZZNS1_14partition_implILS5_9ELb0ES3_jPKiN6thrust23THRUST_200600_302600_NS17counting_iteratorIiNSB_11use_defaultESD_SD_EEPNS0_10empty_typeENS0_5tupleIJPiSF_EEENSH_IJSI_SG_EEENS0_18inequality_wrapperIN6hipcub16HIPCUB_304000_NS8EqualityEEEPlJSF_EEE10hipError_tPvRmT3_T4_T5_T6_T7_T9_mT8_P12ihipStream_tbDpT10_ENKUlT_T0_E_clISt17integral_constantIbLb0EES19_IbLb1EEEEDaS15_S16_EUlS15_E_NS1_11comp_targetILNS1_3genE10ELNS1_11target_archE1200ELNS1_3gpuE4ELNS1_3repE0EEENS1_30default_config_static_selectorELNS0_4arch9wavefront6targetE0EEEvT1_,"axG",@progbits,_ZN7rocprim17ROCPRIM_400000_NS6detail17trampoline_kernelINS0_14default_configENS1_25partition_config_selectorILNS1_17partition_subalgoE9EiibEEZZNS1_14partition_implILS5_9ELb0ES3_jPKiN6thrust23THRUST_200600_302600_NS17counting_iteratorIiNSB_11use_defaultESD_SD_EEPNS0_10empty_typeENS0_5tupleIJPiSF_EEENSH_IJSI_SG_EEENS0_18inequality_wrapperIN6hipcub16HIPCUB_304000_NS8EqualityEEEPlJSF_EEE10hipError_tPvRmT3_T4_T5_T6_T7_T9_mT8_P12ihipStream_tbDpT10_ENKUlT_T0_E_clISt17integral_constantIbLb0EES19_IbLb1EEEEDaS15_S16_EUlS15_E_NS1_11comp_targetILNS1_3genE10ELNS1_11target_archE1200ELNS1_3gpuE4ELNS1_3repE0EEENS1_30default_config_static_selectorELNS0_4arch9wavefront6targetE0EEEvT1_,comdat
.Lfunc_end41:
	.size	_ZN7rocprim17ROCPRIM_400000_NS6detail17trampoline_kernelINS0_14default_configENS1_25partition_config_selectorILNS1_17partition_subalgoE9EiibEEZZNS1_14partition_implILS5_9ELb0ES3_jPKiN6thrust23THRUST_200600_302600_NS17counting_iteratorIiNSB_11use_defaultESD_SD_EEPNS0_10empty_typeENS0_5tupleIJPiSF_EEENSH_IJSI_SG_EEENS0_18inequality_wrapperIN6hipcub16HIPCUB_304000_NS8EqualityEEEPlJSF_EEE10hipError_tPvRmT3_T4_T5_T6_T7_T9_mT8_P12ihipStream_tbDpT10_ENKUlT_T0_E_clISt17integral_constantIbLb0EES19_IbLb1EEEEDaS15_S16_EUlS15_E_NS1_11comp_targetILNS1_3genE10ELNS1_11target_archE1200ELNS1_3gpuE4ELNS1_3repE0EEENS1_30default_config_static_selectorELNS0_4arch9wavefront6targetE0EEEvT1_, .Lfunc_end41-_ZN7rocprim17ROCPRIM_400000_NS6detail17trampoline_kernelINS0_14default_configENS1_25partition_config_selectorILNS1_17partition_subalgoE9EiibEEZZNS1_14partition_implILS5_9ELb0ES3_jPKiN6thrust23THRUST_200600_302600_NS17counting_iteratorIiNSB_11use_defaultESD_SD_EEPNS0_10empty_typeENS0_5tupleIJPiSF_EEENSH_IJSI_SG_EEENS0_18inequality_wrapperIN6hipcub16HIPCUB_304000_NS8EqualityEEEPlJSF_EEE10hipError_tPvRmT3_T4_T5_T6_T7_T9_mT8_P12ihipStream_tbDpT10_ENKUlT_T0_E_clISt17integral_constantIbLb0EES19_IbLb1EEEEDaS15_S16_EUlS15_E_NS1_11comp_targetILNS1_3genE10ELNS1_11target_archE1200ELNS1_3gpuE4ELNS1_3repE0EEENS1_30default_config_static_selectorELNS0_4arch9wavefront6targetE0EEEvT1_
                                        ; -- End function
	.set _ZN7rocprim17ROCPRIM_400000_NS6detail17trampoline_kernelINS0_14default_configENS1_25partition_config_selectorILNS1_17partition_subalgoE9EiibEEZZNS1_14partition_implILS5_9ELb0ES3_jPKiN6thrust23THRUST_200600_302600_NS17counting_iteratorIiNSB_11use_defaultESD_SD_EEPNS0_10empty_typeENS0_5tupleIJPiSF_EEENSH_IJSI_SG_EEENS0_18inequality_wrapperIN6hipcub16HIPCUB_304000_NS8EqualityEEEPlJSF_EEE10hipError_tPvRmT3_T4_T5_T6_T7_T9_mT8_P12ihipStream_tbDpT10_ENKUlT_T0_E_clISt17integral_constantIbLb0EES19_IbLb1EEEEDaS15_S16_EUlS15_E_NS1_11comp_targetILNS1_3genE10ELNS1_11target_archE1200ELNS1_3gpuE4ELNS1_3repE0EEENS1_30default_config_static_selectorELNS0_4arch9wavefront6targetE0EEEvT1_.num_vgpr, 0
	.set _ZN7rocprim17ROCPRIM_400000_NS6detail17trampoline_kernelINS0_14default_configENS1_25partition_config_selectorILNS1_17partition_subalgoE9EiibEEZZNS1_14partition_implILS5_9ELb0ES3_jPKiN6thrust23THRUST_200600_302600_NS17counting_iteratorIiNSB_11use_defaultESD_SD_EEPNS0_10empty_typeENS0_5tupleIJPiSF_EEENSH_IJSI_SG_EEENS0_18inequality_wrapperIN6hipcub16HIPCUB_304000_NS8EqualityEEEPlJSF_EEE10hipError_tPvRmT3_T4_T5_T6_T7_T9_mT8_P12ihipStream_tbDpT10_ENKUlT_T0_E_clISt17integral_constantIbLb0EES19_IbLb1EEEEDaS15_S16_EUlS15_E_NS1_11comp_targetILNS1_3genE10ELNS1_11target_archE1200ELNS1_3gpuE4ELNS1_3repE0EEENS1_30default_config_static_selectorELNS0_4arch9wavefront6targetE0EEEvT1_.num_agpr, 0
	.set _ZN7rocprim17ROCPRIM_400000_NS6detail17trampoline_kernelINS0_14default_configENS1_25partition_config_selectorILNS1_17partition_subalgoE9EiibEEZZNS1_14partition_implILS5_9ELb0ES3_jPKiN6thrust23THRUST_200600_302600_NS17counting_iteratorIiNSB_11use_defaultESD_SD_EEPNS0_10empty_typeENS0_5tupleIJPiSF_EEENSH_IJSI_SG_EEENS0_18inequality_wrapperIN6hipcub16HIPCUB_304000_NS8EqualityEEEPlJSF_EEE10hipError_tPvRmT3_T4_T5_T6_T7_T9_mT8_P12ihipStream_tbDpT10_ENKUlT_T0_E_clISt17integral_constantIbLb0EES19_IbLb1EEEEDaS15_S16_EUlS15_E_NS1_11comp_targetILNS1_3genE10ELNS1_11target_archE1200ELNS1_3gpuE4ELNS1_3repE0EEENS1_30default_config_static_selectorELNS0_4arch9wavefront6targetE0EEEvT1_.numbered_sgpr, 0
	.set _ZN7rocprim17ROCPRIM_400000_NS6detail17trampoline_kernelINS0_14default_configENS1_25partition_config_selectorILNS1_17partition_subalgoE9EiibEEZZNS1_14partition_implILS5_9ELb0ES3_jPKiN6thrust23THRUST_200600_302600_NS17counting_iteratorIiNSB_11use_defaultESD_SD_EEPNS0_10empty_typeENS0_5tupleIJPiSF_EEENSH_IJSI_SG_EEENS0_18inequality_wrapperIN6hipcub16HIPCUB_304000_NS8EqualityEEEPlJSF_EEE10hipError_tPvRmT3_T4_T5_T6_T7_T9_mT8_P12ihipStream_tbDpT10_ENKUlT_T0_E_clISt17integral_constantIbLb0EES19_IbLb1EEEEDaS15_S16_EUlS15_E_NS1_11comp_targetILNS1_3genE10ELNS1_11target_archE1200ELNS1_3gpuE4ELNS1_3repE0EEENS1_30default_config_static_selectorELNS0_4arch9wavefront6targetE0EEEvT1_.num_named_barrier, 0
	.set _ZN7rocprim17ROCPRIM_400000_NS6detail17trampoline_kernelINS0_14default_configENS1_25partition_config_selectorILNS1_17partition_subalgoE9EiibEEZZNS1_14partition_implILS5_9ELb0ES3_jPKiN6thrust23THRUST_200600_302600_NS17counting_iteratorIiNSB_11use_defaultESD_SD_EEPNS0_10empty_typeENS0_5tupleIJPiSF_EEENSH_IJSI_SG_EEENS0_18inequality_wrapperIN6hipcub16HIPCUB_304000_NS8EqualityEEEPlJSF_EEE10hipError_tPvRmT3_T4_T5_T6_T7_T9_mT8_P12ihipStream_tbDpT10_ENKUlT_T0_E_clISt17integral_constantIbLb0EES19_IbLb1EEEEDaS15_S16_EUlS15_E_NS1_11comp_targetILNS1_3genE10ELNS1_11target_archE1200ELNS1_3gpuE4ELNS1_3repE0EEENS1_30default_config_static_selectorELNS0_4arch9wavefront6targetE0EEEvT1_.private_seg_size, 0
	.set _ZN7rocprim17ROCPRIM_400000_NS6detail17trampoline_kernelINS0_14default_configENS1_25partition_config_selectorILNS1_17partition_subalgoE9EiibEEZZNS1_14partition_implILS5_9ELb0ES3_jPKiN6thrust23THRUST_200600_302600_NS17counting_iteratorIiNSB_11use_defaultESD_SD_EEPNS0_10empty_typeENS0_5tupleIJPiSF_EEENSH_IJSI_SG_EEENS0_18inequality_wrapperIN6hipcub16HIPCUB_304000_NS8EqualityEEEPlJSF_EEE10hipError_tPvRmT3_T4_T5_T6_T7_T9_mT8_P12ihipStream_tbDpT10_ENKUlT_T0_E_clISt17integral_constantIbLb0EES19_IbLb1EEEEDaS15_S16_EUlS15_E_NS1_11comp_targetILNS1_3genE10ELNS1_11target_archE1200ELNS1_3gpuE4ELNS1_3repE0EEENS1_30default_config_static_selectorELNS0_4arch9wavefront6targetE0EEEvT1_.uses_vcc, 0
	.set _ZN7rocprim17ROCPRIM_400000_NS6detail17trampoline_kernelINS0_14default_configENS1_25partition_config_selectorILNS1_17partition_subalgoE9EiibEEZZNS1_14partition_implILS5_9ELb0ES3_jPKiN6thrust23THRUST_200600_302600_NS17counting_iteratorIiNSB_11use_defaultESD_SD_EEPNS0_10empty_typeENS0_5tupleIJPiSF_EEENSH_IJSI_SG_EEENS0_18inequality_wrapperIN6hipcub16HIPCUB_304000_NS8EqualityEEEPlJSF_EEE10hipError_tPvRmT3_T4_T5_T6_T7_T9_mT8_P12ihipStream_tbDpT10_ENKUlT_T0_E_clISt17integral_constantIbLb0EES19_IbLb1EEEEDaS15_S16_EUlS15_E_NS1_11comp_targetILNS1_3genE10ELNS1_11target_archE1200ELNS1_3gpuE4ELNS1_3repE0EEENS1_30default_config_static_selectorELNS0_4arch9wavefront6targetE0EEEvT1_.uses_flat_scratch, 0
	.set _ZN7rocprim17ROCPRIM_400000_NS6detail17trampoline_kernelINS0_14default_configENS1_25partition_config_selectorILNS1_17partition_subalgoE9EiibEEZZNS1_14partition_implILS5_9ELb0ES3_jPKiN6thrust23THRUST_200600_302600_NS17counting_iteratorIiNSB_11use_defaultESD_SD_EEPNS0_10empty_typeENS0_5tupleIJPiSF_EEENSH_IJSI_SG_EEENS0_18inequality_wrapperIN6hipcub16HIPCUB_304000_NS8EqualityEEEPlJSF_EEE10hipError_tPvRmT3_T4_T5_T6_T7_T9_mT8_P12ihipStream_tbDpT10_ENKUlT_T0_E_clISt17integral_constantIbLb0EES19_IbLb1EEEEDaS15_S16_EUlS15_E_NS1_11comp_targetILNS1_3genE10ELNS1_11target_archE1200ELNS1_3gpuE4ELNS1_3repE0EEENS1_30default_config_static_selectorELNS0_4arch9wavefront6targetE0EEEvT1_.has_dyn_sized_stack, 0
	.set _ZN7rocprim17ROCPRIM_400000_NS6detail17trampoline_kernelINS0_14default_configENS1_25partition_config_selectorILNS1_17partition_subalgoE9EiibEEZZNS1_14partition_implILS5_9ELb0ES3_jPKiN6thrust23THRUST_200600_302600_NS17counting_iteratorIiNSB_11use_defaultESD_SD_EEPNS0_10empty_typeENS0_5tupleIJPiSF_EEENSH_IJSI_SG_EEENS0_18inequality_wrapperIN6hipcub16HIPCUB_304000_NS8EqualityEEEPlJSF_EEE10hipError_tPvRmT3_T4_T5_T6_T7_T9_mT8_P12ihipStream_tbDpT10_ENKUlT_T0_E_clISt17integral_constantIbLb0EES19_IbLb1EEEEDaS15_S16_EUlS15_E_NS1_11comp_targetILNS1_3genE10ELNS1_11target_archE1200ELNS1_3gpuE4ELNS1_3repE0EEENS1_30default_config_static_selectorELNS0_4arch9wavefront6targetE0EEEvT1_.has_recursion, 0
	.set _ZN7rocprim17ROCPRIM_400000_NS6detail17trampoline_kernelINS0_14default_configENS1_25partition_config_selectorILNS1_17partition_subalgoE9EiibEEZZNS1_14partition_implILS5_9ELb0ES3_jPKiN6thrust23THRUST_200600_302600_NS17counting_iteratorIiNSB_11use_defaultESD_SD_EEPNS0_10empty_typeENS0_5tupleIJPiSF_EEENSH_IJSI_SG_EEENS0_18inequality_wrapperIN6hipcub16HIPCUB_304000_NS8EqualityEEEPlJSF_EEE10hipError_tPvRmT3_T4_T5_T6_T7_T9_mT8_P12ihipStream_tbDpT10_ENKUlT_T0_E_clISt17integral_constantIbLb0EES19_IbLb1EEEEDaS15_S16_EUlS15_E_NS1_11comp_targetILNS1_3genE10ELNS1_11target_archE1200ELNS1_3gpuE4ELNS1_3repE0EEENS1_30default_config_static_selectorELNS0_4arch9wavefront6targetE0EEEvT1_.has_indirect_call, 0
	.section	.AMDGPU.csdata,"",@progbits
; Kernel info:
; codeLenInByte = 0
; TotalNumSgprs: 0
; NumVgprs: 0
; ScratchSize: 0
; MemoryBound: 0
; FloatMode: 240
; IeeeMode: 1
; LDSByteSize: 0 bytes/workgroup (compile time only)
; SGPRBlocks: 0
; VGPRBlocks: 0
; NumSGPRsForWavesPerEU: 1
; NumVGPRsForWavesPerEU: 1
; NamedBarCnt: 0
; Occupancy: 16
; WaveLimiterHint : 0
; COMPUTE_PGM_RSRC2:SCRATCH_EN: 0
; COMPUTE_PGM_RSRC2:USER_SGPR: 2
; COMPUTE_PGM_RSRC2:TRAP_HANDLER: 0
; COMPUTE_PGM_RSRC2:TGID_X_EN: 1
; COMPUTE_PGM_RSRC2:TGID_Y_EN: 0
; COMPUTE_PGM_RSRC2:TGID_Z_EN: 0
; COMPUTE_PGM_RSRC2:TIDIG_COMP_CNT: 0
	.section	.text._ZN7rocprim17ROCPRIM_400000_NS6detail17trampoline_kernelINS0_14default_configENS1_25partition_config_selectorILNS1_17partition_subalgoE9EiibEEZZNS1_14partition_implILS5_9ELb0ES3_jPKiN6thrust23THRUST_200600_302600_NS17counting_iteratorIiNSB_11use_defaultESD_SD_EEPNS0_10empty_typeENS0_5tupleIJPiSF_EEENSH_IJSI_SG_EEENS0_18inequality_wrapperIN6hipcub16HIPCUB_304000_NS8EqualityEEEPlJSF_EEE10hipError_tPvRmT3_T4_T5_T6_T7_T9_mT8_P12ihipStream_tbDpT10_ENKUlT_T0_E_clISt17integral_constantIbLb0EES19_IbLb1EEEEDaS15_S16_EUlS15_E_NS1_11comp_targetILNS1_3genE9ELNS1_11target_archE1100ELNS1_3gpuE3ELNS1_3repE0EEENS1_30default_config_static_selectorELNS0_4arch9wavefront6targetE0EEEvT1_,"axG",@progbits,_ZN7rocprim17ROCPRIM_400000_NS6detail17trampoline_kernelINS0_14default_configENS1_25partition_config_selectorILNS1_17partition_subalgoE9EiibEEZZNS1_14partition_implILS5_9ELb0ES3_jPKiN6thrust23THRUST_200600_302600_NS17counting_iteratorIiNSB_11use_defaultESD_SD_EEPNS0_10empty_typeENS0_5tupleIJPiSF_EEENSH_IJSI_SG_EEENS0_18inequality_wrapperIN6hipcub16HIPCUB_304000_NS8EqualityEEEPlJSF_EEE10hipError_tPvRmT3_T4_T5_T6_T7_T9_mT8_P12ihipStream_tbDpT10_ENKUlT_T0_E_clISt17integral_constantIbLb0EES19_IbLb1EEEEDaS15_S16_EUlS15_E_NS1_11comp_targetILNS1_3genE9ELNS1_11target_archE1100ELNS1_3gpuE3ELNS1_3repE0EEENS1_30default_config_static_selectorELNS0_4arch9wavefront6targetE0EEEvT1_,comdat
	.protected	_ZN7rocprim17ROCPRIM_400000_NS6detail17trampoline_kernelINS0_14default_configENS1_25partition_config_selectorILNS1_17partition_subalgoE9EiibEEZZNS1_14partition_implILS5_9ELb0ES3_jPKiN6thrust23THRUST_200600_302600_NS17counting_iteratorIiNSB_11use_defaultESD_SD_EEPNS0_10empty_typeENS0_5tupleIJPiSF_EEENSH_IJSI_SG_EEENS0_18inequality_wrapperIN6hipcub16HIPCUB_304000_NS8EqualityEEEPlJSF_EEE10hipError_tPvRmT3_T4_T5_T6_T7_T9_mT8_P12ihipStream_tbDpT10_ENKUlT_T0_E_clISt17integral_constantIbLb0EES19_IbLb1EEEEDaS15_S16_EUlS15_E_NS1_11comp_targetILNS1_3genE9ELNS1_11target_archE1100ELNS1_3gpuE3ELNS1_3repE0EEENS1_30default_config_static_selectorELNS0_4arch9wavefront6targetE0EEEvT1_ ; -- Begin function _ZN7rocprim17ROCPRIM_400000_NS6detail17trampoline_kernelINS0_14default_configENS1_25partition_config_selectorILNS1_17partition_subalgoE9EiibEEZZNS1_14partition_implILS5_9ELb0ES3_jPKiN6thrust23THRUST_200600_302600_NS17counting_iteratorIiNSB_11use_defaultESD_SD_EEPNS0_10empty_typeENS0_5tupleIJPiSF_EEENSH_IJSI_SG_EEENS0_18inequality_wrapperIN6hipcub16HIPCUB_304000_NS8EqualityEEEPlJSF_EEE10hipError_tPvRmT3_T4_T5_T6_T7_T9_mT8_P12ihipStream_tbDpT10_ENKUlT_T0_E_clISt17integral_constantIbLb0EES19_IbLb1EEEEDaS15_S16_EUlS15_E_NS1_11comp_targetILNS1_3genE9ELNS1_11target_archE1100ELNS1_3gpuE3ELNS1_3repE0EEENS1_30default_config_static_selectorELNS0_4arch9wavefront6targetE0EEEvT1_
	.globl	_ZN7rocprim17ROCPRIM_400000_NS6detail17trampoline_kernelINS0_14default_configENS1_25partition_config_selectorILNS1_17partition_subalgoE9EiibEEZZNS1_14partition_implILS5_9ELb0ES3_jPKiN6thrust23THRUST_200600_302600_NS17counting_iteratorIiNSB_11use_defaultESD_SD_EEPNS0_10empty_typeENS0_5tupleIJPiSF_EEENSH_IJSI_SG_EEENS0_18inequality_wrapperIN6hipcub16HIPCUB_304000_NS8EqualityEEEPlJSF_EEE10hipError_tPvRmT3_T4_T5_T6_T7_T9_mT8_P12ihipStream_tbDpT10_ENKUlT_T0_E_clISt17integral_constantIbLb0EES19_IbLb1EEEEDaS15_S16_EUlS15_E_NS1_11comp_targetILNS1_3genE9ELNS1_11target_archE1100ELNS1_3gpuE3ELNS1_3repE0EEENS1_30default_config_static_selectorELNS0_4arch9wavefront6targetE0EEEvT1_
	.p2align	8
	.type	_ZN7rocprim17ROCPRIM_400000_NS6detail17trampoline_kernelINS0_14default_configENS1_25partition_config_selectorILNS1_17partition_subalgoE9EiibEEZZNS1_14partition_implILS5_9ELb0ES3_jPKiN6thrust23THRUST_200600_302600_NS17counting_iteratorIiNSB_11use_defaultESD_SD_EEPNS0_10empty_typeENS0_5tupleIJPiSF_EEENSH_IJSI_SG_EEENS0_18inequality_wrapperIN6hipcub16HIPCUB_304000_NS8EqualityEEEPlJSF_EEE10hipError_tPvRmT3_T4_T5_T6_T7_T9_mT8_P12ihipStream_tbDpT10_ENKUlT_T0_E_clISt17integral_constantIbLb0EES19_IbLb1EEEEDaS15_S16_EUlS15_E_NS1_11comp_targetILNS1_3genE9ELNS1_11target_archE1100ELNS1_3gpuE3ELNS1_3repE0EEENS1_30default_config_static_selectorELNS0_4arch9wavefront6targetE0EEEvT1_,@function
_ZN7rocprim17ROCPRIM_400000_NS6detail17trampoline_kernelINS0_14default_configENS1_25partition_config_selectorILNS1_17partition_subalgoE9EiibEEZZNS1_14partition_implILS5_9ELb0ES3_jPKiN6thrust23THRUST_200600_302600_NS17counting_iteratorIiNSB_11use_defaultESD_SD_EEPNS0_10empty_typeENS0_5tupleIJPiSF_EEENSH_IJSI_SG_EEENS0_18inequality_wrapperIN6hipcub16HIPCUB_304000_NS8EqualityEEEPlJSF_EEE10hipError_tPvRmT3_T4_T5_T6_T7_T9_mT8_P12ihipStream_tbDpT10_ENKUlT_T0_E_clISt17integral_constantIbLb0EES19_IbLb1EEEEDaS15_S16_EUlS15_E_NS1_11comp_targetILNS1_3genE9ELNS1_11target_archE1100ELNS1_3gpuE3ELNS1_3repE0EEENS1_30default_config_static_selectorELNS0_4arch9wavefront6targetE0EEEvT1_: ; @_ZN7rocprim17ROCPRIM_400000_NS6detail17trampoline_kernelINS0_14default_configENS1_25partition_config_selectorILNS1_17partition_subalgoE9EiibEEZZNS1_14partition_implILS5_9ELb0ES3_jPKiN6thrust23THRUST_200600_302600_NS17counting_iteratorIiNSB_11use_defaultESD_SD_EEPNS0_10empty_typeENS0_5tupleIJPiSF_EEENSH_IJSI_SG_EEENS0_18inequality_wrapperIN6hipcub16HIPCUB_304000_NS8EqualityEEEPlJSF_EEE10hipError_tPvRmT3_T4_T5_T6_T7_T9_mT8_P12ihipStream_tbDpT10_ENKUlT_T0_E_clISt17integral_constantIbLb0EES19_IbLb1EEEEDaS15_S16_EUlS15_E_NS1_11comp_targetILNS1_3genE9ELNS1_11target_archE1100ELNS1_3gpuE3ELNS1_3repE0EEENS1_30default_config_static_selectorELNS0_4arch9wavefront6targetE0EEEvT1_
; %bb.0:
	.section	.rodata,"a",@progbits
	.p2align	6, 0x0
	.amdhsa_kernel _ZN7rocprim17ROCPRIM_400000_NS6detail17trampoline_kernelINS0_14default_configENS1_25partition_config_selectorILNS1_17partition_subalgoE9EiibEEZZNS1_14partition_implILS5_9ELb0ES3_jPKiN6thrust23THRUST_200600_302600_NS17counting_iteratorIiNSB_11use_defaultESD_SD_EEPNS0_10empty_typeENS0_5tupleIJPiSF_EEENSH_IJSI_SG_EEENS0_18inequality_wrapperIN6hipcub16HIPCUB_304000_NS8EqualityEEEPlJSF_EEE10hipError_tPvRmT3_T4_T5_T6_T7_T9_mT8_P12ihipStream_tbDpT10_ENKUlT_T0_E_clISt17integral_constantIbLb0EES19_IbLb1EEEEDaS15_S16_EUlS15_E_NS1_11comp_targetILNS1_3genE9ELNS1_11target_archE1100ELNS1_3gpuE3ELNS1_3repE0EEENS1_30default_config_static_selectorELNS0_4arch9wavefront6targetE0EEEvT1_
		.amdhsa_group_segment_fixed_size 0
		.amdhsa_private_segment_fixed_size 0
		.amdhsa_kernarg_size 128
		.amdhsa_user_sgpr_count 2
		.amdhsa_user_sgpr_dispatch_ptr 0
		.amdhsa_user_sgpr_queue_ptr 0
		.amdhsa_user_sgpr_kernarg_segment_ptr 1
		.amdhsa_user_sgpr_dispatch_id 0
		.amdhsa_user_sgpr_kernarg_preload_length 0
		.amdhsa_user_sgpr_kernarg_preload_offset 0
		.amdhsa_user_sgpr_private_segment_size 0
		.amdhsa_wavefront_size32 1
		.amdhsa_uses_dynamic_stack 0
		.amdhsa_enable_private_segment 0
		.amdhsa_system_sgpr_workgroup_id_x 1
		.amdhsa_system_sgpr_workgroup_id_y 0
		.amdhsa_system_sgpr_workgroup_id_z 0
		.amdhsa_system_sgpr_workgroup_info 0
		.amdhsa_system_vgpr_workitem_id 0
		.amdhsa_next_free_vgpr 1
		.amdhsa_next_free_sgpr 1
		.amdhsa_named_barrier_count 0
		.amdhsa_reserve_vcc 0
		.amdhsa_float_round_mode_32 0
		.amdhsa_float_round_mode_16_64 0
		.amdhsa_float_denorm_mode_32 3
		.amdhsa_float_denorm_mode_16_64 3
		.amdhsa_fp16_overflow 0
		.amdhsa_memory_ordered 1
		.amdhsa_forward_progress 1
		.amdhsa_inst_pref_size 0
		.amdhsa_round_robin_scheduling 0
		.amdhsa_exception_fp_ieee_invalid_op 0
		.amdhsa_exception_fp_denorm_src 0
		.amdhsa_exception_fp_ieee_div_zero 0
		.amdhsa_exception_fp_ieee_overflow 0
		.amdhsa_exception_fp_ieee_underflow 0
		.amdhsa_exception_fp_ieee_inexact 0
		.amdhsa_exception_int_div_zero 0
	.end_amdhsa_kernel
	.section	.text._ZN7rocprim17ROCPRIM_400000_NS6detail17trampoline_kernelINS0_14default_configENS1_25partition_config_selectorILNS1_17partition_subalgoE9EiibEEZZNS1_14partition_implILS5_9ELb0ES3_jPKiN6thrust23THRUST_200600_302600_NS17counting_iteratorIiNSB_11use_defaultESD_SD_EEPNS0_10empty_typeENS0_5tupleIJPiSF_EEENSH_IJSI_SG_EEENS0_18inequality_wrapperIN6hipcub16HIPCUB_304000_NS8EqualityEEEPlJSF_EEE10hipError_tPvRmT3_T4_T5_T6_T7_T9_mT8_P12ihipStream_tbDpT10_ENKUlT_T0_E_clISt17integral_constantIbLb0EES19_IbLb1EEEEDaS15_S16_EUlS15_E_NS1_11comp_targetILNS1_3genE9ELNS1_11target_archE1100ELNS1_3gpuE3ELNS1_3repE0EEENS1_30default_config_static_selectorELNS0_4arch9wavefront6targetE0EEEvT1_,"axG",@progbits,_ZN7rocprim17ROCPRIM_400000_NS6detail17trampoline_kernelINS0_14default_configENS1_25partition_config_selectorILNS1_17partition_subalgoE9EiibEEZZNS1_14partition_implILS5_9ELb0ES3_jPKiN6thrust23THRUST_200600_302600_NS17counting_iteratorIiNSB_11use_defaultESD_SD_EEPNS0_10empty_typeENS0_5tupleIJPiSF_EEENSH_IJSI_SG_EEENS0_18inequality_wrapperIN6hipcub16HIPCUB_304000_NS8EqualityEEEPlJSF_EEE10hipError_tPvRmT3_T4_T5_T6_T7_T9_mT8_P12ihipStream_tbDpT10_ENKUlT_T0_E_clISt17integral_constantIbLb0EES19_IbLb1EEEEDaS15_S16_EUlS15_E_NS1_11comp_targetILNS1_3genE9ELNS1_11target_archE1100ELNS1_3gpuE3ELNS1_3repE0EEENS1_30default_config_static_selectorELNS0_4arch9wavefront6targetE0EEEvT1_,comdat
.Lfunc_end42:
	.size	_ZN7rocprim17ROCPRIM_400000_NS6detail17trampoline_kernelINS0_14default_configENS1_25partition_config_selectorILNS1_17partition_subalgoE9EiibEEZZNS1_14partition_implILS5_9ELb0ES3_jPKiN6thrust23THRUST_200600_302600_NS17counting_iteratorIiNSB_11use_defaultESD_SD_EEPNS0_10empty_typeENS0_5tupleIJPiSF_EEENSH_IJSI_SG_EEENS0_18inequality_wrapperIN6hipcub16HIPCUB_304000_NS8EqualityEEEPlJSF_EEE10hipError_tPvRmT3_T4_T5_T6_T7_T9_mT8_P12ihipStream_tbDpT10_ENKUlT_T0_E_clISt17integral_constantIbLb0EES19_IbLb1EEEEDaS15_S16_EUlS15_E_NS1_11comp_targetILNS1_3genE9ELNS1_11target_archE1100ELNS1_3gpuE3ELNS1_3repE0EEENS1_30default_config_static_selectorELNS0_4arch9wavefront6targetE0EEEvT1_, .Lfunc_end42-_ZN7rocprim17ROCPRIM_400000_NS6detail17trampoline_kernelINS0_14default_configENS1_25partition_config_selectorILNS1_17partition_subalgoE9EiibEEZZNS1_14partition_implILS5_9ELb0ES3_jPKiN6thrust23THRUST_200600_302600_NS17counting_iteratorIiNSB_11use_defaultESD_SD_EEPNS0_10empty_typeENS0_5tupleIJPiSF_EEENSH_IJSI_SG_EEENS0_18inequality_wrapperIN6hipcub16HIPCUB_304000_NS8EqualityEEEPlJSF_EEE10hipError_tPvRmT3_T4_T5_T6_T7_T9_mT8_P12ihipStream_tbDpT10_ENKUlT_T0_E_clISt17integral_constantIbLb0EES19_IbLb1EEEEDaS15_S16_EUlS15_E_NS1_11comp_targetILNS1_3genE9ELNS1_11target_archE1100ELNS1_3gpuE3ELNS1_3repE0EEENS1_30default_config_static_selectorELNS0_4arch9wavefront6targetE0EEEvT1_
                                        ; -- End function
	.set _ZN7rocprim17ROCPRIM_400000_NS6detail17trampoline_kernelINS0_14default_configENS1_25partition_config_selectorILNS1_17partition_subalgoE9EiibEEZZNS1_14partition_implILS5_9ELb0ES3_jPKiN6thrust23THRUST_200600_302600_NS17counting_iteratorIiNSB_11use_defaultESD_SD_EEPNS0_10empty_typeENS0_5tupleIJPiSF_EEENSH_IJSI_SG_EEENS0_18inequality_wrapperIN6hipcub16HIPCUB_304000_NS8EqualityEEEPlJSF_EEE10hipError_tPvRmT3_T4_T5_T6_T7_T9_mT8_P12ihipStream_tbDpT10_ENKUlT_T0_E_clISt17integral_constantIbLb0EES19_IbLb1EEEEDaS15_S16_EUlS15_E_NS1_11comp_targetILNS1_3genE9ELNS1_11target_archE1100ELNS1_3gpuE3ELNS1_3repE0EEENS1_30default_config_static_selectorELNS0_4arch9wavefront6targetE0EEEvT1_.num_vgpr, 0
	.set _ZN7rocprim17ROCPRIM_400000_NS6detail17trampoline_kernelINS0_14default_configENS1_25partition_config_selectorILNS1_17partition_subalgoE9EiibEEZZNS1_14partition_implILS5_9ELb0ES3_jPKiN6thrust23THRUST_200600_302600_NS17counting_iteratorIiNSB_11use_defaultESD_SD_EEPNS0_10empty_typeENS0_5tupleIJPiSF_EEENSH_IJSI_SG_EEENS0_18inequality_wrapperIN6hipcub16HIPCUB_304000_NS8EqualityEEEPlJSF_EEE10hipError_tPvRmT3_T4_T5_T6_T7_T9_mT8_P12ihipStream_tbDpT10_ENKUlT_T0_E_clISt17integral_constantIbLb0EES19_IbLb1EEEEDaS15_S16_EUlS15_E_NS1_11comp_targetILNS1_3genE9ELNS1_11target_archE1100ELNS1_3gpuE3ELNS1_3repE0EEENS1_30default_config_static_selectorELNS0_4arch9wavefront6targetE0EEEvT1_.num_agpr, 0
	.set _ZN7rocprim17ROCPRIM_400000_NS6detail17trampoline_kernelINS0_14default_configENS1_25partition_config_selectorILNS1_17partition_subalgoE9EiibEEZZNS1_14partition_implILS5_9ELb0ES3_jPKiN6thrust23THRUST_200600_302600_NS17counting_iteratorIiNSB_11use_defaultESD_SD_EEPNS0_10empty_typeENS0_5tupleIJPiSF_EEENSH_IJSI_SG_EEENS0_18inequality_wrapperIN6hipcub16HIPCUB_304000_NS8EqualityEEEPlJSF_EEE10hipError_tPvRmT3_T4_T5_T6_T7_T9_mT8_P12ihipStream_tbDpT10_ENKUlT_T0_E_clISt17integral_constantIbLb0EES19_IbLb1EEEEDaS15_S16_EUlS15_E_NS1_11comp_targetILNS1_3genE9ELNS1_11target_archE1100ELNS1_3gpuE3ELNS1_3repE0EEENS1_30default_config_static_selectorELNS0_4arch9wavefront6targetE0EEEvT1_.numbered_sgpr, 0
	.set _ZN7rocprim17ROCPRIM_400000_NS6detail17trampoline_kernelINS0_14default_configENS1_25partition_config_selectorILNS1_17partition_subalgoE9EiibEEZZNS1_14partition_implILS5_9ELb0ES3_jPKiN6thrust23THRUST_200600_302600_NS17counting_iteratorIiNSB_11use_defaultESD_SD_EEPNS0_10empty_typeENS0_5tupleIJPiSF_EEENSH_IJSI_SG_EEENS0_18inequality_wrapperIN6hipcub16HIPCUB_304000_NS8EqualityEEEPlJSF_EEE10hipError_tPvRmT3_T4_T5_T6_T7_T9_mT8_P12ihipStream_tbDpT10_ENKUlT_T0_E_clISt17integral_constantIbLb0EES19_IbLb1EEEEDaS15_S16_EUlS15_E_NS1_11comp_targetILNS1_3genE9ELNS1_11target_archE1100ELNS1_3gpuE3ELNS1_3repE0EEENS1_30default_config_static_selectorELNS0_4arch9wavefront6targetE0EEEvT1_.num_named_barrier, 0
	.set _ZN7rocprim17ROCPRIM_400000_NS6detail17trampoline_kernelINS0_14default_configENS1_25partition_config_selectorILNS1_17partition_subalgoE9EiibEEZZNS1_14partition_implILS5_9ELb0ES3_jPKiN6thrust23THRUST_200600_302600_NS17counting_iteratorIiNSB_11use_defaultESD_SD_EEPNS0_10empty_typeENS0_5tupleIJPiSF_EEENSH_IJSI_SG_EEENS0_18inequality_wrapperIN6hipcub16HIPCUB_304000_NS8EqualityEEEPlJSF_EEE10hipError_tPvRmT3_T4_T5_T6_T7_T9_mT8_P12ihipStream_tbDpT10_ENKUlT_T0_E_clISt17integral_constantIbLb0EES19_IbLb1EEEEDaS15_S16_EUlS15_E_NS1_11comp_targetILNS1_3genE9ELNS1_11target_archE1100ELNS1_3gpuE3ELNS1_3repE0EEENS1_30default_config_static_selectorELNS0_4arch9wavefront6targetE0EEEvT1_.private_seg_size, 0
	.set _ZN7rocprim17ROCPRIM_400000_NS6detail17trampoline_kernelINS0_14default_configENS1_25partition_config_selectorILNS1_17partition_subalgoE9EiibEEZZNS1_14partition_implILS5_9ELb0ES3_jPKiN6thrust23THRUST_200600_302600_NS17counting_iteratorIiNSB_11use_defaultESD_SD_EEPNS0_10empty_typeENS0_5tupleIJPiSF_EEENSH_IJSI_SG_EEENS0_18inequality_wrapperIN6hipcub16HIPCUB_304000_NS8EqualityEEEPlJSF_EEE10hipError_tPvRmT3_T4_T5_T6_T7_T9_mT8_P12ihipStream_tbDpT10_ENKUlT_T0_E_clISt17integral_constantIbLb0EES19_IbLb1EEEEDaS15_S16_EUlS15_E_NS1_11comp_targetILNS1_3genE9ELNS1_11target_archE1100ELNS1_3gpuE3ELNS1_3repE0EEENS1_30default_config_static_selectorELNS0_4arch9wavefront6targetE0EEEvT1_.uses_vcc, 0
	.set _ZN7rocprim17ROCPRIM_400000_NS6detail17trampoline_kernelINS0_14default_configENS1_25partition_config_selectorILNS1_17partition_subalgoE9EiibEEZZNS1_14partition_implILS5_9ELb0ES3_jPKiN6thrust23THRUST_200600_302600_NS17counting_iteratorIiNSB_11use_defaultESD_SD_EEPNS0_10empty_typeENS0_5tupleIJPiSF_EEENSH_IJSI_SG_EEENS0_18inequality_wrapperIN6hipcub16HIPCUB_304000_NS8EqualityEEEPlJSF_EEE10hipError_tPvRmT3_T4_T5_T6_T7_T9_mT8_P12ihipStream_tbDpT10_ENKUlT_T0_E_clISt17integral_constantIbLb0EES19_IbLb1EEEEDaS15_S16_EUlS15_E_NS1_11comp_targetILNS1_3genE9ELNS1_11target_archE1100ELNS1_3gpuE3ELNS1_3repE0EEENS1_30default_config_static_selectorELNS0_4arch9wavefront6targetE0EEEvT1_.uses_flat_scratch, 0
	.set _ZN7rocprim17ROCPRIM_400000_NS6detail17trampoline_kernelINS0_14default_configENS1_25partition_config_selectorILNS1_17partition_subalgoE9EiibEEZZNS1_14partition_implILS5_9ELb0ES3_jPKiN6thrust23THRUST_200600_302600_NS17counting_iteratorIiNSB_11use_defaultESD_SD_EEPNS0_10empty_typeENS0_5tupleIJPiSF_EEENSH_IJSI_SG_EEENS0_18inequality_wrapperIN6hipcub16HIPCUB_304000_NS8EqualityEEEPlJSF_EEE10hipError_tPvRmT3_T4_T5_T6_T7_T9_mT8_P12ihipStream_tbDpT10_ENKUlT_T0_E_clISt17integral_constantIbLb0EES19_IbLb1EEEEDaS15_S16_EUlS15_E_NS1_11comp_targetILNS1_3genE9ELNS1_11target_archE1100ELNS1_3gpuE3ELNS1_3repE0EEENS1_30default_config_static_selectorELNS0_4arch9wavefront6targetE0EEEvT1_.has_dyn_sized_stack, 0
	.set _ZN7rocprim17ROCPRIM_400000_NS6detail17trampoline_kernelINS0_14default_configENS1_25partition_config_selectorILNS1_17partition_subalgoE9EiibEEZZNS1_14partition_implILS5_9ELb0ES3_jPKiN6thrust23THRUST_200600_302600_NS17counting_iteratorIiNSB_11use_defaultESD_SD_EEPNS0_10empty_typeENS0_5tupleIJPiSF_EEENSH_IJSI_SG_EEENS0_18inequality_wrapperIN6hipcub16HIPCUB_304000_NS8EqualityEEEPlJSF_EEE10hipError_tPvRmT3_T4_T5_T6_T7_T9_mT8_P12ihipStream_tbDpT10_ENKUlT_T0_E_clISt17integral_constantIbLb0EES19_IbLb1EEEEDaS15_S16_EUlS15_E_NS1_11comp_targetILNS1_3genE9ELNS1_11target_archE1100ELNS1_3gpuE3ELNS1_3repE0EEENS1_30default_config_static_selectorELNS0_4arch9wavefront6targetE0EEEvT1_.has_recursion, 0
	.set _ZN7rocprim17ROCPRIM_400000_NS6detail17trampoline_kernelINS0_14default_configENS1_25partition_config_selectorILNS1_17partition_subalgoE9EiibEEZZNS1_14partition_implILS5_9ELb0ES3_jPKiN6thrust23THRUST_200600_302600_NS17counting_iteratorIiNSB_11use_defaultESD_SD_EEPNS0_10empty_typeENS0_5tupleIJPiSF_EEENSH_IJSI_SG_EEENS0_18inequality_wrapperIN6hipcub16HIPCUB_304000_NS8EqualityEEEPlJSF_EEE10hipError_tPvRmT3_T4_T5_T6_T7_T9_mT8_P12ihipStream_tbDpT10_ENKUlT_T0_E_clISt17integral_constantIbLb0EES19_IbLb1EEEEDaS15_S16_EUlS15_E_NS1_11comp_targetILNS1_3genE9ELNS1_11target_archE1100ELNS1_3gpuE3ELNS1_3repE0EEENS1_30default_config_static_selectorELNS0_4arch9wavefront6targetE0EEEvT1_.has_indirect_call, 0
	.section	.AMDGPU.csdata,"",@progbits
; Kernel info:
; codeLenInByte = 0
; TotalNumSgprs: 0
; NumVgprs: 0
; ScratchSize: 0
; MemoryBound: 0
; FloatMode: 240
; IeeeMode: 1
; LDSByteSize: 0 bytes/workgroup (compile time only)
; SGPRBlocks: 0
; VGPRBlocks: 0
; NumSGPRsForWavesPerEU: 1
; NumVGPRsForWavesPerEU: 1
; NamedBarCnt: 0
; Occupancy: 16
; WaveLimiterHint : 0
; COMPUTE_PGM_RSRC2:SCRATCH_EN: 0
; COMPUTE_PGM_RSRC2:USER_SGPR: 2
; COMPUTE_PGM_RSRC2:TRAP_HANDLER: 0
; COMPUTE_PGM_RSRC2:TGID_X_EN: 1
; COMPUTE_PGM_RSRC2:TGID_Y_EN: 0
; COMPUTE_PGM_RSRC2:TGID_Z_EN: 0
; COMPUTE_PGM_RSRC2:TIDIG_COMP_CNT: 0
	.section	.text._ZN7rocprim17ROCPRIM_400000_NS6detail17trampoline_kernelINS0_14default_configENS1_25partition_config_selectorILNS1_17partition_subalgoE9EiibEEZZNS1_14partition_implILS5_9ELb0ES3_jPKiN6thrust23THRUST_200600_302600_NS17counting_iteratorIiNSB_11use_defaultESD_SD_EEPNS0_10empty_typeENS0_5tupleIJPiSF_EEENSH_IJSI_SG_EEENS0_18inequality_wrapperIN6hipcub16HIPCUB_304000_NS8EqualityEEEPlJSF_EEE10hipError_tPvRmT3_T4_T5_T6_T7_T9_mT8_P12ihipStream_tbDpT10_ENKUlT_T0_E_clISt17integral_constantIbLb0EES19_IbLb1EEEEDaS15_S16_EUlS15_E_NS1_11comp_targetILNS1_3genE8ELNS1_11target_archE1030ELNS1_3gpuE2ELNS1_3repE0EEENS1_30default_config_static_selectorELNS0_4arch9wavefront6targetE0EEEvT1_,"axG",@progbits,_ZN7rocprim17ROCPRIM_400000_NS6detail17trampoline_kernelINS0_14default_configENS1_25partition_config_selectorILNS1_17partition_subalgoE9EiibEEZZNS1_14partition_implILS5_9ELb0ES3_jPKiN6thrust23THRUST_200600_302600_NS17counting_iteratorIiNSB_11use_defaultESD_SD_EEPNS0_10empty_typeENS0_5tupleIJPiSF_EEENSH_IJSI_SG_EEENS0_18inequality_wrapperIN6hipcub16HIPCUB_304000_NS8EqualityEEEPlJSF_EEE10hipError_tPvRmT3_T4_T5_T6_T7_T9_mT8_P12ihipStream_tbDpT10_ENKUlT_T0_E_clISt17integral_constantIbLb0EES19_IbLb1EEEEDaS15_S16_EUlS15_E_NS1_11comp_targetILNS1_3genE8ELNS1_11target_archE1030ELNS1_3gpuE2ELNS1_3repE0EEENS1_30default_config_static_selectorELNS0_4arch9wavefront6targetE0EEEvT1_,comdat
	.protected	_ZN7rocprim17ROCPRIM_400000_NS6detail17trampoline_kernelINS0_14default_configENS1_25partition_config_selectorILNS1_17partition_subalgoE9EiibEEZZNS1_14partition_implILS5_9ELb0ES3_jPKiN6thrust23THRUST_200600_302600_NS17counting_iteratorIiNSB_11use_defaultESD_SD_EEPNS0_10empty_typeENS0_5tupleIJPiSF_EEENSH_IJSI_SG_EEENS0_18inequality_wrapperIN6hipcub16HIPCUB_304000_NS8EqualityEEEPlJSF_EEE10hipError_tPvRmT3_T4_T5_T6_T7_T9_mT8_P12ihipStream_tbDpT10_ENKUlT_T0_E_clISt17integral_constantIbLb0EES19_IbLb1EEEEDaS15_S16_EUlS15_E_NS1_11comp_targetILNS1_3genE8ELNS1_11target_archE1030ELNS1_3gpuE2ELNS1_3repE0EEENS1_30default_config_static_selectorELNS0_4arch9wavefront6targetE0EEEvT1_ ; -- Begin function _ZN7rocprim17ROCPRIM_400000_NS6detail17trampoline_kernelINS0_14default_configENS1_25partition_config_selectorILNS1_17partition_subalgoE9EiibEEZZNS1_14partition_implILS5_9ELb0ES3_jPKiN6thrust23THRUST_200600_302600_NS17counting_iteratorIiNSB_11use_defaultESD_SD_EEPNS0_10empty_typeENS0_5tupleIJPiSF_EEENSH_IJSI_SG_EEENS0_18inequality_wrapperIN6hipcub16HIPCUB_304000_NS8EqualityEEEPlJSF_EEE10hipError_tPvRmT3_T4_T5_T6_T7_T9_mT8_P12ihipStream_tbDpT10_ENKUlT_T0_E_clISt17integral_constantIbLb0EES19_IbLb1EEEEDaS15_S16_EUlS15_E_NS1_11comp_targetILNS1_3genE8ELNS1_11target_archE1030ELNS1_3gpuE2ELNS1_3repE0EEENS1_30default_config_static_selectorELNS0_4arch9wavefront6targetE0EEEvT1_
	.globl	_ZN7rocprim17ROCPRIM_400000_NS6detail17trampoline_kernelINS0_14default_configENS1_25partition_config_selectorILNS1_17partition_subalgoE9EiibEEZZNS1_14partition_implILS5_9ELb0ES3_jPKiN6thrust23THRUST_200600_302600_NS17counting_iteratorIiNSB_11use_defaultESD_SD_EEPNS0_10empty_typeENS0_5tupleIJPiSF_EEENSH_IJSI_SG_EEENS0_18inequality_wrapperIN6hipcub16HIPCUB_304000_NS8EqualityEEEPlJSF_EEE10hipError_tPvRmT3_T4_T5_T6_T7_T9_mT8_P12ihipStream_tbDpT10_ENKUlT_T0_E_clISt17integral_constantIbLb0EES19_IbLb1EEEEDaS15_S16_EUlS15_E_NS1_11comp_targetILNS1_3genE8ELNS1_11target_archE1030ELNS1_3gpuE2ELNS1_3repE0EEENS1_30default_config_static_selectorELNS0_4arch9wavefront6targetE0EEEvT1_
	.p2align	8
	.type	_ZN7rocprim17ROCPRIM_400000_NS6detail17trampoline_kernelINS0_14default_configENS1_25partition_config_selectorILNS1_17partition_subalgoE9EiibEEZZNS1_14partition_implILS5_9ELb0ES3_jPKiN6thrust23THRUST_200600_302600_NS17counting_iteratorIiNSB_11use_defaultESD_SD_EEPNS0_10empty_typeENS0_5tupleIJPiSF_EEENSH_IJSI_SG_EEENS0_18inequality_wrapperIN6hipcub16HIPCUB_304000_NS8EqualityEEEPlJSF_EEE10hipError_tPvRmT3_T4_T5_T6_T7_T9_mT8_P12ihipStream_tbDpT10_ENKUlT_T0_E_clISt17integral_constantIbLb0EES19_IbLb1EEEEDaS15_S16_EUlS15_E_NS1_11comp_targetILNS1_3genE8ELNS1_11target_archE1030ELNS1_3gpuE2ELNS1_3repE0EEENS1_30default_config_static_selectorELNS0_4arch9wavefront6targetE0EEEvT1_,@function
_ZN7rocprim17ROCPRIM_400000_NS6detail17trampoline_kernelINS0_14default_configENS1_25partition_config_selectorILNS1_17partition_subalgoE9EiibEEZZNS1_14partition_implILS5_9ELb0ES3_jPKiN6thrust23THRUST_200600_302600_NS17counting_iteratorIiNSB_11use_defaultESD_SD_EEPNS0_10empty_typeENS0_5tupleIJPiSF_EEENSH_IJSI_SG_EEENS0_18inequality_wrapperIN6hipcub16HIPCUB_304000_NS8EqualityEEEPlJSF_EEE10hipError_tPvRmT3_T4_T5_T6_T7_T9_mT8_P12ihipStream_tbDpT10_ENKUlT_T0_E_clISt17integral_constantIbLb0EES19_IbLb1EEEEDaS15_S16_EUlS15_E_NS1_11comp_targetILNS1_3genE8ELNS1_11target_archE1030ELNS1_3gpuE2ELNS1_3repE0EEENS1_30default_config_static_selectorELNS0_4arch9wavefront6targetE0EEEvT1_: ; @_ZN7rocprim17ROCPRIM_400000_NS6detail17trampoline_kernelINS0_14default_configENS1_25partition_config_selectorILNS1_17partition_subalgoE9EiibEEZZNS1_14partition_implILS5_9ELb0ES3_jPKiN6thrust23THRUST_200600_302600_NS17counting_iteratorIiNSB_11use_defaultESD_SD_EEPNS0_10empty_typeENS0_5tupleIJPiSF_EEENSH_IJSI_SG_EEENS0_18inequality_wrapperIN6hipcub16HIPCUB_304000_NS8EqualityEEEPlJSF_EEE10hipError_tPvRmT3_T4_T5_T6_T7_T9_mT8_P12ihipStream_tbDpT10_ENKUlT_T0_E_clISt17integral_constantIbLb0EES19_IbLb1EEEEDaS15_S16_EUlS15_E_NS1_11comp_targetILNS1_3genE8ELNS1_11target_archE1030ELNS1_3gpuE2ELNS1_3repE0EEENS1_30default_config_static_selectorELNS0_4arch9wavefront6targetE0EEEvT1_
; %bb.0:
	.section	.rodata,"a",@progbits
	.p2align	6, 0x0
	.amdhsa_kernel _ZN7rocprim17ROCPRIM_400000_NS6detail17trampoline_kernelINS0_14default_configENS1_25partition_config_selectorILNS1_17partition_subalgoE9EiibEEZZNS1_14partition_implILS5_9ELb0ES3_jPKiN6thrust23THRUST_200600_302600_NS17counting_iteratorIiNSB_11use_defaultESD_SD_EEPNS0_10empty_typeENS0_5tupleIJPiSF_EEENSH_IJSI_SG_EEENS0_18inequality_wrapperIN6hipcub16HIPCUB_304000_NS8EqualityEEEPlJSF_EEE10hipError_tPvRmT3_T4_T5_T6_T7_T9_mT8_P12ihipStream_tbDpT10_ENKUlT_T0_E_clISt17integral_constantIbLb0EES19_IbLb1EEEEDaS15_S16_EUlS15_E_NS1_11comp_targetILNS1_3genE8ELNS1_11target_archE1030ELNS1_3gpuE2ELNS1_3repE0EEENS1_30default_config_static_selectorELNS0_4arch9wavefront6targetE0EEEvT1_
		.amdhsa_group_segment_fixed_size 0
		.amdhsa_private_segment_fixed_size 0
		.amdhsa_kernarg_size 128
		.amdhsa_user_sgpr_count 2
		.amdhsa_user_sgpr_dispatch_ptr 0
		.amdhsa_user_sgpr_queue_ptr 0
		.amdhsa_user_sgpr_kernarg_segment_ptr 1
		.amdhsa_user_sgpr_dispatch_id 0
		.amdhsa_user_sgpr_kernarg_preload_length 0
		.amdhsa_user_sgpr_kernarg_preload_offset 0
		.amdhsa_user_sgpr_private_segment_size 0
		.amdhsa_wavefront_size32 1
		.amdhsa_uses_dynamic_stack 0
		.amdhsa_enable_private_segment 0
		.amdhsa_system_sgpr_workgroup_id_x 1
		.amdhsa_system_sgpr_workgroup_id_y 0
		.amdhsa_system_sgpr_workgroup_id_z 0
		.amdhsa_system_sgpr_workgroup_info 0
		.amdhsa_system_vgpr_workitem_id 0
		.amdhsa_next_free_vgpr 1
		.amdhsa_next_free_sgpr 1
		.amdhsa_named_barrier_count 0
		.amdhsa_reserve_vcc 0
		.amdhsa_float_round_mode_32 0
		.amdhsa_float_round_mode_16_64 0
		.amdhsa_float_denorm_mode_32 3
		.amdhsa_float_denorm_mode_16_64 3
		.amdhsa_fp16_overflow 0
		.amdhsa_memory_ordered 1
		.amdhsa_forward_progress 1
		.amdhsa_inst_pref_size 0
		.amdhsa_round_robin_scheduling 0
		.amdhsa_exception_fp_ieee_invalid_op 0
		.amdhsa_exception_fp_denorm_src 0
		.amdhsa_exception_fp_ieee_div_zero 0
		.amdhsa_exception_fp_ieee_overflow 0
		.amdhsa_exception_fp_ieee_underflow 0
		.amdhsa_exception_fp_ieee_inexact 0
		.amdhsa_exception_int_div_zero 0
	.end_amdhsa_kernel
	.section	.text._ZN7rocprim17ROCPRIM_400000_NS6detail17trampoline_kernelINS0_14default_configENS1_25partition_config_selectorILNS1_17partition_subalgoE9EiibEEZZNS1_14partition_implILS5_9ELb0ES3_jPKiN6thrust23THRUST_200600_302600_NS17counting_iteratorIiNSB_11use_defaultESD_SD_EEPNS0_10empty_typeENS0_5tupleIJPiSF_EEENSH_IJSI_SG_EEENS0_18inequality_wrapperIN6hipcub16HIPCUB_304000_NS8EqualityEEEPlJSF_EEE10hipError_tPvRmT3_T4_T5_T6_T7_T9_mT8_P12ihipStream_tbDpT10_ENKUlT_T0_E_clISt17integral_constantIbLb0EES19_IbLb1EEEEDaS15_S16_EUlS15_E_NS1_11comp_targetILNS1_3genE8ELNS1_11target_archE1030ELNS1_3gpuE2ELNS1_3repE0EEENS1_30default_config_static_selectorELNS0_4arch9wavefront6targetE0EEEvT1_,"axG",@progbits,_ZN7rocprim17ROCPRIM_400000_NS6detail17trampoline_kernelINS0_14default_configENS1_25partition_config_selectorILNS1_17partition_subalgoE9EiibEEZZNS1_14partition_implILS5_9ELb0ES3_jPKiN6thrust23THRUST_200600_302600_NS17counting_iteratorIiNSB_11use_defaultESD_SD_EEPNS0_10empty_typeENS0_5tupleIJPiSF_EEENSH_IJSI_SG_EEENS0_18inequality_wrapperIN6hipcub16HIPCUB_304000_NS8EqualityEEEPlJSF_EEE10hipError_tPvRmT3_T4_T5_T6_T7_T9_mT8_P12ihipStream_tbDpT10_ENKUlT_T0_E_clISt17integral_constantIbLb0EES19_IbLb1EEEEDaS15_S16_EUlS15_E_NS1_11comp_targetILNS1_3genE8ELNS1_11target_archE1030ELNS1_3gpuE2ELNS1_3repE0EEENS1_30default_config_static_selectorELNS0_4arch9wavefront6targetE0EEEvT1_,comdat
.Lfunc_end43:
	.size	_ZN7rocprim17ROCPRIM_400000_NS6detail17trampoline_kernelINS0_14default_configENS1_25partition_config_selectorILNS1_17partition_subalgoE9EiibEEZZNS1_14partition_implILS5_9ELb0ES3_jPKiN6thrust23THRUST_200600_302600_NS17counting_iteratorIiNSB_11use_defaultESD_SD_EEPNS0_10empty_typeENS0_5tupleIJPiSF_EEENSH_IJSI_SG_EEENS0_18inequality_wrapperIN6hipcub16HIPCUB_304000_NS8EqualityEEEPlJSF_EEE10hipError_tPvRmT3_T4_T5_T6_T7_T9_mT8_P12ihipStream_tbDpT10_ENKUlT_T0_E_clISt17integral_constantIbLb0EES19_IbLb1EEEEDaS15_S16_EUlS15_E_NS1_11comp_targetILNS1_3genE8ELNS1_11target_archE1030ELNS1_3gpuE2ELNS1_3repE0EEENS1_30default_config_static_selectorELNS0_4arch9wavefront6targetE0EEEvT1_, .Lfunc_end43-_ZN7rocprim17ROCPRIM_400000_NS6detail17trampoline_kernelINS0_14default_configENS1_25partition_config_selectorILNS1_17partition_subalgoE9EiibEEZZNS1_14partition_implILS5_9ELb0ES3_jPKiN6thrust23THRUST_200600_302600_NS17counting_iteratorIiNSB_11use_defaultESD_SD_EEPNS0_10empty_typeENS0_5tupleIJPiSF_EEENSH_IJSI_SG_EEENS0_18inequality_wrapperIN6hipcub16HIPCUB_304000_NS8EqualityEEEPlJSF_EEE10hipError_tPvRmT3_T4_T5_T6_T7_T9_mT8_P12ihipStream_tbDpT10_ENKUlT_T0_E_clISt17integral_constantIbLb0EES19_IbLb1EEEEDaS15_S16_EUlS15_E_NS1_11comp_targetILNS1_3genE8ELNS1_11target_archE1030ELNS1_3gpuE2ELNS1_3repE0EEENS1_30default_config_static_selectorELNS0_4arch9wavefront6targetE0EEEvT1_
                                        ; -- End function
	.set _ZN7rocprim17ROCPRIM_400000_NS6detail17trampoline_kernelINS0_14default_configENS1_25partition_config_selectorILNS1_17partition_subalgoE9EiibEEZZNS1_14partition_implILS5_9ELb0ES3_jPKiN6thrust23THRUST_200600_302600_NS17counting_iteratorIiNSB_11use_defaultESD_SD_EEPNS0_10empty_typeENS0_5tupleIJPiSF_EEENSH_IJSI_SG_EEENS0_18inequality_wrapperIN6hipcub16HIPCUB_304000_NS8EqualityEEEPlJSF_EEE10hipError_tPvRmT3_T4_T5_T6_T7_T9_mT8_P12ihipStream_tbDpT10_ENKUlT_T0_E_clISt17integral_constantIbLb0EES19_IbLb1EEEEDaS15_S16_EUlS15_E_NS1_11comp_targetILNS1_3genE8ELNS1_11target_archE1030ELNS1_3gpuE2ELNS1_3repE0EEENS1_30default_config_static_selectorELNS0_4arch9wavefront6targetE0EEEvT1_.num_vgpr, 0
	.set _ZN7rocprim17ROCPRIM_400000_NS6detail17trampoline_kernelINS0_14default_configENS1_25partition_config_selectorILNS1_17partition_subalgoE9EiibEEZZNS1_14partition_implILS5_9ELb0ES3_jPKiN6thrust23THRUST_200600_302600_NS17counting_iteratorIiNSB_11use_defaultESD_SD_EEPNS0_10empty_typeENS0_5tupleIJPiSF_EEENSH_IJSI_SG_EEENS0_18inequality_wrapperIN6hipcub16HIPCUB_304000_NS8EqualityEEEPlJSF_EEE10hipError_tPvRmT3_T4_T5_T6_T7_T9_mT8_P12ihipStream_tbDpT10_ENKUlT_T0_E_clISt17integral_constantIbLb0EES19_IbLb1EEEEDaS15_S16_EUlS15_E_NS1_11comp_targetILNS1_3genE8ELNS1_11target_archE1030ELNS1_3gpuE2ELNS1_3repE0EEENS1_30default_config_static_selectorELNS0_4arch9wavefront6targetE0EEEvT1_.num_agpr, 0
	.set _ZN7rocprim17ROCPRIM_400000_NS6detail17trampoline_kernelINS0_14default_configENS1_25partition_config_selectorILNS1_17partition_subalgoE9EiibEEZZNS1_14partition_implILS5_9ELb0ES3_jPKiN6thrust23THRUST_200600_302600_NS17counting_iteratorIiNSB_11use_defaultESD_SD_EEPNS0_10empty_typeENS0_5tupleIJPiSF_EEENSH_IJSI_SG_EEENS0_18inequality_wrapperIN6hipcub16HIPCUB_304000_NS8EqualityEEEPlJSF_EEE10hipError_tPvRmT3_T4_T5_T6_T7_T9_mT8_P12ihipStream_tbDpT10_ENKUlT_T0_E_clISt17integral_constantIbLb0EES19_IbLb1EEEEDaS15_S16_EUlS15_E_NS1_11comp_targetILNS1_3genE8ELNS1_11target_archE1030ELNS1_3gpuE2ELNS1_3repE0EEENS1_30default_config_static_selectorELNS0_4arch9wavefront6targetE0EEEvT1_.numbered_sgpr, 0
	.set _ZN7rocprim17ROCPRIM_400000_NS6detail17trampoline_kernelINS0_14default_configENS1_25partition_config_selectorILNS1_17partition_subalgoE9EiibEEZZNS1_14partition_implILS5_9ELb0ES3_jPKiN6thrust23THRUST_200600_302600_NS17counting_iteratorIiNSB_11use_defaultESD_SD_EEPNS0_10empty_typeENS0_5tupleIJPiSF_EEENSH_IJSI_SG_EEENS0_18inequality_wrapperIN6hipcub16HIPCUB_304000_NS8EqualityEEEPlJSF_EEE10hipError_tPvRmT3_T4_T5_T6_T7_T9_mT8_P12ihipStream_tbDpT10_ENKUlT_T0_E_clISt17integral_constantIbLb0EES19_IbLb1EEEEDaS15_S16_EUlS15_E_NS1_11comp_targetILNS1_3genE8ELNS1_11target_archE1030ELNS1_3gpuE2ELNS1_3repE0EEENS1_30default_config_static_selectorELNS0_4arch9wavefront6targetE0EEEvT1_.num_named_barrier, 0
	.set _ZN7rocprim17ROCPRIM_400000_NS6detail17trampoline_kernelINS0_14default_configENS1_25partition_config_selectorILNS1_17partition_subalgoE9EiibEEZZNS1_14partition_implILS5_9ELb0ES3_jPKiN6thrust23THRUST_200600_302600_NS17counting_iteratorIiNSB_11use_defaultESD_SD_EEPNS0_10empty_typeENS0_5tupleIJPiSF_EEENSH_IJSI_SG_EEENS0_18inequality_wrapperIN6hipcub16HIPCUB_304000_NS8EqualityEEEPlJSF_EEE10hipError_tPvRmT3_T4_T5_T6_T7_T9_mT8_P12ihipStream_tbDpT10_ENKUlT_T0_E_clISt17integral_constantIbLb0EES19_IbLb1EEEEDaS15_S16_EUlS15_E_NS1_11comp_targetILNS1_3genE8ELNS1_11target_archE1030ELNS1_3gpuE2ELNS1_3repE0EEENS1_30default_config_static_selectorELNS0_4arch9wavefront6targetE0EEEvT1_.private_seg_size, 0
	.set _ZN7rocprim17ROCPRIM_400000_NS6detail17trampoline_kernelINS0_14default_configENS1_25partition_config_selectorILNS1_17partition_subalgoE9EiibEEZZNS1_14partition_implILS5_9ELb0ES3_jPKiN6thrust23THRUST_200600_302600_NS17counting_iteratorIiNSB_11use_defaultESD_SD_EEPNS0_10empty_typeENS0_5tupleIJPiSF_EEENSH_IJSI_SG_EEENS0_18inequality_wrapperIN6hipcub16HIPCUB_304000_NS8EqualityEEEPlJSF_EEE10hipError_tPvRmT3_T4_T5_T6_T7_T9_mT8_P12ihipStream_tbDpT10_ENKUlT_T0_E_clISt17integral_constantIbLb0EES19_IbLb1EEEEDaS15_S16_EUlS15_E_NS1_11comp_targetILNS1_3genE8ELNS1_11target_archE1030ELNS1_3gpuE2ELNS1_3repE0EEENS1_30default_config_static_selectorELNS0_4arch9wavefront6targetE0EEEvT1_.uses_vcc, 0
	.set _ZN7rocprim17ROCPRIM_400000_NS6detail17trampoline_kernelINS0_14default_configENS1_25partition_config_selectorILNS1_17partition_subalgoE9EiibEEZZNS1_14partition_implILS5_9ELb0ES3_jPKiN6thrust23THRUST_200600_302600_NS17counting_iteratorIiNSB_11use_defaultESD_SD_EEPNS0_10empty_typeENS0_5tupleIJPiSF_EEENSH_IJSI_SG_EEENS0_18inequality_wrapperIN6hipcub16HIPCUB_304000_NS8EqualityEEEPlJSF_EEE10hipError_tPvRmT3_T4_T5_T6_T7_T9_mT8_P12ihipStream_tbDpT10_ENKUlT_T0_E_clISt17integral_constantIbLb0EES19_IbLb1EEEEDaS15_S16_EUlS15_E_NS1_11comp_targetILNS1_3genE8ELNS1_11target_archE1030ELNS1_3gpuE2ELNS1_3repE0EEENS1_30default_config_static_selectorELNS0_4arch9wavefront6targetE0EEEvT1_.uses_flat_scratch, 0
	.set _ZN7rocprim17ROCPRIM_400000_NS6detail17trampoline_kernelINS0_14default_configENS1_25partition_config_selectorILNS1_17partition_subalgoE9EiibEEZZNS1_14partition_implILS5_9ELb0ES3_jPKiN6thrust23THRUST_200600_302600_NS17counting_iteratorIiNSB_11use_defaultESD_SD_EEPNS0_10empty_typeENS0_5tupleIJPiSF_EEENSH_IJSI_SG_EEENS0_18inequality_wrapperIN6hipcub16HIPCUB_304000_NS8EqualityEEEPlJSF_EEE10hipError_tPvRmT3_T4_T5_T6_T7_T9_mT8_P12ihipStream_tbDpT10_ENKUlT_T0_E_clISt17integral_constantIbLb0EES19_IbLb1EEEEDaS15_S16_EUlS15_E_NS1_11comp_targetILNS1_3genE8ELNS1_11target_archE1030ELNS1_3gpuE2ELNS1_3repE0EEENS1_30default_config_static_selectorELNS0_4arch9wavefront6targetE0EEEvT1_.has_dyn_sized_stack, 0
	.set _ZN7rocprim17ROCPRIM_400000_NS6detail17trampoline_kernelINS0_14default_configENS1_25partition_config_selectorILNS1_17partition_subalgoE9EiibEEZZNS1_14partition_implILS5_9ELb0ES3_jPKiN6thrust23THRUST_200600_302600_NS17counting_iteratorIiNSB_11use_defaultESD_SD_EEPNS0_10empty_typeENS0_5tupleIJPiSF_EEENSH_IJSI_SG_EEENS0_18inequality_wrapperIN6hipcub16HIPCUB_304000_NS8EqualityEEEPlJSF_EEE10hipError_tPvRmT3_T4_T5_T6_T7_T9_mT8_P12ihipStream_tbDpT10_ENKUlT_T0_E_clISt17integral_constantIbLb0EES19_IbLb1EEEEDaS15_S16_EUlS15_E_NS1_11comp_targetILNS1_3genE8ELNS1_11target_archE1030ELNS1_3gpuE2ELNS1_3repE0EEENS1_30default_config_static_selectorELNS0_4arch9wavefront6targetE0EEEvT1_.has_recursion, 0
	.set _ZN7rocprim17ROCPRIM_400000_NS6detail17trampoline_kernelINS0_14default_configENS1_25partition_config_selectorILNS1_17partition_subalgoE9EiibEEZZNS1_14partition_implILS5_9ELb0ES3_jPKiN6thrust23THRUST_200600_302600_NS17counting_iteratorIiNSB_11use_defaultESD_SD_EEPNS0_10empty_typeENS0_5tupleIJPiSF_EEENSH_IJSI_SG_EEENS0_18inequality_wrapperIN6hipcub16HIPCUB_304000_NS8EqualityEEEPlJSF_EEE10hipError_tPvRmT3_T4_T5_T6_T7_T9_mT8_P12ihipStream_tbDpT10_ENKUlT_T0_E_clISt17integral_constantIbLb0EES19_IbLb1EEEEDaS15_S16_EUlS15_E_NS1_11comp_targetILNS1_3genE8ELNS1_11target_archE1030ELNS1_3gpuE2ELNS1_3repE0EEENS1_30default_config_static_selectorELNS0_4arch9wavefront6targetE0EEEvT1_.has_indirect_call, 0
	.section	.AMDGPU.csdata,"",@progbits
; Kernel info:
; codeLenInByte = 0
; TotalNumSgprs: 0
; NumVgprs: 0
; ScratchSize: 0
; MemoryBound: 0
; FloatMode: 240
; IeeeMode: 1
; LDSByteSize: 0 bytes/workgroup (compile time only)
; SGPRBlocks: 0
; VGPRBlocks: 0
; NumSGPRsForWavesPerEU: 1
; NumVGPRsForWavesPerEU: 1
; NamedBarCnt: 0
; Occupancy: 16
; WaveLimiterHint : 0
; COMPUTE_PGM_RSRC2:SCRATCH_EN: 0
; COMPUTE_PGM_RSRC2:USER_SGPR: 2
; COMPUTE_PGM_RSRC2:TRAP_HANDLER: 0
; COMPUTE_PGM_RSRC2:TGID_X_EN: 1
; COMPUTE_PGM_RSRC2:TGID_Y_EN: 0
; COMPUTE_PGM_RSRC2:TGID_Z_EN: 0
; COMPUTE_PGM_RSRC2:TIDIG_COMP_CNT: 0
	.section	.text._ZN7rocprim17ROCPRIM_400000_NS6detail17trampoline_kernelINS0_14default_configENS1_25partition_config_selectorILNS1_17partition_subalgoE9EllbEEZZNS1_14partition_implILS5_9ELb0ES3_jPKlN6thrust23THRUST_200600_302600_NS17counting_iteratorIlNSB_11use_defaultESD_SD_EEPNS0_10empty_typeENS0_5tupleIJPlSF_EEENSH_IJSI_SG_EEENS0_18inequality_wrapperIN6hipcub16HIPCUB_304000_NS8EqualityEEESI_JSF_EEE10hipError_tPvRmT3_T4_T5_T6_T7_T9_mT8_P12ihipStream_tbDpT10_ENKUlT_T0_E_clISt17integral_constantIbLb0EES19_EEDaS14_S15_EUlS14_E_NS1_11comp_targetILNS1_3genE0ELNS1_11target_archE4294967295ELNS1_3gpuE0ELNS1_3repE0EEENS1_30default_config_static_selectorELNS0_4arch9wavefront6targetE0EEEvT1_,"axG",@progbits,_ZN7rocprim17ROCPRIM_400000_NS6detail17trampoline_kernelINS0_14default_configENS1_25partition_config_selectorILNS1_17partition_subalgoE9EllbEEZZNS1_14partition_implILS5_9ELb0ES3_jPKlN6thrust23THRUST_200600_302600_NS17counting_iteratorIlNSB_11use_defaultESD_SD_EEPNS0_10empty_typeENS0_5tupleIJPlSF_EEENSH_IJSI_SG_EEENS0_18inequality_wrapperIN6hipcub16HIPCUB_304000_NS8EqualityEEESI_JSF_EEE10hipError_tPvRmT3_T4_T5_T6_T7_T9_mT8_P12ihipStream_tbDpT10_ENKUlT_T0_E_clISt17integral_constantIbLb0EES19_EEDaS14_S15_EUlS14_E_NS1_11comp_targetILNS1_3genE0ELNS1_11target_archE4294967295ELNS1_3gpuE0ELNS1_3repE0EEENS1_30default_config_static_selectorELNS0_4arch9wavefront6targetE0EEEvT1_,comdat
	.protected	_ZN7rocprim17ROCPRIM_400000_NS6detail17trampoline_kernelINS0_14default_configENS1_25partition_config_selectorILNS1_17partition_subalgoE9EllbEEZZNS1_14partition_implILS5_9ELb0ES3_jPKlN6thrust23THRUST_200600_302600_NS17counting_iteratorIlNSB_11use_defaultESD_SD_EEPNS0_10empty_typeENS0_5tupleIJPlSF_EEENSH_IJSI_SG_EEENS0_18inequality_wrapperIN6hipcub16HIPCUB_304000_NS8EqualityEEESI_JSF_EEE10hipError_tPvRmT3_T4_T5_T6_T7_T9_mT8_P12ihipStream_tbDpT10_ENKUlT_T0_E_clISt17integral_constantIbLb0EES19_EEDaS14_S15_EUlS14_E_NS1_11comp_targetILNS1_3genE0ELNS1_11target_archE4294967295ELNS1_3gpuE0ELNS1_3repE0EEENS1_30default_config_static_selectorELNS0_4arch9wavefront6targetE0EEEvT1_ ; -- Begin function _ZN7rocprim17ROCPRIM_400000_NS6detail17trampoline_kernelINS0_14default_configENS1_25partition_config_selectorILNS1_17partition_subalgoE9EllbEEZZNS1_14partition_implILS5_9ELb0ES3_jPKlN6thrust23THRUST_200600_302600_NS17counting_iteratorIlNSB_11use_defaultESD_SD_EEPNS0_10empty_typeENS0_5tupleIJPlSF_EEENSH_IJSI_SG_EEENS0_18inequality_wrapperIN6hipcub16HIPCUB_304000_NS8EqualityEEESI_JSF_EEE10hipError_tPvRmT3_T4_T5_T6_T7_T9_mT8_P12ihipStream_tbDpT10_ENKUlT_T0_E_clISt17integral_constantIbLb0EES19_EEDaS14_S15_EUlS14_E_NS1_11comp_targetILNS1_3genE0ELNS1_11target_archE4294967295ELNS1_3gpuE0ELNS1_3repE0EEENS1_30default_config_static_selectorELNS0_4arch9wavefront6targetE0EEEvT1_
	.globl	_ZN7rocprim17ROCPRIM_400000_NS6detail17trampoline_kernelINS0_14default_configENS1_25partition_config_selectorILNS1_17partition_subalgoE9EllbEEZZNS1_14partition_implILS5_9ELb0ES3_jPKlN6thrust23THRUST_200600_302600_NS17counting_iteratorIlNSB_11use_defaultESD_SD_EEPNS0_10empty_typeENS0_5tupleIJPlSF_EEENSH_IJSI_SG_EEENS0_18inequality_wrapperIN6hipcub16HIPCUB_304000_NS8EqualityEEESI_JSF_EEE10hipError_tPvRmT3_T4_T5_T6_T7_T9_mT8_P12ihipStream_tbDpT10_ENKUlT_T0_E_clISt17integral_constantIbLb0EES19_EEDaS14_S15_EUlS14_E_NS1_11comp_targetILNS1_3genE0ELNS1_11target_archE4294967295ELNS1_3gpuE0ELNS1_3repE0EEENS1_30default_config_static_selectorELNS0_4arch9wavefront6targetE0EEEvT1_
	.p2align	8
	.type	_ZN7rocprim17ROCPRIM_400000_NS6detail17trampoline_kernelINS0_14default_configENS1_25partition_config_selectorILNS1_17partition_subalgoE9EllbEEZZNS1_14partition_implILS5_9ELb0ES3_jPKlN6thrust23THRUST_200600_302600_NS17counting_iteratorIlNSB_11use_defaultESD_SD_EEPNS0_10empty_typeENS0_5tupleIJPlSF_EEENSH_IJSI_SG_EEENS0_18inequality_wrapperIN6hipcub16HIPCUB_304000_NS8EqualityEEESI_JSF_EEE10hipError_tPvRmT3_T4_T5_T6_T7_T9_mT8_P12ihipStream_tbDpT10_ENKUlT_T0_E_clISt17integral_constantIbLb0EES19_EEDaS14_S15_EUlS14_E_NS1_11comp_targetILNS1_3genE0ELNS1_11target_archE4294967295ELNS1_3gpuE0ELNS1_3repE0EEENS1_30default_config_static_selectorELNS0_4arch9wavefront6targetE0EEEvT1_,@function
_ZN7rocprim17ROCPRIM_400000_NS6detail17trampoline_kernelINS0_14default_configENS1_25partition_config_selectorILNS1_17partition_subalgoE9EllbEEZZNS1_14partition_implILS5_9ELb0ES3_jPKlN6thrust23THRUST_200600_302600_NS17counting_iteratorIlNSB_11use_defaultESD_SD_EEPNS0_10empty_typeENS0_5tupleIJPlSF_EEENSH_IJSI_SG_EEENS0_18inequality_wrapperIN6hipcub16HIPCUB_304000_NS8EqualityEEESI_JSF_EEE10hipError_tPvRmT3_T4_T5_T6_T7_T9_mT8_P12ihipStream_tbDpT10_ENKUlT_T0_E_clISt17integral_constantIbLb0EES19_EEDaS14_S15_EUlS14_E_NS1_11comp_targetILNS1_3genE0ELNS1_11target_archE4294967295ELNS1_3gpuE0ELNS1_3repE0EEENS1_30default_config_static_selectorELNS0_4arch9wavefront6targetE0EEEvT1_: ; @_ZN7rocprim17ROCPRIM_400000_NS6detail17trampoline_kernelINS0_14default_configENS1_25partition_config_selectorILNS1_17partition_subalgoE9EllbEEZZNS1_14partition_implILS5_9ELb0ES3_jPKlN6thrust23THRUST_200600_302600_NS17counting_iteratorIlNSB_11use_defaultESD_SD_EEPNS0_10empty_typeENS0_5tupleIJPlSF_EEENSH_IJSI_SG_EEENS0_18inequality_wrapperIN6hipcub16HIPCUB_304000_NS8EqualityEEESI_JSF_EEE10hipError_tPvRmT3_T4_T5_T6_T7_T9_mT8_P12ihipStream_tbDpT10_ENKUlT_T0_E_clISt17integral_constantIbLb0EES19_EEDaS14_S15_EUlS14_E_NS1_11comp_targetILNS1_3genE0ELNS1_11target_archE4294967295ELNS1_3gpuE0ELNS1_3repE0EEENS1_30default_config_static_selectorELNS0_4arch9wavefront6targetE0EEEvT1_
; %bb.0:
	s_clause 0x3
	s_load_b128 s[4:7], s[0:1], 0x8
	s_load_b128 s[12:15], s[0:1], 0x40
	s_load_b32 s21, s[0:1], 0x68
	s_load_b64 s[2:3], s[0:1], 0x50
	s_bfe_u32 s10, ttmp6, 0x4000c
	s_and_b32 s8, ttmp6, 15
	s_add_co_i32 s10, s10, 1
	s_load_b64 s[16:17], s[0:1], 0x18
	s_mul_i32 s10, ttmp9, s10
	s_mov_b32 s9, 0
	s_add_co_i32 s23, s8, s10
	s_getreg_b32 s20, hwreg(HW_REG_IB_STS2, 6, 4)
	v_dual_mov_b32 v34, v0 :: v_dual_lshlrev_b32 v35, 3, v0
	s_mov_b32 s22, -1
	s_wait_kmcnt 0x0
	s_lshl_b64 s[18:19], s[6:7], 3
	s_load_b64 s[10:11], s[14:15], 0x0
	s_mul_i32 s8, s21, 0x280
	s_cmp_eq_u32 s20, 0
	s_wait_xcnt 0x0
	s_add_nc_u64 s[14:15], s[6:7], s[8:9]
	s_cselect_b32 s20, ttmp9, s23
	s_add_co_i32 s8, s8, s6
	v_cmp_le_u64_e64 s15, s[2:3], s[14:15]
	s_add_co_i32 s21, s21, -1
	s_sub_co_i32 s14, s2, s8
	s_cmp_eq_u32 s20, s21
	s_add_nc_u64 s[2:3], s[4:5], s[18:19]
	s_cselect_b32 s18, -1, 0
	s_mul_i32 s8, s20, 0x280
	s_and_b32 s21, s18, s15
	s_lshl_b64 s[4:5], s[8:9], 3
	s_xor_b32 s19, s21, -1
	s_add_nc_u64 s[2:3], s[2:3], s[4:5]
	s_and_b32 vcc_lo, exec_lo, s19
	s_cbranch_vccz .LBB44_2
; %bb.1:
	s_clause 0x4
	global_load_b64 v[2:3], v0, s[2:3] scale_offset
	global_load_b64 v[4:5], v0, s[2:3] offset:1024 scale_offset
	global_load_b64 v[6:7], v0, s[2:3] offset:2048 scale_offset
	;; [unrolled: 1-line block ×4, first 2 shown]
	v_lshlrev_b32_e32 v1, 3, v0
	s_mov_b32 s22, s9
	s_wait_loadcnt 0x3
	ds_store_2addr_stride64_b64 v1, v[2:3], v[4:5] offset1:2
	s_wait_loadcnt 0x1
	ds_store_2addr_stride64_b64 v1, v[6:7], v[8:9] offset0:4 offset1:6
	s_wait_loadcnt 0x0
	ds_store_b64 v1, v[10:11] offset:4096
	s_wait_dscnt 0x0
	s_barrier_signal -1
	s_barrier_wait -1
.LBB44_2:
	s_and_not1_b32 vcc_lo, exec_lo, s22
	s_add_co_i32 s22, s14, 0x280
	s_cbranch_vccnz .LBB44_14
; %bb.3:
	v_mov_b32_e32 v2, 0
	s_mov_b32 s4, exec_lo
	s_delay_alu instid0(VALU_DEP_1)
	v_dual_mov_b32 v3, v2 :: v_dual_mov_b32 v4, v2
	v_dual_mov_b32 v5, v2 :: v_dual_mov_b32 v6, v2
	;; [unrolled: 1-line block ×4, first 2 shown]
	v_mov_b32_e32 v11, v2
	v_cmpx_gt_u32_e64 s22, v0
	s_cbranch_execz .LBB44_5
; %bb.4:
	global_load_b64 v[4:5], v0, s[2:3] scale_offset
	v_dual_mov_b32 v6, v2 :: v_dual_mov_b32 v7, v2
	v_dual_mov_b32 v8, v2 :: v_dual_mov_b32 v9, v2
	;; [unrolled: 1-line block ×4, first 2 shown]
	s_wait_loadcnt 0x0
	v_mov_b64_e32 v[2:3], v[4:5]
	v_mov_b64_e32 v[4:5], v[6:7]
	;; [unrolled: 1-line block ×8, first 2 shown]
.LBB44_5:
	s_or_b32 exec_lo, exec_lo, s4
	v_or_b32_e32 v1, 0x80, v0
	s_mov_b32 s4, exec_lo
	s_delay_alu instid0(VALU_DEP_1)
	v_cmpx_gt_u32_e64 s22, v1
	s_cbranch_execz .LBB44_7
; %bb.6:
	global_load_b64 v[4:5], v0, s[2:3] offset:1024 scale_offset
.LBB44_7:
	s_wait_xcnt 0x0
	s_or_b32 exec_lo, exec_lo, s4
	v_or_b32_e32 v1, 0x100, v0
	s_mov_b32 s4, exec_lo
	s_delay_alu instid0(VALU_DEP_1)
	v_cmpx_gt_u32_e64 s22, v1
	s_cbranch_execz .LBB44_9
; %bb.8:
	global_load_b64 v[6:7], v0, s[2:3] offset:2048 scale_offset
.LBB44_9:
	s_wait_xcnt 0x0
	;; [unrolled: 10-line block ×4, first 2 shown]
	s_or_b32 exec_lo, exec_lo, s4
	v_lshlrev_b32_e32 v1, 3, v0
	s_wait_loadcnt 0x0
	ds_store_2addr_stride64_b64 v1, v[2:3], v[4:5] offset1:2
	ds_store_2addr_stride64_b64 v1, v[6:7], v[8:9] offset0:4 offset1:6
	ds_store_b64 v1, v[10:11] offset:4096
	s_wait_dscnt 0x0
	s_barrier_signal -1
	s_barrier_wait -1
.LBB44_14:
	v_mul_u32_u24_e32 v32, 5, v0
	s_add_nc_u64 s[4:5], s[6:7], s[8:9]
	s_and_b32 vcc_lo, exec_lo, s19
	s_add_nc_u64 s[4:5], s[4:5], s[16:17]
	s_delay_alu instid0(VALU_DEP_1)
	v_lshlrev_b32_e32 v30, 3, v32
	s_mov_b32 s8, -1
	ds_load_2addr_b64 v[14:17], v30 offset0:2 offset1:3
	ds_load_2addr_b64 v[10:13], v30 offset0:3 offset1:4
	ds_load_2addr_b64 v[18:21], v30 offset1:1
	ds_load_2addr_b64 v[22:25], v30 offset0:1 offset1:2
	s_wait_dscnt 0x0
	s_barrier_signal -1
	s_barrier_wait -1
	s_cbranch_vccz .LBB44_16
; %bb.15:
	v_mov_b32_e32 v1, 0
	s_mov_b32 s8, 0
	s_delay_alu instid0(VALU_DEP_1) | instskip(SKIP_1) | instid1(VALU_DEP_2)
	v_add_nc_u64_e32 v[2:3], s[4:5], v[0:1]
	v_lshlrev_b32_e32 v1, 3, v0
	v_add_nc_u64_e32 v[4:5], 0x80, v[2:3]
	v_add_nc_u64_e32 v[6:7], 0x100, v[2:3]
	v_add_nc_u64_e32 v[8:9], 0x180, v[2:3]
	v_add_nc_u64_e32 v[26:27], 0x200, v[2:3]
	ds_store_2addr_stride64_b64 v1, v[2:3], v[4:5] offset1:2
	ds_store_2addr_stride64_b64 v1, v[6:7], v[8:9] offset0:4 offset1:6
	ds_store_b64 v1, v[26:27] offset:4096
	s_wait_dscnt 0x0
	s_barrier_signal -1
	s_barrier_wait -1
.LBB44_16:
	v_lshlrev_b32_e32 v31, 5, v0
	s_and_not1_b32 vcc_lo, exec_lo, s8
	s_cbranch_vccnz .LBB44_18
; %bb.17:
	v_mov_b32_e32 v1, 0
	v_or_b32_e32 v2, 0x80, v0
	v_or_b32_e32 v4, 0x100, v0
	;; [unrolled: 1-line block ×4, first 2 shown]
	v_dual_mov_b32 v3, v1 :: v_dual_mov_b32 v5, v1
	v_dual_mov_b32 v7, v1 :: v_dual_mov_b32 v9, v1
	v_add_nc_u64_e32 v[26:27], s[4:5], v[0:1]
	s_delay_alu instid0(VALU_DEP_3) | instskip(NEXT) | instid1(VALU_DEP_4)
	v_add_nc_u64_e32 v[2:3], s[4:5], v[2:3]
	v_add_nc_u64_e32 v[4:5], s[4:5], v[4:5]
	s_delay_alu instid0(VALU_DEP_4)
	v_add_nc_u64_e32 v[6:7], s[4:5], v[6:7]
	v_add_nc_u64_e32 v[8:9], s[4:5], v[8:9]
	v_sub_nc_u32_e32 v1, v30, v31
	ds_store_2addr_stride64_b64 v1, v[26:27], v[2:3] offset1:2
	ds_store_2addr_stride64_b64 v1, v[4:5], v[6:7] offset0:4 offset1:6
	ds_store_b64 v1, v[8:9] offset:4096
	s_wait_dscnt 0x0
	s_barrier_signal -1
	s_barrier_wait -1
.LBB44_18:
	ds_load_b64 v[26:27], v30 offset:32
	ds_load_2addr_b64 v[2:5], v30 offset0:2 offset1:3
	ds_load_2addr_b64 v[6:9], v30 offset1:1
	s_cmp_lg_u32 s20, 0
	s_wait_dscnt 0x0
	s_cselect_b32 s8, -1, 0
	s_cmp_lg_u64 s[6:7], 0
	s_mov_b32 s7, 0
	s_cselect_b32 s4, -1, 0
	s_barrier_signal -1
	s_or_b32 s4, s8, s4
	s_barrier_wait -1
	s_and_b32 vcc_lo, exec_lo, s4
	s_cbranch_vccz .LBB44_23
; %bb.19:
	s_add_nc_u64 s[2:3], s[2:3], -8
	v_lshlrev_b32_e32 v1, 3, v0
	s_load_b64 s[2:3], s[2:3], 0x0
	s_and_b32 vcc_lo, exec_lo, s19
	ds_store_b64 v1, v[12:13]
	s_cbranch_vccz .LBB44_25
; %bb.20:
	s_wait_kmcnt 0x0
	v_mov_b64_e32 v[28:29], s[2:3]
	s_mov_b32 s5, 0
	s_mov_b32 s4, exec_lo
	s_wait_dscnt 0x0
	s_barrier_signal -1
	s_barrier_wait -1
	v_cmpx_ne_u32_e32 0, v0
; %bb.21:
	v_add_nc_u32_e32 v28, -8, v1
	ds_load_b64 v[28:29], v28
; %bb.22:
	s_or_b32 exec_lo, exec_lo, s4
	v_cmp_ne_u64_e32 vcc_lo, v[14:15], v[16:17]
	s_wait_dscnt 0x0
	v_cmp_ne_u64_e64 s4, v[28:29], v[18:19]
	v_cndmask_b32_e64 v33, 0, 1, vcc_lo
	v_cmp_ne_u64_e32 vcc_lo, v[20:21], v[14:15]
	s_delay_alu instid0(VALU_DEP_2) | instskip(SKIP_2) | instid1(VALU_DEP_2)
	v_lshlrev_b16 v33, 8, v33
	v_cndmask_b32_e64 v36, 0, 1, vcc_lo
	v_cmp_ne_u64_e32 vcc_lo, v[18:19], v[20:21]
	v_or_b32_e32 v33, v36, v33
	v_cndmask_b32_e64 v37, 0, 1, vcc_lo
	v_cmp_ne_u64_e32 vcc_lo, v[16:17], v[12:13]
	s_delay_alu instid0(VALU_DEP_2) | instskip(NEXT) | instid1(VALU_DEP_4)
	v_lshlrev_b16 v36, 8, v37
	v_lshlrev_b32_e32 v37, 16, v33
	v_cndmask_b32_e64 v33, 0, 1, vcc_lo
	s_delay_alu instid0(VALU_DEP_3) | instskip(NEXT) | instid1(VALU_DEP_1)
	v_and_b32_e32 v36, 0xffff, v36
	v_or_b32_e32 v37, v36, v37
	s_and_b32 vcc_lo, exec_lo, s5
	s_cbranch_vccnz .LBB44_26
	s_branch .LBB44_29
.LBB44_23:
                                        ; implicit-def: $sgpr4
                                        ; implicit-def: $vgpr33
                                        ; implicit-def: $vgpr37
	s_branch .LBB44_30
.LBB44_24:
                                        ; implicit-def: $vgpr30
                                        ; implicit-def: $vgpr29
                                        ; implicit-def: $vgpr36
                                        ; implicit-def: $vgpr28
                                        ; implicit-def: $vgpr1
	s_branch .LBB44_38
.LBB44_25:
                                        ; implicit-def: $sgpr4
                                        ; implicit-def: $vgpr33
                                        ; implicit-def: $vgpr37
	s_cbranch_execz .LBB44_29
.LBB44_26:
	s_wait_kmcnt 0x0
	v_mov_b64_e32 v[28:29], s[2:3]
	s_mov_b32 s2, exec_lo
	s_wait_dscnt 0x0
	s_barrier_signal -1
	s_barrier_wait -1
	v_cmpx_ne_u32_e32 0, v0
; %bb.27:
	v_add_nc_u32_e32 v1, -8, v1
	ds_load_b64 v[28:29], v1
; %bb.28:
	s_or_b32 exec_lo, exec_lo, s2
	v_dual_add_nc_u32 v1, 3, v32 :: v_dual_add_nc_u32 v33, 2, v32
	v_cmp_ne_u64_e32 vcc_lo, v[14:15], v[16:17]
	v_cmp_ne_u64_e64 s3, v[20:21], v[14:15]
	v_cmp_ne_u64_e64 s4, v[18:19], v[20:21]
	s_delay_alu instid0(VALU_DEP_4)
	v_cmp_gt_u32_e64 s2, s22, v1
	v_dual_add_nc_u32 v1, 1, v32 :: v_dual_add_nc_u32 v37, 4, v32
	v_cmp_gt_u32_e64 s5, s22, v33
	s_and_b32 s2, s2, vcc_lo
	v_cmp_gt_u32_e32 vcc_lo, s22, v1
	v_cndmask_b32_e64 v33, 0, 1, s2
	s_and_b32 s2, s5, s3
	s_wait_dscnt 0x0
	v_cmp_ne_u64_e64 s3, v[28:29], v[18:19]
	v_cndmask_b32_e64 v1, 0, 1, s2
	s_and_b32 s2, vcc_lo, s4
	v_lshlrev_b16 v33, 8, v33
	v_cndmask_b32_e64 v36, 0, 1, s2
	v_cmp_ne_u64_e32 vcc_lo, v[16:17], v[12:13]
	v_cmp_gt_u32_e64 s2, s22, v37
	v_cmp_gt_u32_e64 s4, s22, v32
	v_or_b32_e32 v1, v1, v33
	v_lshlrev_b16 v33, 8, v36
	s_and_b32 s2, s2, vcc_lo
	s_delay_alu instid0(VALU_DEP_2) | instskip(NEXT) | instid1(VALU_DEP_2)
	v_lshlrev_b32_e32 v1, 16, v1
	v_and_b32_e32 v36, 0xffff, v33
	v_cndmask_b32_e64 v33, 0, 1, s2
	s_and_b32 s4, s4, s3
	s_delay_alu instid0(VALU_DEP_2)
	v_or_b32_e32 v37, v36, v1
.LBB44_29:
	s_wait_kmcnt 0x0
	s_mov_b32 s7, -1
	s_cbranch_execnz .LBB44_24
.LBB44_30:
	v_sub_nc_u32_e32 v31, v30, v31
	s_and_b32 vcc_lo, exec_lo, s19
	ds_store_b64 v31, v[12:13]
	s_cbranch_vccz .LBB44_34
; %bb.31:
	v_cmp_ne_u64_e32 vcc_lo, v[16:17], v[12:13]
	v_mov_b32_e32 v30, 1
	s_mov_b32 s2, 0
	s_mov_b32 s3, exec_lo
	s_wait_dscnt 0x0
	s_barrier_signal -1
	s_barrier_wait -1
	v_cndmask_b32_e64 v1, 0, 1, vcc_lo
	v_cmp_ne_u64_e32 vcc_lo, v[18:19], v[20:21]
                                        ; implicit-def: $sgpr4
                                        ; implicit-def: $vgpr37
	v_cndmask_b32_e64 v29, 0, 1, vcc_lo
	v_cmp_ne_u64_e32 vcc_lo, v[20:21], v[14:15]
	v_cndmask_b32_e64 v36, 0, 1, vcc_lo
	v_cmp_ne_u64_e32 vcc_lo, v[14:15], v[16:17]
	v_cndmask_b32_e64 v28, 0, 1, vcc_lo
	v_cmpx_ne_u32_e32 0, v0
	s_xor_b32 s3, exec_lo, s3
	s_cbranch_execz .LBB44_33
; %bb.32:
	v_lshlrev_b16 v37, 8, v29
	v_add_nc_u32_e32 v33, -8, v31
	s_or_b32 s7, s7, exec_lo
	s_delay_alu instid0(VALU_DEP_2) | instskip(SKIP_3) | instid1(VALU_DEP_2)
	v_or_b32_e32 v37, 1, v37
	ds_load_b64 v[38:39], v33
	v_lshlrev_b16 v33, 8, v28
	v_and_b32_e32 v37, 0xffff, v37
	v_or_b32_e32 v33, v36, v33
	s_delay_alu instid0(VALU_DEP_1) | instskip(NEXT) | instid1(VALU_DEP_1)
	v_lshlrev_b32_e32 v33, 16, v33
	v_or_b32_e32 v33, v37, v33
	s_wait_dscnt 0x0
	v_cmp_ne_u64_e64 s4, v[38:39], v[18:19]
	s_delay_alu instid0(VALU_DEP_2)
	v_perm_b32 v37, v33, v33, 0x3020104
.LBB44_33:
	s_or_b32 exec_lo, exec_lo, s3
	v_mov_b32_e32 v33, v1
	s_and_b32 vcc_lo, exec_lo, s2
	s_cbranch_vccnz .LBB44_35
	s_branch .LBB44_38
.LBB44_34:
                                        ; implicit-def: $sgpr4
                                        ; implicit-def: $vgpr33
                                        ; implicit-def: $vgpr37
                                        ; implicit-def: $vgpr30
                                        ; implicit-def: $vgpr29
                                        ; implicit-def: $vgpr36
                                        ; implicit-def: $vgpr28
                                        ; implicit-def: $vgpr1
	s_cbranch_execz .LBB44_38
.LBB44_35:
	v_dual_add_nc_u32 v1, 4, v32 :: v_dual_add_nc_u32 v28, 3, v32
	v_add_nc_u32_e32 v29, 2, v32
	v_cmp_ne_u64_e32 vcc_lo, v[16:17], v[12:13]
	v_cmp_ne_u64_e64 s2, v[20:21], v[24:25]
	s_delay_alu instid0(VALU_DEP_4)
	v_cmp_gt_u32_e64 s3, s22, v1
	v_cmp_ne_u64_e64 s4, v[14:15], v[10:11]
	v_add_nc_u32_e32 v11, 1, v32
	v_cmp_gt_u32_e64 s5, s22, v29
	v_cmp_gt_u32_e64 s6, s22, v28
	s_and_b32 s3, s3, vcc_lo
	v_cmp_ne_u64_e32 vcc_lo, v[18:19], v[22:23]
	v_cndmask_b32_e64 v33, 0, 1, s3
	s_and_b32 s2, s5, s2
	s_mov_b32 s3, exec_lo
	v_cndmask_b32_e64 v24, 0, 1, s2
	s_and_b32 s2, s6, s4
	v_lshlrev_b16 v10, 8, v33
	v_cndmask_b32_e64 v25, 0, 1, s2
	v_cmp_gt_u32_e64 s2, s22, v11
	v_lshlrev_b16 v1, 8, v24
	s_wait_dscnt 0x0
	s_delay_alu instid0(VALU_DEP_3) | instskip(SKIP_1) | instid1(VALU_DEP_2)
	v_dual_mov_b32 v30, 1 :: v_dual_bitop2_b32 v28, v25, v10 bitop3:0x54
	s_and_b32 s2, s2, vcc_lo
	v_and_b32_e32 v11, 0xffff, v1
	v_cndmask_b32_e64 v22, 0, 1, s2
	s_barrier_signal -1
	v_lshlrev_b32_e32 v10, 16, v28
	s_barrier_wait -1
                                        ; implicit-def: $sgpr4
                                        ; implicit-def: $vgpr37
	s_delay_alu instid0(VALU_DEP_1)
	v_or_b32_e32 v11, v11, v10
	v_cmpx_ne_u32_e32 0, v0
	s_cbranch_execz .LBB44_37
; %bb.36:
	v_lshlrev_b16 v23, 8, v25
	v_lshlrev_b16 v25, 8, v22
	v_add_nc_u32_e32 v29, -8, v31
	v_cmp_gt_u32_e64 s2, s22, v32
	s_or_b32 s7, s7, exec_lo
	v_lshrrev_b32_e32 v25, 8, v25
	ds_load_b64 v[36:37], v29
	v_lshlrev_b16 v25, 8, v25
	v_lshrrev_b32_e32 v23, 8, v23
	s_delay_alu instid0(VALU_DEP_1) | instskip(NEXT) | instid1(VALU_DEP_1)
	v_lshlrev_b16 v23, 8, v23
	v_or_b32_e32 v23, v24, v23
	s_delay_alu instid0(VALU_DEP_1) | instskip(NEXT) | instid1(VALU_DEP_1)
	v_dual_lshlrev_b32 v23, 16, v23 :: v_dual_bitop2_b32 v24, 1, v25 bitop3:0x54
	v_and_b32_e32 v24, 0xffff, v24
	s_wait_dscnt 0x0
	v_cmp_ne_u64_e32 vcc_lo, v[36:37], v[18:19]
	s_delay_alu instid0(VALU_DEP_2) | instskip(SKIP_1) | instid1(VALU_DEP_1)
	v_or_b32_e32 v23, v24, v23
	s_and_b32 s4, s2, vcc_lo
	v_perm_b32 v37, v23, v23, 0x3020104
.LBB44_37:
	s_or_b32 exec_lo, exec_lo, s3
	v_dual_lshrrev_b32 v1, 24, v10 :: v_dual_bitop2_b32 v29, v22, v1 bitop3:0x54
	v_lshrrev_b32_e32 v36, 8, v11
.LBB44_38:
	s_and_saveexec_b32 s2, s7
; %bb.39:
	v_dual_lshrrev_b32 v28, 24, v37 :: v_dual_lshrrev_b32 v36, 16, v37
	v_dual_lshrrev_b32 v29, 8, v37 :: v_dual_mov_b32 v1, v33
	v_cndmask_b32_e64 v30, 0, 1, s4
; %bb.40:
	s_or_b32 exec_lo, exec_lo, s2
	s_load_b64 s[14:15], s[0:1], 0x60
	s_and_not1_b32 vcc_lo, exec_lo, s21
	s_cbranch_vccnz .LBB44_44
; %bb.41:
	v_perm_b32 v10, v30, v29, 0xc0c0004
	v_perm_b32 v11, v36, v28, 0xc0c0004
	v_cmp_gt_u32_e32 vcc_lo, s22, v32
	v_and_b32_e32 v1, 0xff, v1
	s_mov_b32 s2, exec_lo
	v_add_nc_u32_e32 v22, 1, v32
	v_lshl_or_b32 v10, v11, 16, v10
	s_delay_alu instid0(VALU_DEP_3) | instskip(NEXT) | instid1(VALU_DEP_2)
	v_and_b32_e32 v31, 0xffff, v1
	v_cndmask_b32_e32 v11, 0, v10, vcc_lo
	s_delay_alu instid0(VALU_DEP_4) | instskip(SKIP_1) | instid1(VALU_DEP_3)
	v_cmp_gt_u32_e32 vcc_lo, s22, v22
	v_add_nc_u32_e32 v22, 2, v32
	v_and_b32_e32 v11, 0xff, v11
	s_delay_alu instid0(VALU_DEP_1) | instskip(NEXT) | instid1(VALU_DEP_3)
	v_cndmask_b32_e32 v11, v11, v10, vcc_lo
	v_cmp_gt_u32_e32 vcc_lo, s22, v22
	v_add_nc_u32_e32 v22, 3, v32
	s_delay_alu instid0(VALU_DEP_3) | instskip(NEXT) | instid1(VALU_DEP_1)
	v_and_b32_e32 v11, 0xffff, v11
	v_cndmask_b32_e32 v11, v11, v10, vcc_lo
	s_delay_alu instid0(VALU_DEP_3) | instskip(NEXT) | instid1(VALU_DEP_2)
	v_cmp_gt_u32_e32 vcc_lo, s22, v22
	v_and_b32_e32 v11, 0xffffff, v11
	s_delay_alu instid0(VALU_DEP_1) | instskip(NEXT) | instid1(VALU_DEP_1)
	v_dual_cndmask_b32 v30, v11, v10, vcc_lo :: v_dual_add_nc_u32 v10, 4, v32
	v_lshrrev_b64 v[28:29], 24, v[30:31]
	v_dual_lshrrev_b32 v36, 16, v30 :: v_dual_lshrrev_b32 v29, 8, v30
	s_delay_alu instid0(VALU_DEP_3)
	v_cmpx_le_u32_e64 s22, v10
; %bb.42:
	v_mov_b32_e32 v1, 0
; %bb.43:
	s_or_b32 exec_lo, exec_lo, s2
.LBB44_44:
	v_and_b32_e32 v31, 0xff, v30
	v_and_b32_e32 v37, 0xff, v29
	;; [unrolled: 1-line block ×3, first 2 shown]
	v_mbcnt_lo_u32_b32 v40, -1, 0
	v_and_b32_e32 v39, 0xff, v28
	v_and_b32_e32 v10, 0xff, v1
	s_and_b32 vcc_lo, exec_lo, s8
	v_add3_u32 v11, v37, v31, v38
	v_and_b32_e32 v22, 15, v40
	s_mov_b32 s9, -1
	v_lshrrev_b32_e32 v41, 5, v0
	s_wait_dscnt 0x0
	v_add3_u32 v42, v11, v39, v10
	v_and_b32_e32 v10, 16, v40
	v_or_b32_e32 v11, 31, v0
	v_cmp_eq_u32_e64 s4, 0, v22
	v_cmp_lt_u32_e64 s6, 1, v22
	v_cmp_lt_u32_e64 s7, 3, v22
	;; [unrolled: 1-line block ×3, first 2 shown]
	v_cmp_eq_u32_e64 s3, 0, v10
	v_cmp_eq_u32_e64 s2, v0, v11
	s_barrier_signal -1
	s_barrier_wait -1
	s_cbranch_vccz .LBB44_66
; %bb.45:
	v_mov_b32_dpp v10, v42 row_shr:1 row_mask:0xf bank_mask:0xf
	s_delay_alu instid0(VALU_DEP_1) | instskip(NEXT) | instid1(VALU_DEP_1)
	v_cndmask_b32_e64 v10, v10, 0, s4
	v_add_nc_u32_e32 v10, v10, v42
	s_delay_alu instid0(VALU_DEP_1) | instskip(NEXT) | instid1(VALU_DEP_1)
	v_mov_b32_dpp v11, v10 row_shr:2 row_mask:0xf bank_mask:0xf
	v_cndmask_b32_e64 v11, 0, v11, s6
	s_delay_alu instid0(VALU_DEP_1) | instskip(NEXT) | instid1(VALU_DEP_1)
	v_add_nc_u32_e32 v10, v10, v11
	v_mov_b32_dpp v11, v10 row_shr:4 row_mask:0xf bank_mask:0xf
	s_delay_alu instid0(VALU_DEP_1) | instskip(NEXT) | instid1(VALU_DEP_1)
	v_cndmask_b32_e64 v11, 0, v11, s7
	v_add_nc_u32_e32 v10, v10, v11
	s_delay_alu instid0(VALU_DEP_1) | instskip(NEXT) | instid1(VALU_DEP_1)
	v_mov_b32_dpp v11, v10 row_shr:8 row_mask:0xf bank_mask:0xf
	v_cndmask_b32_e64 v11, 0, v11, s5
	s_delay_alu instid0(VALU_DEP_1) | instskip(SKIP_3) | instid1(VALU_DEP_1)
	v_add_nc_u32_e32 v10, v10, v11
	ds_swizzle_b32 v11, v10 offset:swizzle(BROADCAST,32,15)
	s_wait_dscnt 0x0
	v_cndmask_b32_e64 v11, v11, 0, s3
	v_add_nc_u32_e32 v10, v10, v11
	s_and_saveexec_b32 s8, s2
; %bb.46:
	v_lshlrev_b32_e32 v11, 2, v41
	ds_store_b32 v11, v10
; %bb.47:
	s_or_b32 exec_lo, exec_lo, s8
	s_delay_alu instid0(SALU_CYCLE_1)
	s_mov_b32 s8, exec_lo
	s_wait_dscnt 0x0
	s_barrier_signal -1
	s_barrier_wait -1
	v_cmpx_gt_u32_e32 4, v0
	s_cbranch_execz .LBB44_49
; %bb.48:
	v_lshlrev_b32_e32 v11, 2, v0
	v_and_b32_e32 v23, 3, v40
	ds_load_b32 v22, v11
	v_cmp_ne_u32_e32 vcc_lo, 0, v23
	s_wait_dscnt 0x0
	v_mov_b32_dpp v24, v22 row_shr:1 row_mask:0xf bank_mask:0xf
	s_delay_alu instid0(VALU_DEP_1) | instskip(SKIP_1) | instid1(VALU_DEP_2)
	v_cndmask_b32_e32 v24, 0, v24, vcc_lo
	v_cmp_lt_u32_e32 vcc_lo, 1, v23
	v_add_nc_u32_e32 v22, v24, v22
	s_delay_alu instid0(VALU_DEP_1) | instskip(NEXT) | instid1(VALU_DEP_1)
	v_mov_b32_dpp v24, v22 row_shr:2 row_mask:0xf bank_mask:0xf
	v_cndmask_b32_e32 v23, 0, v24, vcc_lo
	s_delay_alu instid0(VALU_DEP_1)
	v_add_nc_u32_e32 v22, v22, v23
	ds_store_b32 v11, v22
.LBB44_49:
	s_or_b32 exec_lo, exec_lo, s8
	s_delay_alu instid0(SALU_CYCLE_1)
	s_mov_b32 s9, exec_lo
	v_cmp_gt_u32_e32 vcc_lo, 32, v0
	s_wait_dscnt 0x0
	s_barrier_signal -1
	s_barrier_wait -1
                                        ; implicit-def: $vgpr43
	v_cmpx_lt_u32_e32 31, v0
	s_cbranch_execz .LBB44_51
; %bb.50:
	v_lshl_add_u32 v11, v41, 2, -4
	ds_load_b32 v43, v11
	s_wait_dscnt 0x0
	v_add_nc_u32_e32 v10, v43, v10
.LBB44_51:
	s_or_b32 exec_lo, exec_lo, s9
	v_sub_co_u32 v11, s8, v40, 1
	s_delay_alu instid0(VALU_DEP_1) | instskip(NEXT) | instid1(VALU_DEP_1)
	v_cmp_gt_i32_e64 s9, 0, v11
	v_cndmask_b32_e64 v11, v11, v40, s9
	s_delay_alu instid0(VALU_DEP_1)
	v_lshlrev_b32_e32 v11, 2, v11
	ds_bpermute_b32 v44, v11, v10
	s_and_saveexec_b32 s9, vcc_lo
	s_cbranch_execz .LBB44_71
; %bb.52:
	v_mov_b32_e32 v33, 0
	ds_load_b32 v10, v33 offset:12
	s_and_saveexec_b32 s16, s8
	s_cbranch_execz .LBB44_54
; %bb.53:
	s_add_co_i32 s17, s20, 32
	s_delay_alu instid0(SALU_CYCLE_1)
	v_dual_mov_b32 v11, 1 :: v_dual_mov_b32 v22, s17
	s_wait_xcnt 0x0
	s_wait_dscnt 0x0
	s_wait_kmcnt 0x0
	global_store_b64 v22, v[10:11], s[14:15] scale_offset scope:SCOPE_DEV
.LBB44_54:
	s_wait_xcnt 0x0
	s_or_b32 exec_lo, exec_lo, s16
	v_xad_u32 v22, v40, -1, s20
	s_mov_b32 s17, 0
	s_mov_b32 s16, exec_lo
	s_delay_alu instid0(VALU_DEP_1)
	v_add_nc_u32_e32 v32, 32, v22
	s_wait_kmcnt 0x0
	global_load_b64 v[24:25], v32, s[14:15] scale_offset scope:SCOPE_DEV
	s_wait_loadcnt 0x0
	v_and_b32_e32 v11, 0xff, v25
	s_wait_xcnt 0x0
	s_delay_alu instid0(VALU_DEP_1)
	v_cmpx_eq_u16_e32 0, v11
	s_cbranch_execz .LBB44_58
; %bb.55:
	v_lshl_add_u64 v[32:33], v[32:33], 3, s[14:15]
.LBB44_56:                              ; =>This Inner Loop Header: Depth=1
	global_load_b64 v[24:25], v[32:33], off scope:SCOPE_DEV
	s_wait_loadcnt 0x0
	v_and_b32_e32 v11, 0xff, v25
	s_delay_alu instid0(VALU_DEP_1)
	v_cmp_ne_u16_e32 vcc_lo, 0, v11
	s_or_b32 s17, vcc_lo, s17
	s_wait_xcnt 0x0
	s_and_not1_b32 exec_lo, exec_lo, s17
	s_cbranch_execnz .LBB44_56
; %bb.57:
	s_or_b32 exec_lo, exec_lo, s17
.LBB44_58:
	s_delay_alu instid0(SALU_CYCLE_1)
	s_or_b32 exec_lo, exec_lo, s16
	v_cmp_ne_u32_e32 vcc_lo, 31, v40
	v_lshlrev_b32_e64 v46, v40, -1
	v_dual_add_nc_u32 v50, 4, v40 :: v_dual_add_nc_u32 v52, 8, v40
	v_add_nc_u32_e32 v54, 16, v40
	v_add_co_ci_u32_e64 v11, null, 0, v40, vcc_lo
	v_lshl_or_b32 v53, v40, 2, 64
	s_delay_alu instid0(VALU_DEP_2)
	v_dual_add_nc_u32 v48, 2, v40 :: v_dual_lshlrev_b32 v45, 2, v11
	v_and_b32_e32 v11, 0xff, v25
	ds_bpermute_b32 v23, v45, v24
	v_cmp_eq_u16_e32 vcc_lo, 2, v11
	v_and_or_b32 v11, vcc_lo, v46, 0x80000000
	v_cmp_gt_u32_e32 vcc_lo, 30, v40
	s_delay_alu instid0(VALU_DEP_2) | instskip(SKIP_1) | instid1(VALU_DEP_2)
	v_ctz_i32_b32_e32 v11, v11
	v_cndmask_b32_e64 v32, 0, 2, vcc_lo
	v_cmp_lt_u32_e32 vcc_lo, v40, v11
	s_delay_alu instid0(VALU_DEP_2) | instskip(SKIP_3) | instid1(VALU_DEP_2)
	v_add_lshl_u32 v47, v32, v40, 2
	s_wait_dscnt 0x0
	v_cndmask_b32_e32 v23, 0, v23, vcc_lo
	v_cmp_gt_u32_e32 vcc_lo, 28, v40
	v_add_nc_u32_e32 v23, v23, v24
	v_cndmask_b32_e64 v32, 0, 4, vcc_lo
	v_cmp_le_u32_e32 vcc_lo, v48, v11
	ds_bpermute_b32 v24, v47, v23
	v_add_lshl_u32 v49, v32, v40, 2
	s_wait_dscnt 0x0
	v_cndmask_b32_e32 v24, 0, v24, vcc_lo
	v_cmp_gt_u32_e32 vcc_lo, 24, v40
	v_cndmask_b32_e64 v32, 0, 8, vcc_lo
	v_cmp_le_u32_e32 vcc_lo, v50, v11
	s_delay_alu instid0(VALU_DEP_4) | instskip(NEXT) | instid1(VALU_DEP_3)
	v_add_nc_u32_e32 v23, v23, v24
	v_add_lshl_u32 v51, v32, v40, 2
	ds_bpermute_b32 v24, v49, v23
	s_wait_dscnt 0x0
	v_cndmask_b32_e32 v24, 0, v24, vcc_lo
	v_cmp_le_u32_e32 vcc_lo, v52, v11
	s_delay_alu instid0(VALU_DEP_2) | instskip(SKIP_4) | instid1(VALU_DEP_2)
	v_add_nc_u32_e32 v23, v23, v24
	ds_bpermute_b32 v24, v51, v23
	s_wait_dscnt 0x0
	v_cndmask_b32_e32 v24, 0, v24, vcc_lo
	v_cmp_le_u32_e32 vcc_lo, v54, v11
	v_add_nc_u32_e32 v23, v23, v24
	ds_bpermute_b32 v24, v53, v23
	s_wait_dscnt 0x0
	v_cndmask_b32_e32 v11, 0, v24, vcc_lo
	s_delay_alu instid0(VALU_DEP_1)
	v_dual_mov_b32 v23, 0 :: v_dual_add_nc_u32 v24, v23, v11
	s_branch .LBB44_61
.LBB44_59:                              ;   in Loop: Header=BB44_61 Depth=1
	s_or_b32 exec_lo, exec_lo, s16
	v_and_b32_e32 v32, 0xff, v25
	ds_bpermute_b32 v33, v45, v24
	v_subrev_nc_u32_e32 v22, 32, v22
	s_mov_b32 s16, 0
	v_cmp_eq_u16_e32 vcc_lo, 2, v32
	v_and_or_b32 v32, vcc_lo, v46, 0x80000000
	s_delay_alu instid0(VALU_DEP_1) | instskip(NEXT) | instid1(VALU_DEP_1)
	v_ctz_i32_b32_e32 v32, v32
	v_cmp_lt_u32_e32 vcc_lo, v40, v32
	s_wait_dscnt 0x0
	v_cndmask_b32_e32 v33, 0, v33, vcc_lo
	v_cmp_le_u32_e32 vcc_lo, v48, v32
	s_delay_alu instid0(VALU_DEP_2) | instskip(SKIP_4) | instid1(VALU_DEP_2)
	v_add_nc_u32_e32 v24, v33, v24
	ds_bpermute_b32 v33, v47, v24
	s_wait_dscnt 0x0
	v_cndmask_b32_e32 v33, 0, v33, vcc_lo
	v_cmp_le_u32_e32 vcc_lo, v50, v32
	v_add_nc_u32_e32 v24, v24, v33
	ds_bpermute_b32 v33, v49, v24
	s_wait_dscnt 0x0
	v_cndmask_b32_e32 v33, 0, v33, vcc_lo
	v_cmp_le_u32_e32 vcc_lo, v52, v32
	s_delay_alu instid0(VALU_DEP_2) | instskip(SKIP_4) | instid1(VALU_DEP_2)
	v_add_nc_u32_e32 v24, v24, v33
	ds_bpermute_b32 v33, v51, v24
	s_wait_dscnt 0x0
	v_cndmask_b32_e32 v33, 0, v33, vcc_lo
	v_cmp_le_u32_e32 vcc_lo, v54, v32
	v_add_nc_u32_e32 v24, v24, v33
	ds_bpermute_b32 v33, v53, v24
	s_wait_dscnt 0x0
	v_cndmask_b32_e32 v32, 0, v33, vcc_lo
	s_delay_alu instid0(VALU_DEP_1)
	v_add3_u32 v24, v32, v11, v24
.LBB44_60:                              ;   in Loop: Header=BB44_61 Depth=1
	s_and_b32 vcc_lo, exec_lo, s16
	s_cbranch_vccnz .LBB44_67
.LBB44_61:                              ; =>This Loop Header: Depth=1
                                        ;     Child Loop BB44_64 Depth 2
	v_and_b32_e32 v11, 0xff, v25
	s_mov_b32 s16, -1
                                        ; implicit-def: $vgpr25
	s_delay_alu instid0(VALU_DEP_1)
	v_cmp_ne_u16_e32 vcc_lo, 2, v11
	v_mov_b32_e32 v11, v24
                                        ; implicit-def: $vgpr24
	s_cmp_lg_u32 vcc_lo, exec_lo
	s_cbranch_scc1 .LBB44_60
; %bb.62:                               ;   in Loop: Header=BB44_61 Depth=1
	global_load_b64 v[24:25], v22, s[14:15] scale_offset scope:SCOPE_DEV
	s_mov_b32 s16, exec_lo
	s_wait_loadcnt 0x0
	v_and_b32_e32 v32, 0xff, v25
	s_wait_xcnt 0x0
	s_delay_alu instid0(VALU_DEP_1)
	v_cmpx_eq_u16_e32 0, v32
	s_cbranch_execz .LBB44_59
; %bb.63:                               ;   in Loop: Header=BB44_61 Depth=1
	v_lshl_add_u64 v[32:33], v[22:23], 3, s[14:15]
	s_mov_b32 s17, 0
.LBB44_64:                              ;   Parent Loop BB44_61 Depth=1
                                        ; =>  This Inner Loop Header: Depth=2
	global_load_b64 v[24:25], v[32:33], off scope:SCOPE_DEV
	s_wait_loadcnt 0x0
	v_and_b32_e32 v55, 0xff, v25
	s_delay_alu instid0(VALU_DEP_1)
	v_cmp_ne_u16_e32 vcc_lo, 0, v55
	s_or_b32 s17, vcc_lo, s17
	s_wait_xcnt 0x0
	s_and_not1_b32 exec_lo, exec_lo, s17
	s_cbranch_execnz .LBB44_64
; %bb.65:                               ;   in Loop: Header=BB44_61 Depth=1
	s_or_b32 exec_lo, exec_lo, s17
	s_branch .LBB44_59
.LBB44_66:
                                        ; implicit-def: $sgpr8
                                        ; implicit-def: $vgpr10
                                        ; implicit-def: $vgpr22
                                        ; implicit-def: $vgpr23
                                        ; implicit-def: $vgpr24
                                        ; implicit-def: $vgpr25
                                        ; implicit-def: $vgpr32
	s_and_b32 vcc_lo, exec_lo, s9
	s_cbranch_vccnz .LBB44_72
	s_branch .LBB44_81
.LBB44_67:
	s_and_saveexec_b32 s16, s8
	s_cbranch_execz .LBB44_69
; %bb.68:
	s_add_co_i32 s17, s20, 32
	v_dual_mov_b32 v23, 2 :: v_dual_add_nc_u32 v22, v11, v10
	v_dual_mov_b32 v24, s17 :: v_dual_mov_b32 v25, 0
	global_store_b64 v24, v[22:23], s[14:15] scale_offset scope:SCOPE_DEV
	ds_store_b64 v25, v[10:11] offset:5120
.LBB44_69:
	s_wait_xcnt 0x0
	s_or_b32 exec_lo, exec_lo, s16
	v_cmp_eq_u32_e32 vcc_lo, 0, v0
	s_and_b32 exec_lo, exec_lo, vcc_lo
; %bb.70:
	v_mov_b32_e32 v10, 0
	ds_store_b32 v10, v11 offset:12
.LBB44_71:
	s_or_b32 exec_lo, exec_lo, s9
	s_wait_dscnt 0x0
	v_dual_mov_b32 v10, 0 :: v_dual_cndmask_b32 v22, v44, v43, s8
	s_wait_storecnt 0x0
	s_barrier_signal -1
	s_barrier_wait -1
	ds_load_b32 v11, v10 offset:12
	v_cmp_ne_u32_e32 vcc_lo, 0, v0
	s_wait_dscnt 0x0
	s_barrier_signal -1
	s_barrier_wait -1
	v_cndmask_b32_e32 v22, 0, v22, vcc_lo
	s_delay_alu instid0(VALU_DEP_1) | instskip(SKIP_2) | instid1(VALU_DEP_1)
	v_add_nc_u32_e32 v32, v11, v22
	ds_load_b64 v[10:11], v10 offset:5120
	v_add_nc_u32_e32 v25, v32, v31
	v_add_nc_u32_e32 v24, v25, v37
	s_delay_alu instid0(VALU_DEP_1) | instskip(NEXT) | instid1(VALU_DEP_1)
	v_add_nc_u32_e32 v23, v24, v38
	v_add_nc_u32_e32 v22, v23, v39
	s_wait_dscnt 0x0
	v_readfirstlane_b32 s8, v11
	s_branch .LBB44_81
.LBB44_72:
	v_mov_b32_dpp v10, v42 row_shr:1 row_mask:0xf bank_mask:0xf
	s_delay_alu instid0(VALU_DEP_1) | instskip(NEXT) | instid1(VALU_DEP_1)
	v_cndmask_b32_e64 v10, v10, 0, s4
	v_add_nc_u32_e32 v10, v10, v42
	s_delay_alu instid0(VALU_DEP_1) | instskip(NEXT) | instid1(VALU_DEP_1)
	v_mov_b32_dpp v11, v10 row_shr:2 row_mask:0xf bank_mask:0xf
	v_cndmask_b32_e64 v11, 0, v11, s6
	s_delay_alu instid0(VALU_DEP_1) | instskip(NEXT) | instid1(VALU_DEP_1)
	v_add_nc_u32_e32 v10, v10, v11
	v_mov_b32_dpp v11, v10 row_shr:4 row_mask:0xf bank_mask:0xf
	s_delay_alu instid0(VALU_DEP_1) | instskip(NEXT) | instid1(VALU_DEP_1)
	v_cndmask_b32_e64 v11, 0, v11, s7
	v_add_nc_u32_e32 v10, v10, v11
	s_delay_alu instid0(VALU_DEP_1) | instskip(NEXT) | instid1(VALU_DEP_1)
	v_mov_b32_dpp v11, v10 row_shr:8 row_mask:0xf bank_mask:0xf
	v_cndmask_b32_e64 v11, 0, v11, s5
	s_delay_alu instid0(VALU_DEP_1) | instskip(SKIP_3) | instid1(VALU_DEP_1)
	v_add_nc_u32_e32 v10, v10, v11
	ds_swizzle_b32 v11, v10 offset:swizzle(BROADCAST,32,15)
	s_wait_dscnt 0x0
	v_cndmask_b32_e64 v11, v11, 0, s3
	v_add_nc_u32_e32 v10, v10, v11
	s_and_saveexec_b32 s3, s2
; %bb.73:
	v_lshlrev_b32_e32 v11, 2, v41
	ds_store_b32 v11, v10
; %bb.74:
	s_or_b32 exec_lo, exec_lo, s3
	s_delay_alu instid0(SALU_CYCLE_1)
	s_mov_b32 s2, exec_lo
	s_wait_dscnt 0x0
	s_barrier_signal -1
	s_barrier_wait -1
	v_cmpx_gt_u32_e32 4, v0
	s_cbranch_execz .LBB44_76
; %bb.75:
	v_lshlrev_b32_e32 v11, 2, v0
	v_and_b32_e32 v23, 3, v40
	ds_load_b32 v22, v11
	v_cmp_ne_u32_e32 vcc_lo, 0, v23
	s_wait_dscnt 0x0
	v_mov_b32_dpp v24, v22 row_shr:1 row_mask:0xf bank_mask:0xf
	s_delay_alu instid0(VALU_DEP_1) | instskip(SKIP_1) | instid1(VALU_DEP_2)
	v_cndmask_b32_e32 v24, 0, v24, vcc_lo
	v_cmp_lt_u32_e32 vcc_lo, 1, v23
	v_add_nc_u32_e32 v22, v24, v22
	s_delay_alu instid0(VALU_DEP_1) | instskip(NEXT) | instid1(VALU_DEP_1)
	v_mov_b32_dpp v24, v22 row_shr:2 row_mask:0xf bank_mask:0xf
	v_cndmask_b32_e32 v23, 0, v24, vcc_lo
	s_delay_alu instid0(VALU_DEP_1)
	v_add_nc_u32_e32 v22, v22, v23
	ds_store_b32 v11, v22
.LBB44_76:
	s_or_b32 exec_lo, exec_lo, s2
	v_dual_mov_b32 v11, 0 :: v_dual_mov_b32 v22, 0
	s_mov_b32 s2, exec_lo
	s_wait_dscnt 0x0
	s_barrier_signal -1
	s_barrier_wait -1
	v_cmpx_lt_u32_e32 31, v0
; %bb.77:
	v_lshl_add_u32 v22, v41, 2, -4
	ds_load_b32 v22, v22
; %bb.78:
	s_or_b32 exec_lo, exec_lo, s2
	v_sub_co_u32 v23, vcc_lo, v40, 1
	s_mov_b32 s8, 0
	s_wait_dscnt 0x0
	v_add_nc_u32_e32 v10, v22, v10
	v_cmp_gt_i32_e64 s2, 0, v23
	s_delay_alu instid0(VALU_DEP_1) | instskip(SKIP_1) | instid1(VALU_DEP_2)
	v_cndmask_b32_e64 v23, v23, v40, s2
	v_cmp_eq_u32_e64 s2, 0, v0
	v_lshlrev_b32_e32 v23, 2, v23
	ds_bpermute_b32 v23, v23, v10
	ds_load_b32 v10, v11 offset:12
	s_and_saveexec_b32 s3, s2
	s_cbranch_execz .LBB44_80
; %bb.79:
	v_dual_mov_b32 v24, 0 :: v_dual_mov_b32 v11, 2
	s_wait_xcnt 0x0
	s_wait_dscnt 0x0
	s_wait_kmcnt 0x0
	global_store_b64 v24, v[10:11], s[14:15] offset:256 scope:SCOPE_DEV
.LBB44_80:
	s_wait_xcnt 0x0
	s_or_b32 exec_lo, exec_lo, s3
	s_wait_dscnt 0x1
	v_cndmask_b32_e32 v11, v23, v22, vcc_lo
	s_wait_storecnt_dscnt 0x0
	s_barrier_signal -1
	s_barrier_wait -1
	s_delay_alu instid0(VALU_DEP_1) | instskip(NEXT) | instid1(VALU_DEP_1)
	v_cndmask_b32_e64 v32, v11, 0, s2
	v_add_nc_u32_e32 v25, v32, v31
	s_delay_alu instid0(VALU_DEP_1) | instskip(NEXT) | instid1(VALU_DEP_1)
	v_add_nc_u32_e32 v24, v25, v37
	v_add_nc_u32_e32 v23, v24, v38
	s_delay_alu instid0(VALU_DEP_1)
	v_add_nc_u32_e32 v22, v23, v39
.LBB44_81:
	s_load_b128 s[4:7], s[0:1], 0x28
	s_delay_alu instid0(VALU_DEP_1)
	v_add_nc_u32_e32 v31, s8, v10
	v_and_b32_e32 v11, 1, v30
	s_wait_xcnt 0x0
	v_cmp_gt_u32_e64 s0, 0x81, v10
	s_mov_b32 s3, -1
	v_cmp_lt_u32_e64 s1, v32, v31
	v_cmp_eq_u32_e64 s2, 1, v11
	s_and_b32 vcc_lo, exec_lo, s0
	s_cbranch_vccz .LBB44_93
; %bb.82:
	s_or_b32 s1, s19, s1
	s_delay_alu instid0(SALU_CYCLE_1) | instskip(NEXT) | instid1(SALU_CYCLE_1)
	s_and_b32 s2, s1, s2
	s_and_saveexec_b32 s1, s2
	s_cbranch_execz .LBB44_84
; %bb.83:
	s_wait_kmcnt 0x0
	s_lshl_b64 s[2:3], s[10:11], 3
	s_delay_alu instid0(SALU_CYCLE_1)
	s_add_nc_u64 s[2:3], s[4:5], s[2:3]
	global_store_b64 v32, v[18:19], s[2:3] scale_offset
.LBB44_84:
	s_wait_xcnt 0x0
	s_or_b32 exec_lo, exec_lo, s1
	v_and_b32_e32 v30, 1, v29
	v_cmp_lt_u32_e32 vcc_lo, v25, v31
	s_delay_alu instid0(VALU_DEP_2) | instskip(SKIP_1) | instid1(SALU_CYCLE_1)
	v_cmp_eq_u32_e64 s1, 1, v30
	s_or_b32 s2, s19, vcc_lo
	s_and_b32 s2, s2, s1
	s_delay_alu instid0(SALU_CYCLE_1)
	s_and_saveexec_b32 s1, s2
	s_cbranch_execz .LBB44_86
; %bb.85:
	s_wait_kmcnt 0x0
	s_lshl_b64 s[2:3], s[10:11], 3
	s_delay_alu instid0(SALU_CYCLE_1)
	s_add_nc_u64 s[2:3], s[4:5], s[2:3]
	global_store_b64 v25, v[20:21], s[2:3] scale_offset
.LBB44_86:
	s_wait_xcnt 0x0
	s_or_b32 exec_lo, exec_lo, s1
	v_and_b32_e32 v30, 1, v36
	v_cmp_lt_u32_e32 vcc_lo, v24, v31
	s_delay_alu instid0(VALU_DEP_2) | instskip(SKIP_1) | instid1(SALU_CYCLE_1)
	v_cmp_eq_u32_e64 s1, 1, v30
	s_or_b32 s2, s19, vcc_lo
	s_and_b32 s2, s2, s1
	s_delay_alu instid0(SALU_CYCLE_1)
	;; [unrolled: 18-line block ×4, first 2 shown]
	s_and_saveexec_b32 s1, s2
	s_cbranch_execz .LBB44_92
; %bb.91:
	s_wait_kmcnt 0x0
	s_lshl_b64 s[2:3], s[10:11], 3
	s_delay_alu instid0(SALU_CYCLE_1)
	s_add_nc_u64 s[2:3], s[4:5], s[2:3]
	global_store_b64 v22, v[12:13], s[2:3] scale_offset
.LBB44_92:
	s_wait_xcnt 0x0
	s_or_b32 exec_lo, exec_lo, s1
	s_mov_b32 s3, 0
.LBB44_93:
	s_delay_alu instid0(SALU_CYCLE_1)
	s_and_b32 vcc_lo, exec_lo, s3
	s_cbranch_vccz .LBB44_107
; %bb.94:
	s_mov_b32 s1, exec_lo
	v_cmpx_eq_u32_e32 1, v11
; %bb.95:
	v_subrev_nc_u32_e32 v30, s8, v32
	s_delay_alu instid0(VALU_DEP_1)
	v_lshlrev_b32_e32 v30, 3, v30
	ds_store_b64 v30, v[18:19]
; %bb.96:
	s_or_b32 exec_lo, exec_lo, s1
	v_and_b32_e32 v18, 1, v29
	s_mov_b32 s1, exec_lo
	s_delay_alu instid0(VALU_DEP_1)
	v_cmpx_eq_u32_e32 1, v18
; %bb.97:
	v_subrev_nc_u32_e32 v18, s8, v25
	s_delay_alu instid0(VALU_DEP_1)
	v_lshlrev_b32_e32 v18, 3, v18
	ds_store_b64 v18, v[20:21]
; %bb.98:
	s_or_b32 exec_lo, exec_lo, s1
	v_and_b32_e32 v18, 1, v36
	s_mov_b32 s1, exec_lo
	s_delay_alu instid0(VALU_DEP_1)
	;; [unrolled: 11-line block ×4, first 2 shown]
	v_cmpx_eq_u32_e32 1, v14
; %bb.103:
	v_subrev_nc_u32_e32 v14, s8, v22
	s_delay_alu instid0(VALU_DEP_1)
	v_lshlrev_b32_e32 v14, 3, v14
	ds_store_b64 v14, v[12:13]
; %bb.104:
	s_or_b32 exec_lo, exec_lo, s1
	s_mov_b32 s9, 0
	v_dual_mov_b32 v13, v34 :: v_dual_lshlrev_b32 v12, 3, v0
	s_lshl_b64 s[2:3], s[8:9], 3
	s_wait_storecnt_dscnt 0x0
	s_wait_kmcnt 0x0
	s_add_nc_u64 s[2:3], s[4:5], s[2:3]
	s_lshl_b64 s[4:5], s[10:11], 3
	s_barrier_signal -1
	s_add_nc_u64 s[2:3], s[2:3], s[4:5]
	s_barrier_wait -1
.LBB44_105:                             ; =>This Inner Loop Header: Depth=1
	ds_load_b64 v[14:15], v12
	v_add_nc_u32_e32 v12, 0x400, v12
	s_wait_dscnt 0x0
	global_store_b64 v13, v[14:15], s[2:3] scale_offset
	s_wait_xcnt 0x0
	v_add_nc_u32_e32 v13, 0x80, v13
	s_delay_alu instid0(VALU_DEP_1) | instskip(SKIP_1) | instid1(SALU_CYCLE_1)
	v_cmp_ge_u32_e32 vcc_lo, v13, v10
	s_or_b32 s9, vcc_lo, s9
	s_and_not1_b32 exec_lo, exec_lo, s9
	s_cbranch_execnz .LBB44_105
; %bb.106:
	s_or_b32 exec_lo, exec_lo, s9
.LBB44_107:
	s_delay_alu instid0(SALU_CYCLE_1)
	s_and_b32 vcc_lo, exec_lo, s0
	s_mov_b32 s0, -1
	s_wait_storecnt 0x0
	s_barrier_signal -1
	s_barrier_wait -1
	s_cbranch_vccz .LBB44_119
; %bb.108:
	v_cmp_lt_u32_e32 vcc_lo, v32, v31
	v_cmp_eq_u32_e64 s0, 1, v11
	s_or_b32 s1, s19, vcc_lo
	s_delay_alu instid0(SALU_CYCLE_1) | instskip(NEXT) | instid1(SALU_CYCLE_1)
	s_and_b32 s1, s1, s0
	s_and_saveexec_b32 s0, s1
	s_cbranch_execz .LBB44_110
; %bb.109:
	s_wait_kmcnt 0x0
	s_lshl_b64 s[2:3], s[10:11], 3
	s_delay_alu instid0(SALU_CYCLE_1)
	s_add_nc_u64 s[2:3], s[6:7], s[2:3]
	global_store_b64 v32, v[6:7], s[2:3] scale_offset
.LBB44_110:
	s_wait_xcnt 0x0
	s_or_b32 exec_lo, exec_lo, s0
	v_and_b32_e32 v12, 1, v29
	v_cmp_lt_u32_e32 vcc_lo, v25, v31
	s_delay_alu instid0(VALU_DEP_2) | instskip(SKIP_1) | instid1(SALU_CYCLE_1)
	v_cmp_eq_u32_e64 s0, 1, v12
	s_or_b32 s1, s19, vcc_lo
	s_and_b32 s1, s1, s0
	s_delay_alu instid0(SALU_CYCLE_1)
	s_and_saveexec_b32 s0, s1
	s_cbranch_execz .LBB44_112
; %bb.111:
	s_wait_kmcnt 0x0
	s_lshl_b64 s[2:3], s[10:11], 3
	s_delay_alu instid0(SALU_CYCLE_1)
	s_add_nc_u64 s[2:3], s[6:7], s[2:3]
	global_store_b64 v25, v[8:9], s[2:3] scale_offset
.LBB44_112:
	s_wait_xcnt 0x0
	s_or_b32 exec_lo, exec_lo, s0
	v_and_b32_e32 v12, 1, v36
	v_cmp_lt_u32_e32 vcc_lo, v24, v31
	s_delay_alu instid0(VALU_DEP_2) | instskip(SKIP_1) | instid1(SALU_CYCLE_1)
	v_cmp_eq_u32_e64 s0, 1, v12
	s_or_b32 s1, s19, vcc_lo
	s_and_b32 s1, s1, s0
	s_delay_alu instid0(SALU_CYCLE_1)
	;; [unrolled: 18-line block ×4, first 2 shown]
	s_and_saveexec_b32 s0, s1
	s_cbranch_execz .LBB44_118
; %bb.117:
	s_wait_kmcnt 0x0
	s_lshl_b64 s[2:3], s[10:11], 3
	s_delay_alu instid0(SALU_CYCLE_1)
	s_add_nc_u64 s[2:3], s[6:7], s[2:3]
	global_store_b64 v22, v[26:27], s[2:3] scale_offset
.LBB44_118:
	s_wait_xcnt 0x0
	s_or_b32 exec_lo, exec_lo, s0
	s_mov_b32 s0, 0
.LBB44_119:
	s_delay_alu instid0(SALU_CYCLE_1)
	s_and_b32 vcc_lo, exec_lo, s0
	s_cbranch_vccz .LBB44_133
; %bb.120:
	s_mov_b32 s0, exec_lo
	v_cmpx_eq_u32_e32 1, v11
; %bb.121:
	v_subrev_nc_u32_e32 v11, s8, v32
	s_delay_alu instid0(VALU_DEP_1)
	v_lshlrev_b32_e32 v11, 3, v11
	ds_store_b64 v11, v[6:7]
; %bb.122:
	s_or_b32 exec_lo, exec_lo, s0
	v_and_b32_e32 v6, 1, v29
	s_mov_b32 s0, exec_lo
	s_delay_alu instid0(VALU_DEP_1)
	v_cmpx_eq_u32_e32 1, v6
; %bb.123:
	v_subrev_nc_u32_e32 v6, s8, v25
	s_delay_alu instid0(VALU_DEP_1)
	v_lshlrev_b32_e32 v6, 3, v6
	ds_store_b64 v6, v[8:9]
; %bb.124:
	s_or_b32 exec_lo, exec_lo, s0
	v_and_b32_e32 v6, 1, v36
	s_mov_b32 s0, exec_lo
	s_delay_alu instid0(VALU_DEP_1)
	;; [unrolled: 11-line block ×4, first 2 shown]
	v_cmpx_eq_u32_e32 1, v1
; %bb.129:
	v_subrev_nc_u32_e32 v1, s8, v22
	s_delay_alu instid0(VALU_DEP_1)
	v_lshlrev_b32_e32 v1, 3, v1
	ds_store_b64 v1, v[26:27]
; %bb.130:
	s_or_b32 exec_lo, exec_lo, s0
	s_mov_b32 s9, 0
	s_wait_kmcnt 0x0
	s_lshl_b64 s[2:3], s[10:11], 3
	s_lshl_b64 s[0:1], s[8:9], 3
	s_wait_storecnt_dscnt 0x0
	s_add_nc_u64 s[0:1], s[6:7], s[0:1]
	s_barrier_signal -1
	s_add_nc_u64 s[0:1], s[0:1], s[2:3]
	s_barrier_wait -1
.LBB44_131:                             ; =>This Inner Loop Header: Depth=1
	ds_load_b64 v[2:3], v35
	v_add_nc_u32_e32 v35, 0x400, v35
	s_wait_dscnt 0x0
	global_store_b64 v34, v[2:3], s[0:1] scale_offset
	s_wait_xcnt 0x0
	v_add_nc_u32_e32 v34, 0x80, v34
	s_delay_alu instid0(VALU_DEP_1) | instskip(SKIP_1) | instid1(SALU_CYCLE_1)
	v_cmp_ge_u32_e32 vcc_lo, v34, v10
	s_or_b32 s9, vcc_lo, s9
	s_and_not1_b32 exec_lo, exec_lo, s9
	s_cbranch_execnz .LBB44_131
; %bb.132:
	s_or_b32 exec_lo, exec_lo, s9
.LBB44_133:
	v_cmp_eq_u32_e32 vcc_lo, 0, v0
	s_mov_b32 s9, 0
	s_and_b32 s0, vcc_lo, s18
	s_delay_alu instid0(SALU_CYCLE_1)
	s_and_saveexec_b32 s1, s0
	s_cbranch_execz .LBB44_135
; %bb.134:
	v_mov_b32_e32 v11, 0
	s_wait_kmcnt 0x0
	s_delay_alu instid0(VALU_DEP_1) | instskip(NEXT) | instid1(VALU_DEP_1)
	v_add_nc_u64_e32 v[0:1], s[10:11], v[10:11]
	v_add_nc_u64_e32 v[0:1], s[8:9], v[0:1]
	global_store_b64 v11, v[0:1], s[12:13]
.LBB44_135:
	s_endpgm
	.section	.rodata,"a",@progbits
	.p2align	6, 0x0
	.amdhsa_kernel _ZN7rocprim17ROCPRIM_400000_NS6detail17trampoline_kernelINS0_14default_configENS1_25partition_config_selectorILNS1_17partition_subalgoE9EllbEEZZNS1_14partition_implILS5_9ELb0ES3_jPKlN6thrust23THRUST_200600_302600_NS17counting_iteratorIlNSB_11use_defaultESD_SD_EEPNS0_10empty_typeENS0_5tupleIJPlSF_EEENSH_IJSI_SG_EEENS0_18inequality_wrapperIN6hipcub16HIPCUB_304000_NS8EqualityEEESI_JSF_EEE10hipError_tPvRmT3_T4_T5_T6_T7_T9_mT8_P12ihipStream_tbDpT10_ENKUlT_T0_E_clISt17integral_constantIbLb0EES19_EEDaS14_S15_EUlS14_E_NS1_11comp_targetILNS1_3genE0ELNS1_11target_archE4294967295ELNS1_3gpuE0ELNS1_3repE0EEENS1_30default_config_static_selectorELNS0_4arch9wavefront6targetE0EEEvT1_
		.amdhsa_group_segment_fixed_size 5128
		.amdhsa_private_segment_fixed_size 0
		.amdhsa_kernarg_size 112
		.amdhsa_user_sgpr_count 2
		.amdhsa_user_sgpr_dispatch_ptr 0
		.amdhsa_user_sgpr_queue_ptr 0
		.amdhsa_user_sgpr_kernarg_segment_ptr 1
		.amdhsa_user_sgpr_dispatch_id 0
		.amdhsa_user_sgpr_kernarg_preload_length 0
		.amdhsa_user_sgpr_kernarg_preload_offset 0
		.amdhsa_user_sgpr_private_segment_size 0
		.amdhsa_wavefront_size32 1
		.amdhsa_uses_dynamic_stack 0
		.amdhsa_enable_private_segment 0
		.amdhsa_system_sgpr_workgroup_id_x 1
		.amdhsa_system_sgpr_workgroup_id_y 0
		.amdhsa_system_sgpr_workgroup_id_z 0
		.amdhsa_system_sgpr_workgroup_info 0
		.amdhsa_system_vgpr_workitem_id 0
		.amdhsa_next_free_vgpr 56
		.amdhsa_next_free_sgpr 24
		.amdhsa_named_barrier_count 0
		.amdhsa_reserve_vcc 1
		.amdhsa_float_round_mode_32 0
		.amdhsa_float_round_mode_16_64 0
		.amdhsa_float_denorm_mode_32 3
		.amdhsa_float_denorm_mode_16_64 3
		.amdhsa_fp16_overflow 0
		.amdhsa_memory_ordered 1
		.amdhsa_forward_progress 1
		.amdhsa_inst_pref_size 47
		.amdhsa_round_robin_scheduling 0
		.amdhsa_exception_fp_ieee_invalid_op 0
		.amdhsa_exception_fp_denorm_src 0
		.amdhsa_exception_fp_ieee_div_zero 0
		.amdhsa_exception_fp_ieee_overflow 0
		.amdhsa_exception_fp_ieee_underflow 0
		.amdhsa_exception_fp_ieee_inexact 0
		.amdhsa_exception_int_div_zero 0
	.end_amdhsa_kernel
	.section	.text._ZN7rocprim17ROCPRIM_400000_NS6detail17trampoline_kernelINS0_14default_configENS1_25partition_config_selectorILNS1_17partition_subalgoE9EllbEEZZNS1_14partition_implILS5_9ELb0ES3_jPKlN6thrust23THRUST_200600_302600_NS17counting_iteratorIlNSB_11use_defaultESD_SD_EEPNS0_10empty_typeENS0_5tupleIJPlSF_EEENSH_IJSI_SG_EEENS0_18inequality_wrapperIN6hipcub16HIPCUB_304000_NS8EqualityEEESI_JSF_EEE10hipError_tPvRmT3_T4_T5_T6_T7_T9_mT8_P12ihipStream_tbDpT10_ENKUlT_T0_E_clISt17integral_constantIbLb0EES19_EEDaS14_S15_EUlS14_E_NS1_11comp_targetILNS1_3genE0ELNS1_11target_archE4294967295ELNS1_3gpuE0ELNS1_3repE0EEENS1_30default_config_static_selectorELNS0_4arch9wavefront6targetE0EEEvT1_,"axG",@progbits,_ZN7rocprim17ROCPRIM_400000_NS6detail17trampoline_kernelINS0_14default_configENS1_25partition_config_selectorILNS1_17partition_subalgoE9EllbEEZZNS1_14partition_implILS5_9ELb0ES3_jPKlN6thrust23THRUST_200600_302600_NS17counting_iteratorIlNSB_11use_defaultESD_SD_EEPNS0_10empty_typeENS0_5tupleIJPlSF_EEENSH_IJSI_SG_EEENS0_18inequality_wrapperIN6hipcub16HIPCUB_304000_NS8EqualityEEESI_JSF_EEE10hipError_tPvRmT3_T4_T5_T6_T7_T9_mT8_P12ihipStream_tbDpT10_ENKUlT_T0_E_clISt17integral_constantIbLb0EES19_EEDaS14_S15_EUlS14_E_NS1_11comp_targetILNS1_3genE0ELNS1_11target_archE4294967295ELNS1_3gpuE0ELNS1_3repE0EEENS1_30default_config_static_selectorELNS0_4arch9wavefront6targetE0EEEvT1_,comdat
.Lfunc_end44:
	.size	_ZN7rocprim17ROCPRIM_400000_NS6detail17trampoline_kernelINS0_14default_configENS1_25partition_config_selectorILNS1_17partition_subalgoE9EllbEEZZNS1_14partition_implILS5_9ELb0ES3_jPKlN6thrust23THRUST_200600_302600_NS17counting_iteratorIlNSB_11use_defaultESD_SD_EEPNS0_10empty_typeENS0_5tupleIJPlSF_EEENSH_IJSI_SG_EEENS0_18inequality_wrapperIN6hipcub16HIPCUB_304000_NS8EqualityEEESI_JSF_EEE10hipError_tPvRmT3_T4_T5_T6_T7_T9_mT8_P12ihipStream_tbDpT10_ENKUlT_T0_E_clISt17integral_constantIbLb0EES19_EEDaS14_S15_EUlS14_E_NS1_11comp_targetILNS1_3genE0ELNS1_11target_archE4294967295ELNS1_3gpuE0ELNS1_3repE0EEENS1_30default_config_static_selectorELNS0_4arch9wavefront6targetE0EEEvT1_, .Lfunc_end44-_ZN7rocprim17ROCPRIM_400000_NS6detail17trampoline_kernelINS0_14default_configENS1_25partition_config_selectorILNS1_17partition_subalgoE9EllbEEZZNS1_14partition_implILS5_9ELb0ES3_jPKlN6thrust23THRUST_200600_302600_NS17counting_iteratorIlNSB_11use_defaultESD_SD_EEPNS0_10empty_typeENS0_5tupleIJPlSF_EEENSH_IJSI_SG_EEENS0_18inequality_wrapperIN6hipcub16HIPCUB_304000_NS8EqualityEEESI_JSF_EEE10hipError_tPvRmT3_T4_T5_T6_T7_T9_mT8_P12ihipStream_tbDpT10_ENKUlT_T0_E_clISt17integral_constantIbLb0EES19_EEDaS14_S15_EUlS14_E_NS1_11comp_targetILNS1_3genE0ELNS1_11target_archE4294967295ELNS1_3gpuE0ELNS1_3repE0EEENS1_30default_config_static_selectorELNS0_4arch9wavefront6targetE0EEEvT1_
                                        ; -- End function
	.set _ZN7rocprim17ROCPRIM_400000_NS6detail17trampoline_kernelINS0_14default_configENS1_25partition_config_selectorILNS1_17partition_subalgoE9EllbEEZZNS1_14partition_implILS5_9ELb0ES3_jPKlN6thrust23THRUST_200600_302600_NS17counting_iteratorIlNSB_11use_defaultESD_SD_EEPNS0_10empty_typeENS0_5tupleIJPlSF_EEENSH_IJSI_SG_EEENS0_18inequality_wrapperIN6hipcub16HIPCUB_304000_NS8EqualityEEESI_JSF_EEE10hipError_tPvRmT3_T4_T5_T6_T7_T9_mT8_P12ihipStream_tbDpT10_ENKUlT_T0_E_clISt17integral_constantIbLb0EES19_EEDaS14_S15_EUlS14_E_NS1_11comp_targetILNS1_3genE0ELNS1_11target_archE4294967295ELNS1_3gpuE0ELNS1_3repE0EEENS1_30default_config_static_selectorELNS0_4arch9wavefront6targetE0EEEvT1_.num_vgpr, 56
	.set _ZN7rocprim17ROCPRIM_400000_NS6detail17trampoline_kernelINS0_14default_configENS1_25partition_config_selectorILNS1_17partition_subalgoE9EllbEEZZNS1_14partition_implILS5_9ELb0ES3_jPKlN6thrust23THRUST_200600_302600_NS17counting_iteratorIlNSB_11use_defaultESD_SD_EEPNS0_10empty_typeENS0_5tupleIJPlSF_EEENSH_IJSI_SG_EEENS0_18inequality_wrapperIN6hipcub16HIPCUB_304000_NS8EqualityEEESI_JSF_EEE10hipError_tPvRmT3_T4_T5_T6_T7_T9_mT8_P12ihipStream_tbDpT10_ENKUlT_T0_E_clISt17integral_constantIbLb0EES19_EEDaS14_S15_EUlS14_E_NS1_11comp_targetILNS1_3genE0ELNS1_11target_archE4294967295ELNS1_3gpuE0ELNS1_3repE0EEENS1_30default_config_static_selectorELNS0_4arch9wavefront6targetE0EEEvT1_.num_agpr, 0
	.set _ZN7rocprim17ROCPRIM_400000_NS6detail17trampoline_kernelINS0_14default_configENS1_25partition_config_selectorILNS1_17partition_subalgoE9EllbEEZZNS1_14partition_implILS5_9ELb0ES3_jPKlN6thrust23THRUST_200600_302600_NS17counting_iteratorIlNSB_11use_defaultESD_SD_EEPNS0_10empty_typeENS0_5tupleIJPlSF_EEENSH_IJSI_SG_EEENS0_18inequality_wrapperIN6hipcub16HIPCUB_304000_NS8EqualityEEESI_JSF_EEE10hipError_tPvRmT3_T4_T5_T6_T7_T9_mT8_P12ihipStream_tbDpT10_ENKUlT_T0_E_clISt17integral_constantIbLb0EES19_EEDaS14_S15_EUlS14_E_NS1_11comp_targetILNS1_3genE0ELNS1_11target_archE4294967295ELNS1_3gpuE0ELNS1_3repE0EEENS1_30default_config_static_selectorELNS0_4arch9wavefront6targetE0EEEvT1_.numbered_sgpr, 24
	.set _ZN7rocprim17ROCPRIM_400000_NS6detail17trampoline_kernelINS0_14default_configENS1_25partition_config_selectorILNS1_17partition_subalgoE9EllbEEZZNS1_14partition_implILS5_9ELb0ES3_jPKlN6thrust23THRUST_200600_302600_NS17counting_iteratorIlNSB_11use_defaultESD_SD_EEPNS0_10empty_typeENS0_5tupleIJPlSF_EEENSH_IJSI_SG_EEENS0_18inequality_wrapperIN6hipcub16HIPCUB_304000_NS8EqualityEEESI_JSF_EEE10hipError_tPvRmT3_T4_T5_T6_T7_T9_mT8_P12ihipStream_tbDpT10_ENKUlT_T0_E_clISt17integral_constantIbLb0EES19_EEDaS14_S15_EUlS14_E_NS1_11comp_targetILNS1_3genE0ELNS1_11target_archE4294967295ELNS1_3gpuE0ELNS1_3repE0EEENS1_30default_config_static_selectorELNS0_4arch9wavefront6targetE0EEEvT1_.num_named_barrier, 0
	.set _ZN7rocprim17ROCPRIM_400000_NS6detail17trampoline_kernelINS0_14default_configENS1_25partition_config_selectorILNS1_17partition_subalgoE9EllbEEZZNS1_14partition_implILS5_9ELb0ES3_jPKlN6thrust23THRUST_200600_302600_NS17counting_iteratorIlNSB_11use_defaultESD_SD_EEPNS0_10empty_typeENS0_5tupleIJPlSF_EEENSH_IJSI_SG_EEENS0_18inequality_wrapperIN6hipcub16HIPCUB_304000_NS8EqualityEEESI_JSF_EEE10hipError_tPvRmT3_T4_T5_T6_T7_T9_mT8_P12ihipStream_tbDpT10_ENKUlT_T0_E_clISt17integral_constantIbLb0EES19_EEDaS14_S15_EUlS14_E_NS1_11comp_targetILNS1_3genE0ELNS1_11target_archE4294967295ELNS1_3gpuE0ELNS1_3repE0EEENS1_30default_config_static_selectorELNS0_4arch9wavefront6targetE0EEEvT1_.private_seg_size, 0
	.set _ZN7rocprim17ROCPRIM_400000_NS6detail17trampoline_kernelINS0_14default_configENS1_25partition_config_selectorILNS1_17partition_subalgoE9EllbEEZZNS1_14partition_implILS5_9ELb0ES3_jPKlN6thrust23THRUST_200600_302600_NS17counting_iteratorIlNSB_11use_defaultESD_SD_EEPNS0_10empty_typeENS0_5tupleIJPlSF_EEENSH_IJSI_SG_EEENS0_18inequality_wrapperIN6hipcub16HIPCUB_304000_NS8EqualityEEESI_JSF_EEE10hipError_tPvRmT3_T4_T5_T6_T7_T9_mT8_P12ihipStream_tbDpT10_ENKUlT_T0_E_clISt17integral_constantIbLb0EES19_EEDaS14_S15_EUlS14_E_NS1_11comp_targetILNS1_3genE0ELNS1_11target_archE4294967295ELNS1_3gpuE0ELNS1_3repE0EEENS1_30default_config_static_selectorELNS0_4arch9wavefront6targetE0EEEvT1_.uses_vcc, 1
	.set _ZN7rocprim17ROCPRIM_400000_NS6detail17trampoline_kernelINS0_14default_configENS1_25partition_config_selectorILNS1_17partition_subalgoE9EllbEEZZNS1_14partition_implILS5_9ELb0ES3_jPKlN6thrust23THRUST_200600_302600_NS17counting_iteratorIlNSB_11use_defaultESD_SD_EEPNS0_10empty_typeENS0_5tupleIJPlSF_EEENSH_IJSI_SG_EEENS0_18inequality_wrapperIN6hipcub16HIPCUB_304000_NS8EqualityEEESI_JSF_EEE10hipError_tPvRmT3_T4_T5_T6_T7_T9_mT8_P12ihipStream_tbDpT10_ENKUlT_T0_E_clISt17integral_constantIbLb0EES19_EEDaS14_S15_EUlS14_E_NS1_11comp_targetILNS1_3genE0ELNS1_11target_archE4294967295ELNS1_3gpuE0ELNS1_3repE0EEENS1_30default_config_static_selectorELNS0_4arch9wavefront6targetE0EEEvT1_.uses_flat_scratch, 0
	.set _ZN7rocprim17ROCPRIM_400000_NS6detail17trampoline_kernelINS0_14default_configENS1_25partition_config_selectorILNS1_17partition_subalgoE9EllbEEZZNS1_14partition_implILS5_9ELb0ES3_jPKlN6thrust23THRUST_200600_302600_NS17counting_iteratorIlNSB_11use_defaultESD_SD_EEPNS0_10empty_typeENS0_5tupleIJPlSF_EEENSH_IJSI_SG_EEENS0_18inequality_wrapperIN6hipcub16HIPCUB_304000_NS8EqualityEEESI_JSF_EEE10hipError_tPvRmT3_T4_T5_T6_T7_T9_mT8_P12ihipStream_tbDpT10_ENKUlT_T0_E_clISt17integral_constantIbLb0EES19_EEDaS14_S15_EUlS14_E_NS1_11comp_targetILNS1_3genE0ELNS1_11target_archE4294967295ELNS1_3gpuE0ELNS1_3repE0EEENS1_30default_config_static_selectorELNS0_4arch9wavefront6targetE0EEEvT1_.has_dyn_sized_stack, 0
	.set _ZN7rocprim17ROCPRIM_400000_NS6detail17trampoline_kernelINS0_14default_configENS1_25partition_config_selectorILNS1_17partition_subalgoE9EllbEEZZNS1_14partition_implILS5_9ELb0ES3_jPKlN6thrust23THRUST_200600_302600_NS17counting_iteratorIlNSB_11use_defaultESD_SD_EEPNS0_10empty_typeENS0_5tupleIJPlSF_EEENSH_IJSI_SG_EEENS0_18inequality_wrapperIN6hipcub16HIPCUB_304000_NS8EqualityEEESI_JSF_EEE10hipError_tPvRmT3_T4_T5_T6_T7_T9_mT8_P12ihipStream_tbDpT10_ENKUlT_T0_E_clISt17integral_constantIbLb0EES19_EEDaS14_S15_EUlS14_E_NS1_11comp_targetILNS1_3genE0ELNS1_11target_archE4294967295ELNS1_3gpuE0ELNS1_3repE0EEENS1_30default_config_static_selectorELNS0_4arch9wavefront6targetE0EEEvT1_.has_recursion, 0
	.set _ZN7rocprim17ROCPRIM_400000_NS6detail17trampoline_kernelINS0_14default_configENS1_25partition_config_selectorILNS1_17partition_subalgoE9EllbEEZZNS1_14partition_implILS5_9ELb0ES3_jPKlN6thrust23THRUST_200600_302600_NS17counting_iteratorIlNSB_11use_defaultESD_SD_EEPNS0_10empty_typeENS0_5tupleIJPlSF_EEENSH_IJSI_SG_EEENS0_18inequality_wrapperIN6hipcub16HIPCUB_304000_NS8EqualityEEESI_JSF_EEE10hipError_tPvRmT3_T4_T5_T6_T7_T9_mT8_P12ihipStream_tbDpT10_ENKUlT_T0_E_clISt17integral_constantIbLb0EES19_EEDaS14_S15_EUlS14_E_NS1_11comp_targetILNS1_3genE0ELNS1_11target_archE4294967295ELNS1_3gpuE0ELNS1_3repE0EEENS1_30default_config_static_selectorELNS0_4arch9wavefront6targetE0EEEvT1_.has_indirect_call, 0
	.section	.AMDGPU.csdata,"",@progbits
; Kernel info:
; codeLenInByte = 5912
; TotalNumSgprs: 26
; NumVgprs: 56
; ScratchSize: 0
; MemoryBound: 0
; FloatMode: 240
; IeeeMode: 1
; LDSByteSize: 5128 bytes/workgroup (compile time only)
; SGPRBlocks: 0
; VGPRBlocks: 3
; NumSGPRsForWavesPerEU: 26
; NumVGPRsForWavesPerEU: 56
; NamedBarCnt: 0
; Occupancy: 16
; WaveLimiterHint : 1
; COMPUTE_PGM_RSRC2:SCRATCH_EN: 0
; COMPUTE_PGM_RSRC2:USER_SGPR: 2
; COMPUTE_PGM_RSRC2:TRAP_HANDLER: 0
; COMPUTE_PGM_RSRC2:TGID_X_EN: 1
; COMPUTE_PGM_RSRC2:TGID_Y_EN: 0
; COMPUTE_PGM_RSRC2:TGID_Z_EN: 0
; COMPUTE_PGM_RSRC2:TIDIG_COMP_CNT: 0
	.section	.text._ZN7rocprim17ROCPRIM_400000_NS6detail17trampoline_kernelINS0_14default_configENS1_25partition_config_selectorILNS1_17partition_subalgoE9EllbEEZZNS1_14partition_implILS5_9ELb0ES3_jPKlN6thrust23THRUST_200600_302600_NS17counting_iteratorIlNSB_11use_defaultESD_SD_EEPNS0_10empty_typeENS0_5tupleIJPlSF_EEENSH_IJSI_SG_EEENS0_18inequality_wrapperIN6hipcub16HIPCUB_304000_NS8EqualityEEESI_JSF_EEE10hipError_tPvRmT3_T4_T5_T6_T7_T9_mT8_P12ihipStream_tbDpT10_ENKUlT_T0_E_clISt17integral_constantIbLb0EES19_EEDaS14_S15_EUlS14_E_NS1_11comp_targetILNS1_3genE5ELNS1_11target_archE942ELNS1_3gpuE9ELNS1_3repE0EEENS1_30default_config_static_selectorELNS0_4arch9wavefront6targetE0EEEvT1_,"axG",@progbits,_ZN7rocprim17ROCPRIM_400000_NS6detail17trampoline_kernelINS0_14default_configENS1_25partition_config_selectorILNS1_17partition_subalgoE9EllbEEZZNS1_14partition_implILS5_9ELb0ES3_jPKlN6thrust23THRUST_200600_302600_NS17counting_iteratorIlNSB_11use_defaultESD_SD_EEPNS0_10empty_typeENS0_5tupleIJPlSF_EEENSH_IJSI_SG_EEENS0_18inequality_wrapperIN6hipcub16HIPCUB_304000_NS8EqualityEEESI_JSF_EEE10hipError_tPvRmT3_T4_T5_T6_T7_T9_mT8_P12ihipStream_tbDpT10_ENKUlT_T0_E_clISt17integral_constantIbLb0EES19_EEDaS14_S15_EUlS14_E_NS1_11comp_targetILNS1_3genE5ELNS1_11target_archE942ELNS1_3gpuE9ELNS1_3repE0EEENS1_30default_config_static_selectorELNS0_4arch9wavefront6targetE0EEEvT1_,comdat
	.protected	_ZN7rocprim17ROCPRIM_400000_NS6detail17trampoline_kernelINS0_14default_configENS1_25partition_config_selectorILNS1_17partition_subalgoE9EllbEEZZNS1_14partition_implILS5_9ELb0ES3_jPKlN6thrust23THRUST_200600_302600_NS17counting_iteratorIlNSB_11use_defaultESD_SD_EEPNS0_10empty_typeENS0_5tupleIJPlSF_EEENSH_IJSI_SG_EEENS0_18inequality_wrapperIN6hipcub16HIPCUB_304000_NS8EqualityEEESI_JSF_EEE10hipError_tPvRmT3_T4_T5_T6_T7_T9_mT8_P12ihipStream_tbDpT10_ENKUlT_T0_E_clISt17integral_constantIbLb0EES19_EEDaS14_S15_EUlS14_E_NS1_11comp_targetILNS1_3genE5ELNS1_11target_archE942ELNS1_3gpuE9ELNS1_3repE0EEENS1_30default_config_static_selectorELNS0_4arch9wavefront6targetE0EEEvT1_ ; -- Begin function _ZN7rocprim17ROCPRIM_400000_NS6detail17trampoline_kernelINS0_14default_configENS1_25partition_config_selectorILNS1_17partition_subalgoE9EllbEEZZNS1_14partition_implILS5_9ELb0ES3_jPKlN6thrust23THRUST_200600_302600_NS17counting_iteratorIlNSB_11use_defaultESD_SD_EEPNS0_10empty_typeENS0_5tupleIJPlSF_EEENSH_IJSI_SG_EEENS0_18inequality_wrapperIN6hipcub16HIPCUB_304000_NS8EqualityEEESI_JSF_EEE10hipError_tPvRmT3_T4_T5_T6_T7_T9_mT8_P12ihipStream_tbDpT10_ENKUlT_T0_E_clISt17integral_constantIbLb0EES19_EEDaS14_S15_EUlS14_E_NS1_11comp_targetILNS1_3genE5ELNS1_11target_archE942ELNS1_3gpuE9ELNS1_3repE0EEENS1_30default_config_static_selectorELNS0_4arch9wavefront6targetE0EEEvT1_
	.globl	_ZN7rocprim17ROCPRIM_400000_NS6detail17trampoline_kernelINS0_14default_configENS1_25partition_config_selectorILNS1_17partition_subalgoE9EllbEEZZNS1_14partition_implILS5_9ELb0ES3_jPKlN6thrust23THRUST_200600_302600_NS17counting_iteratorIlNSB_11use_defaultESD_SD_EEPNS0_10empty_typeENS0_5tupleIJPlSF_EEENSH_IJSI_SG_EEENS0_18inequality_wrapperIN6hipcub16HIPCUB_304000_NS8EqualityEEESI_JSF_EEE10hipError_tPvRmT3_T4_T5_T6_T7_T9_mT8_P12ihipStream_tbDpT10_ENKUlT_T0_E_clISt17integral_constantIbLb0EES19_EEDaS14_S15_EUlS14_E_NS1_11comp_targetILNS1_3genE5ELNS1_11target_archE942ELNS1_3gpuE9ELNS1_3repE0EEENS1_30default_config_static_selectorELNS0_4arch9wavefront6targetE0EEEvT1_
	.p2align	8
	.type	_ZN7rocprim17ROCPRIM_400000_NS6detail17trampoline_kernelINS0_14default_configENS1_25partition_config_selectorILNS1_17partition_subalgoE9EllbEEZZNS1_14partition_implILS5_9ELb0ES3_jPKlN6thrust23THRUST_200600_302600_NS17counting_iteratorIlNSB_11use_defaultESD_SD_EEPNS0_10empty_typeENS0_5tupleIJPlSF_EEENSH_IJSI_SG_EEENS0_18inequality_wrapperIN6hipcub16HIPCUB_304000_NS8EqualityEEESI_JSF_EEE10hipError_tPvRmT3_T4_T5_T6_T7_T9_mT8_P12ihipStream_tbDpT10_ENKUlT_T0_E_clISt17integral_constantIbLb0EES19_EEDaS14_S15_EUlS14_E_NS1_11comp_targetILNS1_3genE5ELNS1_11target_archE942ELNS1_3gpuE9ELNS1_3repE0EEENS1_30default_config_static_selectorELNS0_4arch9wavefront6targetE0EEEvT1_,@function
_ZN7rocprim17ROCPRIM_400000_NS6detail17trampoline_kernelINS0_14default_configENS1_25partition_config_selectorILNS1_17partition_subalgoE9EllbEEZZNS1_14partition_implILS5_9ELb0ES3_jPKlN6thrust23THRUST_200600_302600_NS17counting_iteratorIlNSB_11use_defaultESD_SD_EEPNS0_10empty_typeENS0_5tupleIJPlSF_EEENSH_IJSI_SG_EEENS0_18inequality_wrapperIN6hipcub16HIPCUB_304000_NS8EqualityEEESI_JSF_EEE10hipError_tPvRmT3_T4_T5_T6_T7_T9_mT8_P12ihipStream_tbDpT10_ENKUlT_T0_E_clISt17integral_constantIbLb0EES19_EEDaS14_S15_EUlS14_E_NS1_11comp_targetILNS1_3genE5ELNS1_11target_archE942ELNS1_3gpuE9ELNS1_3repE0EEENS1_30default_config_static_selectorELNS0_4arch9wavefront6targetE0EEEvT1_: ; @_ZN7rocprim17ROCPRIM_400000_NS6detail17trampoline_kernelINS0_14default_configENS1_25partition_config_selectorILNS1_17partition_subalgoE9EllbEEZZNS1_14partition_implILS5_9ELb0ES3_jPKlN6thrust23THRUST_200600_302600_NS17counting_iteratorIlNSB_11use_defaultESD_SD_EEPNS0_10empty_typeENS0_5tupleIJPlSF_EEENSH_IJSI_SG_EEENS0_18inequality_wrapperIN6hipcub16HIPCUB_304000_NS8EqualityEEESI_JSF_EEE10hipError_tPvRmT3_T4_T5_T6_T7_T9_mT8_P12ihipStream_tbDpT10_ENKUlT_T0_E_clISt17integral_constantIbLb0EES19_EEDaS14_S15_EUlS14_E_NS1_11comp_targetILNS1_3genE5ELNS1_11target_archE942ELNS1_3gpuE9ELNS1_3repE0EEENS1_30default_config_static_selectorELNS0_4arch9wavefront6targetE0EEEvT1_
; %bb.0:
	.section	.rodata,"a",@progbits
	.p2align	6, 0x0
	.amdhsa_kernel _ZN7rocprim17ROCPRIM_400000_NS6detail17trampoline_kernelINS0_14default_configENS1_25partition_config_selectorILNS1_17partition_subalgoE9EllbEEZZNS1_14partition_implILS5_9ELb0ES3_jPKlN6thrust23THRUST_200600_302600_NS17counting_iteratorIlNSB_11use_defaultESD_SD_EEPNS0_10empty_typeENS0_5tupleIJPlSF_EEENSH_IJSI_SG_EEENS0_18inequality_wrapperIN6hipcub16HIPCUB_304000_NS8EqualityEEESI_JSF_EEE10hipError_tPvRmT3_T4_T5_T6_T7_T9_mT8_P12ihipStream_tbDpT10_ENKUlT_T0_E_clISt17integral_constantIbLb0EES19_EEDaS14_S15_EUlS14_E_NS1_11comp_targetILNS1_3genE5ELNS1_11target_archE942ELNS1_3gpuE9ELNS1_3repE0EEENS1_30default_config_static_selectorELNS0_4arch9wavefront6targetE0EEEvT1_
		.amdhsa_group_segment_fixed_size 0
		.amdhsa_private_segment_fixed_size 0
		.amdhsa_kernarg_size 112
		.amdhsa_user_sgpr_count 2
		.amdhsa_user_sgpr_dispatch_ptr 0
		.amdhsa_user_sgpr_queue_ptr 0
		.amdhsa_user_sgpr_kernarg_segment_ptr 1
		.amdhsa_user_sgpr_dispatch_id 0
		.amdhsa_user_sgpr_kernarg_preload_length 0
		.amdhsa_user_sgpr_kernarg_preload_offset 0
		.amdhsa_user_sgpr_private_segment_size 0
		.amdhsa_wavefront_size32 1
		.amdhsa_uses_dynamic_stack 0
		.amdhsa_enable_private_segment 0
		.amdhsa_system_sgpr_workgroup_id_x 1
		.amdhsa_system_sgpr_workgroup_id_y 0
		.amdhsa_system_sgpr_workgroup_id_z 0
		.amdhsa_system_sgpr_workgroup_info 0
		.amdhsa_system_vgpr_workitem_id 0
		.amdhsa_next_free_vgpr 1
		.amdhsa_next_free_sgpr 1
		.amdhsa_named_barrier_count 0
		.amdhsa_reserve_vcc 0
		.amdhsa_float_round_mode_32 0
		.amdhsa_float_round_mode_16_64 0
		.amdhsa_float_denorm_mode_32 3
		.amdhsa_float_denorm_mode_16_64 3
		.amdhsa_fp16_overflow 0
		.amdhsa_memory_ordered 1
		.amdhsa_forward_progress 1
		.amdhsa_inst_pref_size 0
		.amdhsa_round_robin_scheduling 0
		.amdhsa_exception_fp_ieee_invalid_op 0
		.amdhsa_exception_fp_denorm_src 0
		.amdhsa_exception_fp_ieee_div_zero 0
		.amdhsa_exception_fp_ieee_overflow 0
		.amdhsa_exception_fp_ieee_underflow 0
		.amdhsa_exception_fp_ieee_inexact 0
		.amdhsa_exception_int_div_zero 0
	.end_amdhsa_kernel
	.section	.text._ZN7rocprim17ROCPRIM_400000_NS6detail17trampoline_kernelINS0_14default_configENS1_25partition_config_selectorILNS1_17partition_subalgoE9EllbEEZZNS1_14partition_implILS5_9ELb0ES3_jPKlN6thrust23THRUST_200600_302600_NS17counting_iteratorIlNSB_11use_defaultESD_SD_EEPNS0_10empty_typeENS0_5tupleIJPlSF_EEENSH_IJSI_SG_EEENS0_18inequality_wrapperIN6hipcub16HIPCUB_304000_NS8EqualityEEESI_JSF_EEE10hipError_tPvRmT3_T4_T5_T6_T7_T9_mT8_P12ihipStream_tbDpT10_ENKUlT_T0_E_clISt17integral_constantIbLb0EES19_EEDaS14_S15_EUlS14_E_NS1_11comp_targetILNS1_3genE5ELNS1_11target_archE942ELNS1_3gpuE9ELNS1_3repE0EEENS1_30default_config_static_selectorELNS0_4arch9wavefront6targetE0EEEvT1_,"axG",@progbits,_ZN7rocprim17ROCPRIM_400000_NS6detail17trampoline_kernelINS0_14default_configENS1_25partition_config_selectorILNS1_17partition_subalgoE9EllbEEZZNS1_14partition_implILS5_9ELb0ES3_jPKlN6thrust23THRUST_200600_302600_NS17counting_iteratorIlNSB_11use_defaultESD_SD_EEPNS0_10empty_typeENS0_5tupleIJPlSF_EEENSH_IJSI_SG_EEENS0_18inequality_wrapperIN6hipcub16HIPCUB_304000_NS8EqualityEEESI_JSF_EEE10hipError_tPvRmT3_T4_T5_T6_T7_T9_mT8_P12ihipStream_tbDpT10_ENKUlT_T0_E_clISt17integral_constantIbLb0EES19_EEDaS14_S15_EUlS14_E_NS1_11comp_targetILNS1_3genE5ELNS1_11target_archE942ELNS1_3gpuE9ELNS1_3repE0EEENS1_30default_config_static_selectorELNS0_4arch9wavefront6targetE0EEEvT1_,comdat
.Lfunc_end45:
	.size	_ZN7rocprim17ROCPRIM_400000_NS6detail17trampoline_kernelINS0_14default_configENS1_25partition_config_selectorILNS1_17partition_subalgoE9EllbEEZZNS1_14partition_implILS5_9ELb0ES3_jPKlN6thrust23THRUST_200600_302600_NS17counting_iteratorIlNSB_11use_defaultESD_SD_EEPNS0_10empty_typeENS0_5tupleIJPlSF_EEENSH_IJSI_SG_EEENS0_18inequality_wrapperIN6hipcub16HIPCUB_304000_NS8EqualityEEESI_JSF_EEE10hipError_tPvRmT3_T4_T5_T6_T7_T9_mT8_P12ihipStream_tbDpT10_ENKUlT_T0_E_clISt17integral_constantIbLb0EES19_EEDaS14_S15_EUlS14_E_NS1_11comp_targetILNS1_3genE5ELNS1_11target_archE942ELNS1_3gpuE9ELNS1_3repE0EEENS1_30default_config_static_selectorELNS0_4arch9wavefront6targetE0EEEvT1_, .Lfunc_end45-_ZN7rocprim17ROCPRIM_400000_NS6detail17trampoline_kernelINS0_14default_configENS1_25partition_config_selectorILNS1_17partition_subalgoE9EllbEEZZNS1_14partition_implILS5_9ELb0ES3_jPKlN6thrust23THRUST_200600_302600_NS17counting_iteratorIlNSB_11use_defaultESD_SD_EEPNS0_10empty_typeENS0_5tupleIJPlSF_EEENSH_IJSI_SG_EEENS0_18inequality_wrapperIN6hipcub16HIPCUB_304000_NS8EqualityEEESI_JSF_EEE10hipError_tPvRmT3_T4_T5_T6_T7_T9_mT8_P12ihipStream_tbDpT10_ENKUlT_T0_E_clISt17integral_constantIbLb0EES19_EEDaS14_S15_EUlS14_E_NS1_11comp_targetILNS1_3genE5ELNS1_11target_archE942ELNS1_3gpuE9ELNS1_3repE0EEENS1_30default_config_static_selectorELNS0_4arch9wavefront6targetE0EEEvT1_
                                        ; -- End function
	.set _ZN7rocprim17ROCPRIM_400000_NS6detail17trampoline_kernelINS0_14default_configENS1_25partition_config_selectorILNS1_17partition_subalgoE9EllbEEZZNS1_14partition_implILS5_9ELb0ES3_jPKlN6thrust23THRUST_200600_302600_NS17counting_iteratorIlNSB_11use_defaultESD_SD_EEPNS0_10empty_typeENS0_5tupleIJPlSF_EEENSH_IJSI_SG_EEENS0_18inequality_wrapperIN6hipcub16HIPCUB_304000_NS8EqualityEEESI_JSF_EEE10hipError_tPvRmT3_T4_T5_T6_T7_T9_mT8_P12ihipStream_tbDpT10_ENKUlT_T0_E_clISt17integral_constantIbLb0EES19_EEDaS14_S15_EUlS14_E_NS1_11comp_targetILNS1_3genE5ELNS1_11target_archE942ELNS1_3gpuE9ELNS1_3repE0EEENS1_30default_config_static_selectorELNS0_4arch9wavefront6targetE0EEEvT1_.num_vgpr, 0
	.set _ZN7rocprim17ROCPRIM_400000_NS6detail17trampoline_kernelINS0_14default_configENS1_25partition_config_selectorILNS1_17partition_subalgoE9EllbEEZZNS1_14partition_implILS5_9ELb0ES3_jPKlN6thrust23THRUST_200600_302600_NS17counting_iteratorIlNSB_11use_defaultESD_SD_EEPNS0_10empty_typeENS0_5tupleIJPlSF_EEENSH_IJSI_SG_EEENS0_18inequality_wrapperIN6hipcub16HIPCUB_304000_NS8EqualityEEESI_JSF_EEE10hipError_tPvRmT3_T4_T5_T6_T7_T9_mT8_P12ihipStream_tbDpT10_ENKUlT_T0_E_clISt17integral_constantIbLb0EES19_EEDaS14_S15_EUlS14_E_NS1_11comp_targetILNS1_3genE5ELNS1_11target_archE942ELNS1_3gpuE9ELNS1_3repE0EEENS1_30default_config_static_selectorELNS0_4arch9wavefront6targetE0EEEvT1_.num_agpr, 0
	.set _ZN7rocprim17ROCPRIM_400000_NS6detail17trampoline_kernelINS0_14default_configENS1_25partition_config_selectorILNS1_17partition_subalgoE9EllbEEZZNS1_14partition_implILS5_9ELb0ES3_jPKlN6thrust23THRUST_200600_302600_NS17counting_iteratorIlNSB_11use_defaultESD_SD_EEPNS0_10empty_typeENS0_5tupleIJPlSF_EEENSH_IJSI_SG_EEENS0_18inequality_wrapperIN6hipcub16HIPCUB_304000_NS8EqualityEEESI_JSF_EEE10hipError_tPvRmT3_T4_T5_T6_T7_T9_mT8_P12ihipStream_tbDpT10_ENKUlT_T0_E_clISt17integral_constantIbLb0EES19_EEDaS14_S15_EUlS14_E_NS1_11comp_targetILNS1_3genE5ELNS1_11target_archE942ELNS1_3gpuE9ELNS1_3repE0EEENS1_30default_config_static_selectorELNS0_4arch9wavefront6targetE0EEEvT1_.numbered_sgpr, 0
	.set _ZN7rocprim17ROCPRIM_400000_NS6detail17trampoline_kernelINS0_14default_configENS1_25partition_config_selectorILNS1_17partition_subalgoE9EllbEEZZNS1_14partition_implILS5_9ELb0ES3_jPKlN6thrust23THRUST_200600_302600_NS17counting_iteratorIlNSB_11use_defaultESD_SD_EEPNS0_10empty_typeENS0_5tupleIJPlSF_EEENSH_IJSI_SG_EEENS0_18inequality_wrapperIN6hipcub16HIPCUB_304000_NS8EqualityEEESI_JSF_EEE10hipError_tPvRmT3_T4_T5_T6_T7_T9_mT8_P12ihipStream_tbDpT10_ENKUlT_T0_E_clISt17integral_constantIbLb0EES19_EEDaS14_S15_EUlS14_E_NS1_11comp_targetILNS1_3genE5ELNS1_11target_archE942ELNS1_3gpuE9ELNS1_3repE0EEENS1_30default_config_static_selectorELNS0_4arch9wavefront6targetE0EEEvT1_.num_named_barrier, 0
	.set _ZN7rocprim17ROCPRIM_400000_NS6detail17trampoline_kernelINS0_14default_configENS1_25partition_config_selectorILNS1_17partition_subalgoE9EllbEEZZNS1_14partition_implILS5_9ELb0ES3_jPKlN6thrust23THRUST_200600_302600_NS17counting_iteratorIlNSB_11use_defaultESD_SD_EEPNS0_10empty_typeENS0_5tupleIJPlSF_EEENSH_IJSI_SG_EEENS0_18inequality_wrapperIN6hipcub16HIPCUB_304000_NS8EqualityEEESI_JSF_EEE10hipError_tPvRmT3_T4_T5_T6_T7_T9_mT8_P12ihipStream_tbDpT10_ENKUlT_T0_E_clISt17integral_constantIbLb0EES19_EEDaS14_S15_EUlS14_E_NS1_11comp_targetILNS1_3genE5ELNS1_11target_archE942ELNS1_3gpuE9ELNS1_3repE0EEENS1_30default_config_static_selectorELNS0_4arch9wavefront6targetE0EEEvT1_.private_seg_size, 0
	.set _ZN7rocprim17ROCPRIM_400000_NS6detail17trampoline_kernelINS0_14default_configENS1_25partition_config_selectorILNS1_17partition_subalgoE9EllbEEZZNS1_14partition_implILS5_9ELb0ES3_jPKlN6thrust23THRUST_200600_302600_NS17counting_iteratorIlNSB_11use_defaultESD_SD_EEPNS0_10empty_typeENS0_5tupleIJPlSF_EEENSH_IJSI_SG_EEENS0_18inequality_wrapperIN6hipcub16HIPCUB_304000_NS8EqualityEEESI_JSF_EEE10hipError_tPvRmT3_T4_T5_T6_T7_T9_mT8_P12ihipStream_tbDpT10_ENKUlT_T0_E_clISt17integral_constantIbLb0EES19_EEDaS14_S15_EUlS14_E_NS1_11comp_targetILNS1_3genE5ELNS1_11target_archE942ELNS1_3gpuE9ELNS1_3repE0EEENS1_30default_config_static_selectorELNS0_4arch9wavefront6targetE0EEEvT1_.uses_vcc, 0
	.set _ZN7rocprim17ROCPRIM_400000_NS6detail17trampoline_kernelINS0_14default_configENS1_25partition_config_selectorILNS1_17partition_subalgoE9EllbEEZZNS1_14partition_implILS5_9ELb0ES3_jPKlN6thrust23THRUST_200600_302600_NS17counting_iteratorIlNSB_11use_defaultESD_SD_EEPNS0_10empty_typeENS0_5tupleIJPlSF_EEENSH_IJSI_SG_EEENS0_18inequality_wrapperIN6hipcub16HIPCUB_304000_NS8EqualityEEESI_JSF_EEE10hipError_tPvRmT3_T4_T5_T6_T7_T9_mT8_P12ihipStream_tbDpT10_ENKUlT_T0_E_clISt17integral_constantIbLb0EES19_EEDaS14_S15_EUlS14_E_NS1_11comp_targetILNS1_3genE5ELNS1_11target_archE942ELNS1_3gpuE9ELNS1_3repE0EEENS1_30default_config_static_selectorELNS0_4arch9wavefront6targetE0EEEvT1_.uses_flat_scratch, 0
	.set _ZN7rocprim17ROCPRIM_400000_NS6detail17trampoline_kernelINS0_14default_configENS1_25partition_config_selectorILNS1_17partition_subalgoE9EllbEEZZNS1_14partition_implILS5_9ELb0ES3_jPKlN6thrust23THRUST_200600_302600_NS17counting_iteratorIlNSB_11use_defaultESD_SD_EEPNS0_10empty_typeENS0_5tupleIJPlSF_EEENSH_IJSI_SG_EEENS0_18inequality_wrapperIN6hipcub16HIPCUB_304000_NS8EqualityEEESI_JSF_EEE10hipError_tPvRmT3_T4_T5_T6_T7_T9_mT8_P12ihipStream_tbDpT10_ENKUlT_T0_E_clISt17integral_constantIbLb0EES19_EEDaS14_S15_EUlS14_E_NS1_11comp_targetILNS1_3genE5ELNS1_11target_archE942ELNS1_3gpuE9ELNS1_3repE0EEENS1_30default_config_static_selectorELNS0_4arch9wavefront6targetE0EEEvT1_.has_dyn_sized_stack, 0
	.set _ZN7rocprim17ROCPRIM_400000_NS6detail17trampoline_kernelINS0_14default_configENS1_25partition_config_selectorILNS1_17partition_subalgoE9EllbEEZZNS1_14partition_implILS5_9ELb0ES3_jPKlN6thrust23THRUST_200600_302600_NS17counting_iteratorIlNSB_11use_defaultESD_SD_EEPNS0_10empty_typeENS0_5tupleIJPlSF_EEENSH_IJSI_SG_EEENS0_18inequality_wrapperIN6hipcub16HIPCUB_304000_NS8EqualityEEESI_JSF_EEE10hipError_tPvRmT3_T4_T5_T6_T7_T9_mT8_P12ihipStream_tbDpT10_ENKUlT_T0_E_clISt17integral_constantIbLb0EES19_EEDaS14_S15_EUlS14_E_NS1_11comp_targetILNS1_3genE5ELNS1_11target_archE942ELNS1_3gpuE9ELNS1_3repE0EEENS1_30default_config_static_selectorELNS0_4arch9wavefront6targetE0EEEvT1_.has_recursion, 0
	.set _ZN7rocprim17ROCPRIM_400000_NS6detail17trampoline_kernelINS0_14default_configENS1_25partition_config_selectorILNS1_17partition_subalgoE9EllbEEZZNS1_14partition_implILS5_9ELb0ES3_jPKlN6thrust23THRUST_200600_302600_NS17counting_iteratorIlNSB_11use_defaultESD_SD_EEPNS0_10empty_typeENS0_5tupleIJPlSF_EEENSH_IJSI_SG_EEENS0_18inequality_wrapperIN6hipcub16HIPCUB_304000_NS8EqualityEEESI_JSF_EEE10hipError_tPvRmT3_T4_T5_T6_T7_T9_mT8_P12ihipStream_tbDpT10_ENKUlT_T0_E_clISt17integral_constantIbLb0EES19_EEDaS14_S15_EUlS14_E_NS1_11comp_targetILNS1_3genE5ELNS1_11target_archE942ELNS1_3gpuE9ELNS1_3repE0EEENS1_30default_config_static_selectorELNS0_4arch9wavefront6targetE0EEEvT1_.has_indirect_call, 0
	.section	.AMDGPU.csdata,"",@progbits
; Kernel info:
; codeLenInByte = 0
; TotalNumSgprs: 0
; NumVgprs: 0
; ScratchSize: 0
; MemoryBound: 0
; FloatMode: 240
; IeeeMode: 1
; LDSByteSize: 0 bytes/workgroup (compile time only)
; SGPRBlocks: 0
; VGPRBlocks: 0
; NumSGPRsForWavesPerEU: 1
; NumVGPRsForWavesPerEU: 1
; NamedBarCnt: 0
; Occupancy: 16
; WaveLimiterHint : 0
; COMPUTE_PGM_RSRC2:SCRATCH_EN: 0
; COMPUTE_PGM_RSRC2:USER_SGPR: 2
; COMPUTE_PGM_RSRC2:TRAP_HANDLER: 0
; COMPUTE_PGM_RSRC2:TGID_X_EN: 1
; COMPUTE_PGM_RSRC2:TGID_Y_EN: 0
; COMPUTE_PGM_RSRC2:TGID_Z_EN: 0
; COMPUTE_PGM_RSRC2:TIDIG_COMP_CNT: 0
	.section	.text._ZN7rocprim17ROCPRIM_400000_NS6detail17trampoline_kernelINS0_14default_configENS1_25partition_config_selectorILNS1_17partition_subalgoE9EllbEEZZNS1_14partition_implILS5_9ELb0ES3_jPKlN6thrust23THRUST_200600_302600_NS17counting_iteratorIlNSB_11use_defaultESD_SD_EEPNS0_10empty_typeENS0_5tupleIJPlSF_EEENSH_IJSI_SG_EEENS0_18inequality_wrapperIN6hipcub16HIPCUB_304000_NS8EqualityEEESI_JSF_EEE10hipError_tPvRmT3_T4_T5_T6_T7_T9_mT8_P12ihipStream_tbDpT10_ENKUlT_T0_E_clISt17integral_constantIbLb0EES19_EEDaS14_S15_EUlS14_E_NS1_11comp_targetILNS1_3genE4ELNS1_11target_archE910ELNS1_3gpuE8ELNS1_3repE0EEENS1_30default_config_static_selectorELNS0_4arch9wavefront6targetE0EEEvT1_,"axG",@progbits,_ZN7rocprim17ROCPRIM_400000_NS6detail17trampoline_kernelINS0_14default_configENS1_25partition_config_selectorILNS1_17partition_subalgoE9EllbEEZZNS1_14partition_implILS5_9ELb0ES3_jPKlN6thrust23THRUST_200600_302600_NS17counting_iteratorIlNSB_11use_defaultESD_SD_EEPNS0_10empty_typeENS0_5tupleIJPlSF_EEENSH_IJSI_SG_EEENS0_18inequality_wrapperIN6hipcub16HIPCUB_304000_NS8EqualityEEESI_JSF_EEE10hipError_tPvRmT3_T4_T5_T6_T7_T9_mT8_P12ihipStream_tbDpT10_ENKUlT_T0_E_clISt17integral_constantIbLb0EES19_EEDaS14_S15_EUlS14_E_NS1_11comp_targetILNS1_3genE4ELNS1_11target_archE910ELNS1_3gpuE8ELNS1_3repE0EEENS1_30default_config_static_selectorELNS0_4arch9wavefront6targetE0EEEvT1_,comdat
	.protected	_ZN7rocprim17ROCPRIM_400000_NS6detail17trampoline_kernelINS0_14default_configENS1_25partition_config_selectorILNS1_17partition_subalgoE9EllbEEZZNS1_14partition_implILS5_9ELb0ES3_jPKlN6thrust23THRUST_200600_302600_NS17counting_iteratorIlNSB_11use_defaultESD_SD_EEPNS0_10empty_typeENS0_5tupleIJPlSF_EEENSH_IJSI_SG_EEENS0_18inequality_wrapperIN6hipcub16HIPCUB_304000_NS8EqualityEEESI_JSF_EEE10hipError_tPvRmT3_T4_T5_T6_T7_T9_mT8_P12ihipStream_tbDpT10_ENKUlT_T0_E_clISt17integral_constantIbLb0EES19_EEDaS14_S15_EUlS14_E_NS1_11comp_targetILNS1_3genE4ELNS1_11target_archE910ELNS1_3gpuE8ELNS1_3repE0EEENS1_30default_config_static_selectorELNS0_4arch9wavefront6targetE0EEEvT1_ ; -- Begin function _ZN7rocprim17ROCPRIM_400000_NS6detail17trampoline_kernelINS0_14default_configENS1_25partition_config_selectorILNS1_17partition_subalgoE9EllbEEZZNS1_14partition_implILS5_9ELb0ES3_jPKlN6thrust23THRUST_200600_302600_NS17counting_iteratorIlNSB_11use_defaultESD_SD_EEPNS0_10empty_typeENS0_5tupleIJPlSF_EEENSH_IJSI_SG_EEENS0_18inequality_wrapperIN6hipcub16HIPCUB_304000_NS8EqualityEEESI_JSF_EEE10hipError_tPvRmT3_T4_T5_T6_T7_T9_mT8_P12ihipStream_tbDpT10_ENKUlT_T0_E_clISt17integral_constantIbLb0EES19_EEDaS14_S15_EUlS14_E_NS1_11comp_targetILNS1_3genE4ELNS1_11target_archE910ELNS1_3gpuE8ELNS1_3repE0EEENS1_30default_config_static_selectorELNS0_4arch9wavefront6targetE0EEEvT1_
	.globl	_ZN7rocprim17ROCPRIM_400000_NS6detail17trampoline_kernelINS0_14default_configENS1_25partition_config_selectorILNS1_17partition_subalgoE9EllbEEZZNS1_14partition_implILS5_9ELb0ES3_jPKlN6thrust23THRUST_200600_302600_NS17counting_iteratorIlNSB_11use_defaultESD_SD_EEPNS0_10empty_typeENS0_5tupleIJPlSF_EEENSH_IJSI_SG_EEENS0_18inequality_wrapperIN6hipcub16HIPCUB_304000_NS8EqualityEEESI_JSF_EEE10hipError_tPvRmT3_T4_T5_T6_T7_T9_mT8_P12ihipStream_tbDpT10_ENKUlT_T0_E_clISt17integral_constantIbLb0EES19_EEDaS14_S15_EUlS14_E_NS1_11comp_targetILNS1_3genE4ELNS1_11target_archE910ELNS1_3gpuE8ELNS1_3repE0EEENS1_30default_config_static_selectorELNS0_4arch9wavefront6targetE0EEEvT1_
	.p2align	8
	.type	_ZN7rocprim17ROCPRIM_400000_NS6detail17trampoline_kernelINS0_14default_configENS1_25partition_config_selectorILNS1_17partition_subalgoE9EllbEEZZNS1_14partition_implILS5_9ELb0ES3_jPKlN6thrust23THRUST_200600_302600_NS17counting_iteratorIlNSB_11use_defaultESD_SD_EEPNS0_10empty_typeENS0_5tupleIJPlSF_EEENSH_IJSI_SG_EEENS0_18inequality_wrapperIN6hipcub16HIPCUB_304000_NS8EqualityEEESI_JSF_EEE10hipError_tPvRmT3_T4_T5_T6_T7_T9_mT8_P12ihipStream_tbDpT10_ENKUlT_T0_E_clISt17integral_constantIbLb0EES19_EEDaS14_S15_EUlS14_E_NS1_11comp_targetILNS1_3genE4ELNS1_11target_archE910ELNS1_3gpuE8ELNS1_3repE0EEENS1_30default_config_static_selectorELNS0_4arch9wavefront6targetE0EEEvT1_,@function
_ZN7rocprim17ROCPRIM_400000_NS6detail17trampoline_kernelINS0_14default_configENS1_25partition_config_selectorILNS1_17partition_subalgoE9EllbEEZZNS1_14partition_implILS5_9ELb0ES3_jPKlN6thrust23THRUST_200600_302600_NS17counting_iteratorIlNSB_11use_defaultESD_SD_EEPNS0_10empty_typeENS0_5tupleIJPlSF_EEENSH_IJSI_SG_EEENS0_18inequality_wrapperIN6hipcub16HIPCUB_304000_NS8EqualityEEESI_JSF_EEE10hipError_tPvRmT3_T4_T5_T6_T7_T9_mT8_P12ihipStream_tbDpT10_ENKUlT_T0_E_clISt17integral_constantIbLb0EES19_EEDaS14_S15_EUlS14_E_NS1_11comp_targetILNS1_3genE4ELNS1_11target_archE910ELNS1_3gpuE8ELNS1_3repE0EEENS1_30default_config_static_selectorELNS0_4arch9wavefront6targetE0EEEvT1_: ; @_ZN7rocprim17ROCPRIM_400000_NS6detail17trampoline_kernelINS0_14default_configENS1_25partition_config_selectorILNS1_17partition_subalgoE9EllbEEZZNS1_14partition_implILS5_9ELb0ES3_jPKlN6thrust23THRUST_200600_302600_NS17counting_iteratorIlNSB_11use_defaultESD_SD_EEPNS0_10empty_typeENS0_5tupleIJPlSF_EEENSH_IJSI_SG_EEENS0_18inequality_wrapperIN6hipcub16HIPCUB_304000_NS8EqualityEEESI_JSF_EEE10hipError_tPvRmT3_T4_T5_T6_T7_T9_mT8_P12ihipStream_tbDpT10_ENKUlT_T0_E_clISt17integral_constantIbLb0EES19_EEDaS14_S15_EUlS14_E_NS1_11comp_targetILNS1_3genE4ELNS1_11target_archE910ELNS1_3gpuE8ELNS1_3repE0EEENS1_30default_config_static_selectorELNS0_4arch9wavefront6targetE0EEEvT1_
; %bb.0:
	.section	.rodata,"a",@progbits
	.p2align	6, 0x0
	.amdhsa_kernel _ZN7rocprim17ROCPRIM_400000_NS6detail17trampoline_kernelINS0_14default_configENS1_25partition_config_selectorILNS1_17partition_subalgoE9EllbEEZZNS1_14partition_implILS5_9ELb0ES3_jPKlN6thrust23THRUST_200600_302600_NS17counting_iteratorIlNSB_11use_defaultESD_SD_EEPNS0_10empty_typeENS0_5tupleIJPlSF_EEENSH_IJSI_SG_EEENS0_18inequality_wrapperIN6hipcub16HIPCUB_304000_NS8EqualityEEESI_JSF_EEE10hipError_tPvRmT3_T4_T5_T6_T7_T9_mT8_P12ihipStream_tbDpT10_ENKUlT_T0_E_clISt17integral_constantIbLb0EES19_EEDaS14_S15_EUlS14_E_NS1_11comp_targetILNS1_3genE4ELNS1_11target_archE910ELNS1_3gpuE8ELNS1_3repE0EEENS1_30default_config_static_selectorELNS0_4arch9wavefront6targetE0EEEvT1_
		.amdhsa_group_segment_fixed_size 0
		.amdhsa_private_segment_fixed_size 0
		.amdhsa_kernarg_size 112
		.amdhsa_user_sgpr_count 2
		.amdhsa_user_sgpr_dispatch_ptr 0
		.amdhsa_user_sgpr_queue_ptr 0
		.amdhsa_user_sgpr_kernarg_segment_ptr 1
		.amdhsa_user_sgpr_dispatch_id 0
		.amdhsa_user_sgpr_kernarg_preload_length 0
		.amdhsa_user_sgpr_kernarg_preload_offset 0
		.amdhsa_user_sgpr_private_segment_size 0
		.amdhsa_wavefront_size32 1
		.amdhsa_uses_dynamic_stack 0
		.amdhsa_enable_private_segment 0
		.amdhsa_system_sgpr_workgroup_id_x 1
		.amdhsa_system_sgpr_workgroup_id_y 0
		.amdhsa_system_sgpr_workgroup_id_z 0
		.amdhsa_system_sgpr_workgroup_info 0
		.amdhsa_system_vgpr_workitem_id 0
		.amdhsa_next_free_vgpr 1
		.amdhsa_next_free_sgpr 1
		.amdhsa_named_barrier_count 0
		.amdhsa_reserve_vcc 0
		.amdhsa_float_round_mode_32 0
		.amdhsa_float_round_mode_16_64 0
		.amdhsa_float_denorm_mode_32 3
		.amdhsa_float_denorm_mode_16_64 3
		.amdhsa_fp16_overflow 0
		.amdhsa_memory_ordered 1
		.amdhsa_forward_progress 1
		.amdhsa_inst_pref_size 0
		.amdhsa_round_robin_scheduling 0
		.amdhsa_exception_fp_ieee_invalid_op 0
		.amdhsa_exception_fp_denorm_src 0
		.amdhsa_exception_fp_ieee_div_zero 0
		.amdhsa_exception_fp_ieee_overflow 0
		.amdhsa_exception_fp_ieee_underflow 0
		.amdhsa_exception_fp_ieee_inexact 0
		.amdhsa_exception_int_div_zero 0
	.end_amdhsa_kernel
	.section	.text._ZN7rocprim17ROCPRIM_400000_NS6detail17trampoline_kernelINS0_14default_configENS1_25partition_config_selectorILNS1_17partition_subalgoE9EllbEEZZNS1_14partition_implILS5_9ELb0ES3_jPKlN6thrust23THRUST_200600_302600_NS17counting_iteratorIlNSB_11use_defaultESD_SD_EEPNS0_10empty_typeENS0_5tupleIJPlSF_EEENSH_IJSI_SG_EEENS0_18inequality_wrapperIN6hipcub16HIPCUB_304000_NS8EqualityEEESI_JSF_EEE10hipError_tPvRmT3_T4_T5_T6_T7_T9_mT8_P12ihipStream_tbDpT10_ENKUlT_T0_E_clISt17integral_constantIbLb0EES19_EEDaS14_S15_EUlS14_E_NS1_11comp_targetILNS1_3genE4ELNS1_11target_archE910ELNS1_3gpuE8ELNS1_3repE0EEENS1_30default_config_static_selectorELNS0_4arch9wavefront6targetE0EEEvT1_,"axG",@progbits,_ZN7rocprim17ROCPRIM_400000_NS6detail17trampoline_kernelINS0_14default_configENS1_25partition_config_selectorILNS1_17partition_subalgoE9EllbEEZZNS1_14partition_implILS5_9ELb0ES3_jPKlN6thrust23THRUST_200600_302600_NS17counting_iteratorIlNSB_11use_defaultESD_SD_EEPNS0_10empty_typeENS0_5tupleIJPlSF_EEENSH_IJSI_SG_EEENS0_18inequality_wrapperIN6hipcub16HIPCUB_304000_NS8EqualityEEESI_JSF_EEE10hipError_tPvRmT3_T4_T5_T6_T7_T9_mT8_P12ihipStream_tbDpT10_ENKUlT_T0_E_clISt17integral_constantIbLb0EES19_EEDaS14_S15_EUlS14_E_NS1_11comp_targetILNS1_3genE4ELNS1_11target_archE910ELNS1_3gpuE8ELNS1_3repE0EEENS1_30default_config_static_selectorELNS0_4arch9wavefront6targetE0EEEvT1_,comdat
.Lfunc_end46:
	.size	_ZN7rocprim17ROCPRIM_400000_NS6detail17trampoline_kernelINS0_14default_configENS1_25partition_config_selectorILNS1_17partition_subalgoE9EllbEEZZNS1_14partition_implILS5_9ELb0ES3_jPKlN6thrust23THRUST_200600_302600_NS17counting_iteratorIlNSB_11use_defaultESD_SD_EEPNS0_10empty_typeENS0_5tupleIJPlSF_EEENSH_IJSI_SG_EEENS0_18inequality_wrapperIN6hipcub16HIPCUB_304000_NS8EqualityEEESI_JSF_EEE10hipError_tPvRmT3_T4_T5_T6_T7_T9_mT8_P12ihipStream_tbDpT10_ENKUlT_T0_E_clISt17integral_constantIbLb0EES19_EEDaS14_S15_EUlS14_E_NS1_11comp_targetILNS1_3genE4ELNS1_11target_archE910ELNS1_3gpuE8ELNS1_3repE0EEENS1_30default_config_static_selectorELNS0_4arch9wavefront6targetE0EEEvT1_, .Lfunc_end46-_ZN7rocprim17ROCPRIM_400000_NS6detail17trampoline_kernelINS0_14default_configENS1_25partition_config_selectorILNS1_17partition_subalgoE9EllbEEZZNS1_14partition_implILS5_9ELb0ES3_jPKlN6thrust23THRUST_200600_302600_NS17counting_iteratorIlNSB_11use_defaultESD_SD_EEPNS0_10empty_typeENS0_5tupleIJPlSF_EEENSH_IJSI_SG_EEENS0_18inequality_wrapperIN6hipcub16HIPCUB_304000_NS8EqualityEEESI_JSF_EEE10hipError_tPvRmT3_T4_T5_T6_T7_T9_mT8_P12ihipStream_tbDpT10_ENKUlT_T0_E_clISt17integral_constantIbLb0EES19_EEDaS14_S15_EUlS14_E_NS1_11comp_targetILNS1_3genE4ELNS1_11target_archE910ELNS1_3gpuE8ELNS1_3repE0EEENS1_30default_config_static_selectorELNS0_4arch9wavefront6targetE0EEEvT1_
                                        ; -- End function
	.set _ZN7rocprim17ROCPRIM_400000_NS6detail17trampoline_kernelINS0_14default_configENS1_25partition_config_selectorILNS1_17partition_subalgoE9EllbEEZZNS1_14partition_implILS5_9ELb0ES3_jPKlN6thrust23THRUST_200600_302600_NS17counting_iteratorIlNSB_11use_defaultESD_SD_EEPNS0_10empty_typeENS0_5tupleIJPlSF_EEENSH_IJSI_SG_EEENS0_18inequality_wrapperIN6hipcub16HIPCUB_304000_NS8EqualityEEESI_JSF_EEE10hipError_tPvRmT3_T4_T5_T6_T7_T9_mT8_P12ihipStream_tbDpT10_ENKUlT_T0_E_clISt17integral_constantIbLb0EES19_EEDaS14_S15_EUlS14_E_NS1_11comp_targetILNS1_3genE4ELNS1_11target_archE910ELNS1_3gpuE8ELNS1_3repE0EEENS1_30default_config_static_selectorELNS0_4arch9wavefront6targetE0EEEvT1_.num_vgpr, 0
	.set _ZN7rocprim17ROCPRIM_400000_NS6detail17trampoline_kernelINS0_14default_configENS1_25partition_config_selectorILNS1_17partition_subalgoE9EllbEEZZNS1_14partition_implILS5_9ELb0ES3_jPKlN6thrust23THRUST_200600_302600_NS17counting_iteratorIlNSB_11use_defaultESD_SD_EEPNS0_10empty_typeENS0_5tupleIJPlSF_EEENSH_IJSI_SG_EEENS0_18inequality_wrapperIN6hipcub16HIPCUB_304000_NS8EqualityEEESI_JSF_EEE10hipError_tPvRmT3_T4_T5_T6_T7_T9_mT8_P12ihipStream_tbDpT10_ENKUlT_T0_E_clISt17integral_constantIbLb0EES19_EEDaS14_S15_EUlS14_E_NS1_11comp_targetILNS1_3genE4ELNS1_11target_archE910ELNS1_3gpuE8ELNS1_3repE0EEENS1_30default_config_static_selectorELNS0_4arch9wavefront6targetE0EEEvT1_.num_agpr, 0
	.set _ZN7rocprim17ROCPRIM_400000_NS6detail17trampoline_kernelINS0_14default_configENS1_25partition_config_selectorILNS1_17partition_subalgoE9EllbEEZZNS1_14partition_implILS5_9ELb0ES3_jPKlN6thrust23THRUST_200600_302600_NS17counting_iteratorIlNSB_11use_defaultESD_SD_EEPNS0_10empty_typeENS0_5tupleIJPlSF_EEENSH_IJSI_SG_EEENS0_18inequality_wrapperIN6hipcub16HIPCUB_304000_NS8EqualityEEESI_JSF_EEE10hipError_tPvRmT3_T4_T5_T6_T7_T9_mT8_P12ihipStream_tbDpT10_ENKUlT_T0_E_clISt17integral_constantIbLb0EES19_EEDaS14_S15_EUlS14_E_NS1_11comp_targetILNS1_3genE4ELNS1_11target_archE910ELNS1_3gpuE8ELNS1_3repE0EEENS1_30default_config_static_selectorELNS0_4arch9wavefront6targetE0EEEvT1_.numbered_sgpr, 0
	.set _ZN7rocprim17ROCPRIM_400000_NS6detail17trampoline_kernelINS0_14default_configENS1_25partition_config_selectorILNS1_17partition_subalgoE9EllbEEZZNS1_14partition_implILS5_9ELb0ES3_jPKlN6thrust23THRUST_200600_302600_NS17counting_iteratorIlNSB_11use_defaultESD_SD_EEPNS0_10empty_typeENS0_5tupleIJPlSF_EEENSH_IJSI_SG_EEENS0_18inequality_wrapperIN6hipcub16HIPCUB_304000_NS8EqualityEEESI_JSF_EEE10hipError_tPvRmT3_T4_T5_T6_T7_T9_mT8_P12ihipStream_tbDpT10_ENKUlT_T0_E_clISt17integral_constantIbLb0EES19_EEDaS14_S15_EUlS14_E_NS1_11comp_targetILNS1_3genE4ELNS1_11target_archE910ELNS1_3gpuE8ELNS1_3repE0EEENS1_30default_config_static_selectorELNS0_4arch9wavefront6targetE0EEEvT1_.num_named_barrier, 0
	.set _ZN7rocprim17ROCPRIM_400000_NS6detail17trampoline_kernelINS0_14default_configENS1_25partition_config_selectorILNS1_17partition_subalgoE9EllbEEZZNS1_14partition_implILS5_9ELb0ES3_jPKlN6thrust23THRUST_200600_302600_NS17counting_iteratorIlNSB_11use_defaultESD_SD_EEPNS0_10empty_typeENS0_5tupleIJPlSF_EEENSH_IJSI_SG_EEENS0_18inequality_wrapperIN6hipcub16HIPCUB_304000_NS8EqualityEEESI_JSF_EEE10hipError_tPvRmT3_T4_T5_T6_T7_T9_mT8_P12ihipStream_tbDpT10_ENKUlT_T0_E_clISt17integral_constantIbLb0EES19_EEDaS14_S15_EUlS14_E_NS1_11comp_targetILNS1_3genE4ELNS1_11target_archE910ELNS1_3gpuE8ELNS1_3repE0EEENS1_30default_config_static_selectorELNS0_4arch9wavefront6targetE0EEEvT1_.private_seg_size, 0
	.set _ZN7rocprim17ROCPRIM_400000_NS6detail17trampoline_kernelINS0_14default_configENS1_25partition_config_selectorILNS1_17partition_subalgoE9EllbEEZZNS1_14partition_implILS5_9ELb0ES3_jPKlN6thrust23THRUST_200600_302600_NS17counting_iteratorIlNSB_11use_defaultESD_SD_EEPNS0_10empty_typeENS0_5tupleIJPlSF_EEENSH_IJSI_SG_EEENS0_18inequality_wrapperIN6hipcub16HIPCUB_304000_NS8EqualityEEESI_JSF_EEE10hipError_tPvRmT3_T4_T5_T6_T7_T9_mT8_P12ihipStream_tbDpT10_ENKUlT_T0_E_clISt17integral_constantIbLb0EES19_EEDaS14_S15_EUlS14_E_NS1_11comp_targetILNS1_3genE4ELNS1_11target_archE910ELNS1_3gpuE8ELNS1_3repE0EEENS1_30default_config_static_selectorELNS0_4arch9wavefront6targetE0EEEvT1_.uses_vcc, 0
	.set _ZN7rocprim17ROCPRIM_400000_NS6detail17trampoline_kernelINS0_14default_configENS1_25partition_config_selectorILNS1_17partition_subalgoE9EllbEEZZNS1_14partition_implILS5_9ELb0ES3_jPKlN6thrust23THRUST_200600_302600_NS17counting_iteratorIlNSB_11use_defaultESD_SD_EEPNS0_10empty_typeENS0_5tupleIJPlSF_EEENSH_IJSI_SG_EEENS0_18inequality_wrapperIN6hipcub16HIPCUB_304000_NS8EqualityEEESI_JSF_EEE10hipError_tPvRmT3_T4_T5_T6_T7_T9_mT8_P12ihipStream_tbDpT10_ENKUlT_T0_E_clISt17integral_constantIbLb0EES19_EEDaS14_S15_EUlS14_E_NS1_11comp_targetILNS1_3genE4ELNS1_11target_archE910ELNS1_3gpuE8ELNS1_3repE0EEENS1_30default_config_static_selectorELNS0_4arch9wavefront6targetE0EEEvT1_.uses_flat_scratch, 0
	.set _ZN7rocprim17ROCPRIM_400000_NS6detail17trampoline_kernelINS0_14default_configENS1_25partition_config_selectorILNS1_17partition_subalgoE9EllbEEZZNS1_14partition_implILS5_9ELb0ES3_jPKlN6thrust23THRUST_200600_302600_NS17counting_iteratorIlNSB_11use_defaultESD_SD_EEPNS0_10empty_typeENS0_5tupleIJPlSF_EEENSH_IJSI_SG_EEENS0_18inequality_wrapperIN6hipcub16HIPCUB_304000_NS8EqualityEEESI_JSF_EEE10hipError_tPvRmT3_T4_T5_T6_T7_T9_mT8_P12ihipStream_tbDpT10_ENKUlT_T0_E_clISt17integral_constantIbLb0EES19_EEDaS14_S15_EUlS14_E_NS1_11comp_targetILNS1_3genE4ELNS1_11target_archE910ELNS1_3gpuE8ELNS1_3repE0EEENS1_30default_config_static_selectorELNS0_4arch9wavefront6targetE0EEEvT1_.has_dyn_sized_stack, 0
	.set _ZN7rocprim17ROCPRIM_400000_NS6detail17trampoline_kernelINS0_14default_configENS1_25partition_config_selectorILNS1_17partition_subalgoE9EllbEEZZNS1_14partition_implILS5_9ELb0ES3_jPKlN6thrust23THRUST_200600_302600_NS17counting_iteratorIlNSB_11use_defaultESD_SD_EEPNS0_10empty_typeENS0_5tupleIJPlSF_EEENSH_IJSI_SG_EEENS0_18inequality_wrapperIN6hipcub16HIPCUB_304000_NS8EqualityEEESI_JSF_EEE10hipError_tPvRmT3_T4_T5_T6_T7_T9_mT8_P12ihipStream_tbDpT10_ENKUlT_T0_E_clISt17integral_constantIbLb0EES19_EEDaS14_S15_EUlS14_E_NS1_11comp_targetILNS1_3genE4ELNS1_11target_archE910ELNS1_3gpuE8ELNS1_3repE0EEENS1_30default_config_static_selectorELNS0_4arch9wavefront6targetE0EEEvT1_.has_recursion, 0
	.set _ZN7rocprim17ROCPRIM_400000_NS6detail17trampoline_kernelINS0_14default_configENS1_25partition_config_selectorILNS1_17partition_subalgoE9EllbEEZZNS1_14partition_implILS5_9ELb0ES3_jPKlN6thrust23THRUST_200600_302600_NS17counting_iteratorIlNSB_11use_defaultESD_SD_EEPNS0_10empty_typeENS0_5tupleIJPlSF_EEENSH_IJSI_SG_EEENS0_18inequality_wrapperIN6hipcub16HIPCUB_304000_NS8EqualityEEESI_JSF_EEE10hipError_tPvRmT3_T4_T5_T6_T7_T9_mT8_P12ihipStream_tbDpT10_ENKUlT_T0_E_clISt17integral_constantIbLb0EES19_EEDaS14_S15_EUlS14_E_NS1_11comp_targetILNS1_3genE4ELNS1_11target_archE910ELNS1_3gpuE8ELNS1_3repE0EEENS1_30default_config_static_selectorELNS0_4arch9wavefront6targetE0EEEvT1_.has_indirect_call, 0
	.section	.AMDGPU.csdata,"",@progbits
; Kernel info:
; codeLenInByte = 0
; TotalNumSgprs: 0
; NumVgprs: 0
; ScratchSize: 0
; MemoryBound: 0
; FloatMode: 240
; IeeeMode: 1
; LDSByteSize: 0 bytes/workgroup (compile time only)
; SGPRBlocks: 0
; VGPRBlocks: 0
; NumSGPRsForWavesPerEU: 1
; NumVGPRsForWavesPerEU: 1
; NamedBarCnt: 0
; Occupancy: 16
; WaveLimiterHint : 0
; COMPUTE_PGM_RSRC2:SCRATCH_EN: 0
; COMPUTE_PGM_RSRC2:USER_SGPR: 2
; COMPUTE_PGM_RSRC2:TRAP_HANDLER: 0
; COMPUTE_PGM_RSRC2:TGID_X_EN: 1
; COMPUTE_PGM_RSRC2:TGID_Y_EN: 0
; COMPUTE_PGM_RSRC2:TGID_Z_EN: 0
; COMPUTE_PGM_RSRC2:TIDIG_COMP_CNT: 0
	.section	.text._ZN7rocprim17ROCPRIM_400000_NS6detail17trampoline_kernelINS0_14default_configENS1_25partition_config_selectorILNS1_17partition_subalgoE9EllbEEZZNS1_14partition_implILS5_9ELb0ES3_jPKlN6thrust23THRUST_200600_302600_NS17counting_iteratorIlNSB_11use_defaultESD_SD_EEPNS0_10empty_typeENS0_5tupleIJPlSF_EEENSH_IJSI_SG_EEENS0_18inequality_wrapperIN6hipcub16HIPCUB_304000_NS8EqualityEEESI_JSF_EEE10hipError_tPvRmT3_T4_T5_T6_T7_T9_mT8_P12ihipStream_tbDpT10_ENKUlT_T0_E_clISt17integral_constantIbLb0EES19_EEDaS14_S15_EUlS14_E_NS1_11comp_targetILNS1_3genE3ELNS1_11target_archE908ELNS1_3gpuE7ELNS1_3repE0EEENS1_30default_config_static_selectorELNS0_4arch9wavefront6targetE0EEEvT1_,"axG",@progbits,_ZN7rocprim17ROCPRIM_400000_NS6detail17trampoline_kernelINS0_14default_configENS1_25partition_config_selectorILNS1_17partition_subalgoE9EllbEEZZNS1_14partition_implILS5_9ELb0ES3_jPKlN6thrust23THRUST_200600_302600_NS17counting_iteratorIlNSB_11use_defaultESD_SD_EEPNS0_10empty_typeENS0_5tupleIJPlSF_EEENSH_IJSI_SG_EEENS0_18inequality_wrapperIN6hipcub16HIPCUB_304000_NS8EqualityEEESI_JSF_EEE10hipError_tPvRmT3_T4_T5_T6_T7_T9_mT8_P12ihipStream_tbDpT10_ENKUlT_T0_E_clISt17integral_constantIbLb0EES19_EEDaS14_S15_EUlS14_E_NS1_11comp_targetILNS1_3genE3ELNS1_11target_archE908ELNS1_3gpuE7ELNS1_3repE0EEENS1_30default_config_static_selectorELNS0_4arch9wavefront6targetE0EEEvT1_,comdat
	.protected	_ZN7rocprim17ROCPRIM_400000_NS6detail17trampoline_kernelINS0_14default_configENS1_25partition_config_selectorILNS1_17partition_subalgoE9EllbEEZZNS1_14partition_implILS5_9ELb0ES3_jPKlN6thrust23THRUST_200600_302600_NS17counting_iteratorIlNSB_11use_defaultESD_SD_EEPNS0_10empty_typeENS0_5tupleIJPlSF_EEENSH_IJSI_SG_EEENS0_18inequality_wrapperIN6hipcub16HIPCUB_304000_NS8EqualityEEESI_JSF_EEE10hipError_tPvRmT3_T4_T5_T6_T7_T9_mT8_P12ihipStream_tbDpT10_ENKUlT_T0_E_clISt17integral_constantIbLb0EES19_EEDaS14_S15_EUlS14_E_NS1_11comp_targetILNS1_3genE3ELNS1_11target_archE908ELNS1_3gpuE7ELNS1_3repE0EEENS1_30default_config_static_selectorELNS0_4arch9wavefront6targetE0EEEvT1_ ; -- Begin function _ZN7rocprim17ROCPRIM_400000_NS6detail17trampoline_kernelINS0_14default_configENS1_25partition_config_selectorILNS1_17partition_subalgoE9EllbEEZZNS1_14partition_implILS5_9ELb0ES3_jPKlN6thrust23THRUST_200600_302600_NS17counting_iteratorIlNSB_11use_defaultESD_SD_EEPNS0_10empty_typeENS0_5tupleIJPlSF_EEENSH_IJSI_SG_EEENS0_18inequality_wrapperIN6hipcub16HIPCUB_304000_NS8EqualityEEESI_JSF_EEE10hipError_tPvRmT3_T4_T5_T6_T7_T9_mT8_P12ihipStream_tbDpT10_ENKUlT_T0_E_clISt17integral_constantIbLb0EES19_EEDaS14_S15_EUlS14_E_NS1_11comp_targetILNS1_3genE3ELNS1_11target_archE908ELNS1_3gpuE7ELNS1_3repE0EEENS1_30default_config_static_selectorELNS0_4arch9wavefront6targetE0EEEvT1_
	.globl	_ZN7rocprim17ROCPRIM_400000_NS6detail17trampoline_kernelINS0_14default_configENS1_25partition_config_selectorILNS1_17partition_subalgoE9EllbEEZZNS1_14partition_implILS5_9ELb0ES3_jPKlN6thrust23THRUST_200600_302600_NS17counting_iteratorIlNSB_11use_defaultESD_SD_EEPNS0_10empty_typeENS0_5tupleIJPlSF_EEENSH_IJSI_SG_EEENS0_18inequality_wrapperIN6hipcub16HIPCUB_304000_NS8EqualityEEESI_JSF_EEE10hipError_tPvRmT3_T4_T5_T6_T7_T9_mT8_P12ihipStream_tbDpT10_ENKUlT_T0_E_clISt17integral_constantIbLb0EES19_EEDaS14_S15_EUlS14_E_NS1_11comp_targetILNS1_3genE3ELNS1_11target_archE908ELNS1_3gpuE7ELNS1_3repE0EEENS1_30default_config_static_selectorELNS0_4arch9wavefront6targetE0EEEvT1_
	.p2align	8
	.type	_ZN7rocprim17ROCPRIM_400000_NS6detail17trampoline_kernelINS0_14default_configENS1_25partition_config_selectorILNS1_17partition_subalgoE9EllbEEZZNS1_14partition_implILS5_9ELb0ES3_jPKlN6thrust23THRUST_200600_302600_NS17counting_iteratorIlNSB_11use_defaultESD_SD_EEPNS0_10empty_typeENS0_5tupleIJPlSF_EEENSH_IJSI_SG_EEENS0_18inequality_wrapperIN6hipcub16HIPCUB_304000_NS8EqualityEEESI_JSF_EEE10hipError_tPvRmT3_T4_T5_T6_T7_T9_mT8_P12ihipStream_tbDpT10_ENKUlT_T0_E_clISt17integral_constantIbLb0EES19_EEDaS14_S15_EUlS14_E_NS1_11comp_targetILNS1_3genE3ELNS1_11target_archE908ELNS1_3gpuE7ELNS1_3repE0EEENS1_30default_config_static_selectorELNS0_4arch9wavefront6targetE0EEEvT1_,@function
_ZN7rocprim17ROCPRIM_400000_NS6detail17trampoline_kernelINS0_14default_configENS1_25partition_config_selectorILNS1_17partition_subalgoE9EllbEEZZNS1_14partition_implILS5_9ELb0ES3_jPKlN6thrust23THRUST_200600_302600_NS17counting_iteratorIlNSB_11use_defaultESD_SD_EEPNS0_10empty_typeENS0_5tupleIJPlSF_EEENSH_IJSI_SG_EEENS0_18inequality_wrapperIN6hipcub16HIPCUB_304000_NS8EqualityEEESI_JSF_EEE10hipError_tPvRmT3_T4_T5_T6_T7_T9_mT8_P12ihipStream_tbDpT10_ENKUlT_T0_E_clISt17integral_constantIbLb0EES19_EEDaS14_S15_EUlS14_E_NS1_11comp_targetILNS1_3genE3ELNS1_11target_archE908ELNS1_3gpuE7ELNS1_3repE0EEENS1_30default_config_static_selectorELNS0_4arch9wavefront6targetE0EEEvT1_: ; @_ZN7rocprim17ROCPRIM_400000_NS6detail17trampoline_kernelINS0_14default_configENS1_25partition_config_selectorILNS1_17partition_subalgoE9EllbEEZZNS1_14partition_implILS5_9ELb0ES3_jPKlN6thrust23THRUST_200600_302600_NS17counting_iteratorIlNSB_11use_defaultESD_SD_EEPNS0_10empty_typeENS0_5tupleIJPlSF_EEENSH_IJSI_SG_EEENS0_18inequality_wrapperIN6hipcub16HIPCUB_304000_NS8EqualityEEESI_JSF_EEE10hipError_tPvRmT3_T4_T5_T6_T7_T9_mT8_P12ihipStream_tbDpT10_ENKUlT_T0_E_clISt17integral_constantIbLb0EES19_EEDaS14_S15_EUlS14_E_NS1_11comp_targetILNS1_3genE3ELNS1_11target_archE908ELNS1_3gpuE7ELNS1_3repE0EEENS1_30default_config_static_selectorELNS0_4arch9wavefront6targetE0EEEvT1_
; %bb.0:
	.section	.rodata,"a",@progbits
	.p2align	6, 0x0
	.amdhsa_kernel _ZN7rocprim17ROCPRIM_400000_NS6detail17trampoline_kernelINS0_14default_configENS1_25partition_config_selectorILNS1_17partition_subalgoE9EllbEEZZNS1_14partition_implILS5_9ELb0ES3_jPKlN6thrust23THRUST_200600_302600_NS17counting_iteratorIlNSB_11use_defaultESD_SD_EEPNS0_10empty_typeENS0_5tupleIJPlSF_EEENSH_IJSI_SG_EEENS0_18inequality_wrapperIN6hipcub16HIPCUB_304000_NS8EqualityEEESI_JSF_EEE10hipError_tPvRmT3_T4_T5_T6_T7_T9_mT8_P12ihipStream_tbDpT10_ENKUlT_T0_E_clISt17integral_constantIbLb0EES19_EEDaS14_S15_EUlS14_E_NS1_11comp_targetILNS1_3genE3ELNS1_11target_archE908ELNS1_3gpuE7ELNS1_3repE0EEENS1_30default_config_static_selectorELNS0_4arch9wavefront6targetE0EEEvT1_
		.amdhsa_group_segment_fixed_size 0
		.amdhsa_private_segment_fixed_size 0
		.amdhsa_kernarg_size 112
		.amdhsa_user_sgpr_count 2
		.amdhsa_user_sgpr_dispatch_ptr 0
		.amdhsa_user_sgpr_queue_ptr 0
		.amdhsa_user_sgpr_kernarg_segment_ptr 1
		.amdhsa_user_sgpr_dispatch_id 0
		.amdhsa_user_sgpr_kernarg_preload_length 0
		.amdhsa_user_sgpr_kernarg_preload_offset 0
		.amdhsa_user_sgpr_private_segment_size 0
		.amdhsa_wavefront_size32 1
		.amdhsa_uses_dynamic_stack 0
		.amdhsa_enable_private_segment 0
		.amdhsa_system_sgpr_workgroup_id_x 1
		.amdhsa_system_sgpr_workgroup_id_y 0
		.amdhsa_system_sgpr_workgroup_id_z 0
		.amdhsa_system_sgpr_workgroup_info 0
		.amdhsa_system_vgpr_workitem_id 0
		.amdhsa_next_free_vgpr 1
		.amdhsa_next_free_sgpr 1
		.amdhsa_named_barrier_count 0
		.amdhsa_reserve_vcc 0
		.amdhsa_float_round_mode_32 0
		.amdhsa_float_round_mode_16_64 0
		.amdhsa_float_denorm_mode_32 3
		.amdhsa_float_denorm_mode_16_64 3
		.amdhsa_fp16_overflow 0
		.amdhsa_memory_ordered 1
		.amdhsa_forward_progress 1
		.amdhsa_inst_pref_size 0
		.amdhsa_round_robin_scheduling 0
		.amdhsa_exception_fp_ieee_invalid_op 0
		.amdhsa_exception_fp_denorm_src 0
		.amdhsa_exception_fp_ieee_div_zero 0
		.amdhsa_exception_fp_ieee_overflow 0
		.amdhsa_exception_fp_ieee_underflow 0
		.amdhsa_exception_fp_ieee_inexact 0
		.amdhsa_exception_int_div_zero 0
	.end_amdhsa_kernel
	.section	.text._ZN7rocprim17ROCPRIM_400000_NS6detail17trampoline_kernelINS0_14default_configENS1_25partition_config_selectorILNS1_17partition_subalgoE9EllbEEZZNS1_14partition_implILS5_9ELb0ES3_jPKlN6thrust23THRUST_200600_302600_NS17counting_iteratorIlNSB_11use_defaultESD_SD_EEPNS0_10empty_typeENS0_5tupleIJPlSF_EEENSH_IJSI_SG_EEENS0_18inequality_wrapperIN6hipcub16HIPCUB_304000_NS8EqualityEEESI_JSF_EEE10hipError_tPvRmT3_T4_T5_T6_T7_T9_mT8_P12ihipStream_tbDpT10_ENKUlT_T0_E_clISt17integral_constantIbLb0EES19_EEDaS14_S15_EUlS14_E_NS1_11comp_targetILNS1_3genE3ELNS1_11target_archE908ELNS1_3gpuE7ELNS1_3repE0EEENS1_30default_config_static_selectorELNS0_4arch9wavefront6targetE0EEEvT1_,"axG",@progbits,_ZN7rocprim17ROCPRIM_400000_NS6detail17trampoline_kernelINS0_14default_configENS1_25partition_config_selectorILNS1_17partition_subalgoE9EllbEEZZNS1_14partition_implILS5_9ELb0ES3_jPKlN6thrust23THRUST_200600_302600_NS17counting_iteratorIlNSB_11use_defaultESD_SD_EEPNS0_10empty_typeENS0_5tupleIJPlSF_EEENSH_IJSI_SG_EEENS0_18inequality_wrapperIN6hipcub16HIPCUB_304000_NS8EqualityEEESI_JSF_EEE10hipError_tPvRmT3_T4_T5_T6_T7_T9_mT8_P12ihipStream_tbDpT10_ENKUlT_T0_E_clISt17integral_constantIbLb0EES19_EEDaS14_S15_EUlS14_E_NS1_11comp_targetILNS1_3genE3ELNS1_11target_archE908ELNS1_3gpuE7ELNS1_3repE0EEENS1_30default_config_static_selectorELNS0_4arch9wavefront6targetE0EEEvT1_,comdat
.Lfunc_end47:
	.size	_ZN7rocprim17ROCPRIM_400000_NS6detail17trampoline_kernelINS0_14default_configENS1_25partition_config_selectorILNS1_17partition_subalgoE9EllbEEZZNS1_14partition_implILS5_9ELb0ES3_jPKlN6thrust23THRUST_200600_302600_NS17counting_iteratorIlNSB_11use_defaultESD_SD_EEPNS0_10empty_typeENS0_5tupleIJPlSF_EEENSH_IJSI_SG_EEENS0_18inequality_wrapperIN6hipcub16HIPCUB_304000_NS8EqualityEEESI_JSF_EEE10hipError_tPvRmT3_T4_T5_T6_T7_T9_mT8_P12ihipStream_tbDpT10_ENKUlT_T0_E_clISt17integral_constantIbLb0EES19_EEDaS14_S15_EUlS14_E_NS1_11comp_targetILNS1_3genE3ELNS1_11target_archE908ELNS1_3gpuE7ELNS1_3repE0EEENS1_30default_config_static_selectorELNS0_4arch9wavefront6targetE0EEEvT1_, .Lfunc_end47-_ZN7rocprim17ROCPRIM_400000_NS6detail17trampoline_kernelINS0_14default_configENS1_25partition_config_selectorILNS1_17partition_subalgoE9EllbEEZZNS1_14partition_implILS5_9ELb0ES3_jPKlN6thrust23THRUST_200600_302600_NS17counting_iteratorIlNSB_11use_defaultESD_SD_EEPNS0_10empty_typeENS0_5tupleIJPlSF_EEENSH_IJSI_SG_EEENS0_18inequality_wrapperIN6hipcub16HIPCUB_304000_NS8EqualityEEESI_JSF_EEE10hipError_tPvRmT3_T4_T5_T6_T7_T9_mT8_P12ihipStream_tbDpT10_ENKUlT_T0_E_clISt17integral_constantIbLb0EES19_EEDaS14_S15_EUlS14_E_NS1_11comp_targetILNS1_3genE3ELNS1_11target_archE908ELNS1_3gpuE7ELNS1_3repE0EEENS1_30default_config_static_selectorELNS0_4arch9wavefront6targetE0EEEvT1_
                                        ; -- End function
	.set _ZN7rocprim17ROCPRIM_400000_NS6detail17trampoline_kernelINS0_14default_configENS1_25partition_config_selectorILNS1_17partition_subalgoE9EllbEEZZNS1_14partition_implILS5_9ELb0ES3_jPKlN6thrust23THRUST_200600_302600_NS17counting_iteratorIlNSB_11use_defaultESD_SD_EEPNS0_10empty_typeENS0_5tupleIJPlSF_EEENSH_IJSI_SG_EEENS0_18inequality_wrapperIN6hipcub16HIPCUB_304000_NS8EqualityEEESI_JSF_EEE10hipError_tPvRmT3_T4_T5_T6_T7_T9_mT8_P12ihipStream_tbDpT10_ENKUlT_T0_E_clISt17integral_constantIbLb0EES19_EEDaS14_S15_EUlS14_E_NS1_11comp_targetILNS1_3genE3ELNS1_11target_archE908ELNS1_3gpuE7ELNS1_3repE0EEENS1_30default_config_static_selectorELNS0_4arch9wavefront6targetE0EEEvT1_.num_vgpr, 0
	.set _ZN7rocprim17ROCPRIM_400000_NS6detail17trampoline_kernelINS0_14default_configENS1_25partition_config_selectorILNS1_17partition_subalgoE9EllbEEZZNS1_14partition_implILS5_9ELb0ES3_jPKlN6thrust23THRUST_200600_302600_NS17counting_iteratorIlNSB_11use_defaultESD_SD_EEPNS0_10empty_typeENS0_5tupleIJPlSF_EEENSH_IJSI_SG_EEENS0_18inequality_wrapperIN6hipcub16HIPCUB_304000_NS8EqualityEEESI_JSF_EEE10hipError_tPvRmT3_T4_T5_T6_T7_T9_mT8_P12ihipStream_tbDpT10_ENKUlT_T0_E_clISt17integral_constantIbLb0EES19_EEDaS14_S15_EUlS14_E_NS1_11comp_targetILNS1_3genE3ELNS1_11target_archE908ELNS1_3gpuE7ELNS1_3repE0EEENS1_30default_config_static_selectorELNS0_4arch9wavefront6targetE0EEEvT1_.num_agpr, 0
	.set _ZN7rocprim17ROCPRIM_400000_NS6detail17trampoline_kernelINS0_14default_configENS1_25partition_config_selectorILNS1_17partition_subalgoE9EllbEEZZNS1_14partition_implILS5_9ELb0ES3_jPKlN6thrust23THRUST_200600_302600_NS17counting_iteratorIlNSB_11use_defaultESD_SD_EEPNS0_10empty_typeENS0_5tupleIJPlSF_EEENSH_IJSI_SG_EEENS0_18inequality_wrapperIN6hipcub16HIPCUB_304000_NS8EqualityEEESI_JSF_EEE10hipError_tPvRmT3_T4_T5_T6_T7_T9_mT8_P12ihipStream_tbDpT10_ENKUlT_T0_E_clISt17integral_constantIbLb0EES19_EEDaS14_S15_EUlS14_E_NS1_11comp_targetILNS1_3genE3ELNS1_11target_archE908ELNS1_3gpuE7ELNS1_3repE0EEENS1_30default_config_static_selectorELNS0_4arch9wavefront6targetE0EEEvT1_.numbered_sgpr, 0
	.set _ZN7rocprim17ROCPRIM_400000_NS6detail17trampoline_kernelINS0_14default_configENS1_25partition_config_selectorILNS1_17partition_subalgoE9EllbEEZZNS1_14partition_implILS5_9ELb0ES3_jPKlN6thrust23THRUST_200600_302600_NS17counting_iteratorIlNSB_11use_defaultESD_SD_EEPNS0_10empty_typeENS0_5tupleIJPlSF_EEENSH_IJSI_SG_EEENS0_18inequality_wrapperIN6hipcub16HIPCUB_304000_NS8EqualityEEESI_JSF_EEE10hipError_tPvRmT3_T4_T5_T6_T7_T9_mT8_P12ihipStream_tbDpT10_ENKUlT_T0_E_clISt17integral_constantIbLb0EES19_EEDaS14_S15_EUlS14_E_NS1_11comp_targetILNS1_3genE3ELNS1_11target_archE908ELNS1_3gpuE7ELNS1_3repE0EEENS1_30default_config_static_selectorELNS0_4arch9wavefront6targetE0EEEvT1_.num_named_barrier, 0
	.set _ZN7rocprim17ROCPRIM_400000_NS6detail17trampoline_kernelINS0_14default_configENS1_25partition_config_selectorILNS1_17partition_subalgoE9EllbEEZZNS1_14partition_implILS5_9ELb0ES3_jPKlN6thrust23THRUST_200600_302600_NS17counting_iteratorIlNSB_11use_defaultESD_SD_EEPNS0_10empty_typeENS0_5tupleIJPlSF_EEENSH_IJSI_SG_EEENS0_18inequality_wrapperIN6hipcub16HIPCUB_304000_NS8EqualityEEESI_JSF_EEE10hipError_tPvRmT3_T4_T5_T6_T7_T9_mT8_P12ihipStream_tbDpT10_ENKUlT_T0_E_clISt17integral_constantIbLb0EES19_EEDaS14_S15_EUlS14_E_NS1_11comp_targetILNS1_3genE3ELNS1_11target_archE908ELNS1_3gpuE7ELNS1_3repE0EEENS1_30default_config_static_selectorELNS0_4arch9wavefront6targetE0EEEvT1_.private_seg_size, 0
	.set _ZN7rocprim17ROCPRIM_400000_NS6detail17trampoline_kernelINS0_14default_configENS1_25partition_config_selectorILNS1_17partition_subalgoE9EllbEEZZNS1_14partition_implILS5_9ELb0ES3_jPKlN6thrust23THRUST_200600_302600_NS17counting_iteratorIlNSB_11use_defaultESD_SD_EEPNS0_10empty_typeENS0_5tupleIJPlSF_EEENSH_IJSI_SG_EEENS0_18inequality_wrapperIN6hipcub16HIPCUB_304000_NS8EqualityEEESI_JSF_EEE10hipError_tPvRmT3_T4_T5_T6_T7_T9_mT8_P12ihipStream_tbDpT10_ENKUlT_T0_E_clISt17integral_constantIbLb0EES19_EEDaS14_S15_EUlS14_E_NS1_11comp_targetILNS1_3genE3ELNS1_11target_archE908ELNS1_3gpuE7ELNS1_3repE0EEENS1_30default_config_static_selectorELNS0_4arch9wavefront6targetE0EEEvT1_.uses_vcc, 0
	.set _ZN7rocprim17ROCPRIM_400000_NS6detail17trampoline_kernelINS0_14default_configENS1_25partition_config_selectorILNS1_17partition_subalgoE9EllbEEZZNS1_14partition_implILS5_9ELb0ES3_jPKlN6thrust23THRUST_200600_302600_NS17counting_iteratorIlNSB_11use_defaultESD_SD_EEPNS0_10empty_typeENS0_5tupleIJPlSF_EEENSH_IJSI_SG_EEENS0_18inequality_wrapperIN6hipcub16HIPCUB_304000_NS8EqualityEEESI_JSF_EEE10hipError_tPvRmT3_T4_T5_T6_T7_T9_mT8_P12ihipStream_tbDpT10_ENKUlT_T0_E_clISt17integral_constantIbLb0EES19_EEDaS14_S15_EUlS14_E_NS1_11comp_targetILNS1_3genE3ELNS1_11target_archE908ELNS1_3gpuE7ELNS1_3repE0EEENS1_30default_config_static_selectorELNS0_4arch9wavefront6targetE0EEEvT1_.uses_flat_scratch, 0
	.set _ZN7rocprim17ROCPRIM_400000_NS6detail17trampoline_kernelINS0_14default_configENS1_25partition_config_selectorILNS1_17partition_subalgoE9EllbEEZZNS1_14partition_implILS5_9ELb0ES3_jPKlN6thrust23THRUST_200600_302600_NS17counting_iteratorIlNSB_11use_defaultESD_SD_EEPNS0_10empty_typeENS0_5tupleIJPlSF_EEENSH_IJSI_SG_EEENS0_18inequality_wrapperIN6hipcub16HIPCUB_304000_NS8EqualityEEESI_JSF_EEE10hipError_tPvRmT3_T4_T5_T6_T7_T9_mT8_P12ihipStream_tbDpT10_ENKUlT_T0_E_clISt17integral_constantIbLb0EES19_EEDaS14_S15_EUlS14_E_NS1_11comp_targetILNS1_3genE3ELNS1_11target_archE908ELNS1_3gpuE7ELNS1_3repE0EEENS1_30default_config_static_selectorELNS0_4arch9wavefront6targetE0EEEvT1_.has_dyn_sized_stack, 0
	.set _ZN7rocprim17ROCPRIM_400000_NS6detail17trampoline_kernelINS0_14default_configENS1_25partition_config_selectorILNS1_17partition_subalgoE9EllbEEZZNS1_14partition_implILS5_9ELb0ES3_jPKlN6thrust23THRUST_200600_302600_NS17counting_iteratorIlNSB_11use_defaultESD_SD_EEPNS0_10empty_typeENS0_5tupleIJPlSF_EEENSH_IJSI_SG_EEENS0_18inequality_wrapperIN6hipcub16HIPCUB_304000_NS8EqualityEEESI_JSF_EEE10hipError_tPvRmT3_T4_T5_T6_T7_T9_mT8_P12ihipStream_tbDpT10_ENKUlT_T0_E_clISt17integral_constantIbLb0EES19_EEDaS14_S15_EUlS14_E_NS1_11comp_targetILNS1_3genE3ELNS1_11target_archE908ELNS1_3gpuE7ELNS1_3repE0EEENS1_30default_config_static_selectorELNS0_4arch9wavefront6targetE0EEEvT1_.has_recursion, 0
	.set _ZN7rocprim17ROCPRIM_400000_NS6detail17trampoline_kernelINS0_14default_configENS1_25partition_config_selectorILNS1_17partition_subalgoE9EllbEEZZNS1_14partition_implILS5_9ELb0ES3_jPKlN6thrust23THRUST_200600_302600_NS17counting_iteratorIlNSB_11use_defaultESD_SD_EEPNS0_10empty_typeENS0_5tupleIJPlSF_EEENSH_IJSI_SG_EEENS0_18inequality_wrapperIN6hipcub16HIPCUB_304000_NS8EqualityEEESI_JSF_EEE10hipError_tPvRmT3_T4_T5_T6_T7_T9_mT8_P12ihipStream_tbDpT10_ENKUlT_T0_E_clISt17integral_constantIbLb0EES19_EEDaS14_S15_EUlS14_E_NS1_11comp_targetILNS1_3genE3ELNS1_11target_archE908ELNS1_3gpuE7ELNS1_3repE0EEENS1_30default_config_static_selectorELNS0_4arch9wavefront6targetE0EEEvT1_.has_indirect_call, 0
	.section	.AMDGPU.csdata,"",@progbits
; Kernel info:
; codeLenInByte = 0
; TotalNumSgprs: 0
; NumVgprs: 0
; ScratchSize: 0
; MemoryBound: 0
; FloatMode: 240
; IeeeMode: 1
; LDSByteSize: 0 bytes/workgroup (compile time only)
; SGPRBlocks: 0
; VGPRBlocks: 0
; NumSGPRsForWavesPerEU: 1
; NumVGPRsForWavesPerEU: 1
; NamedBarCnt: 0
; Occupancy: 16
; WaveLimiterHint : 0
; COMPUTE_PGM_RSRC2:SCRATCH_EN: 0
; COMPUTE_PGM_RSRC2:USER_SGPR: 2
; COMPUTE_PGM_RSRC2:TRAP_HANDLER: 0
; COMPUTE_PGM_RSRC2:TGID_X_EN: 1
; COMPUTE_PGM_RSRC2:TGID_Y_EN: 0
; COMPUTE_PGM_RSRC2:TGID_Z_EN: 0
; COMPUTE_PGM_RSRC2:TIDIG_COMP_CNT: 0
	.section	.text._ZN7rocprim17ROCPRIM_400000_NS6detail17trampoline_kernelINS0_14default_configENS1_25partition_config_selectorILNS1_17partition_subalgoE9EllbEEZZNS1_14partition_implILS5_9ELb0ES3_jPKlN6thrust23THRUST_200600_302600_NS17counting_iteratorIlNSB_11use_defaultESD_SD_EEPNS0_10empty_typeENS0_5tupleIJPlSF_EEENSH_IJSI_SG_EEENS0_18inequality_wrapperIN6hipcub16HIPCUB_304000_NS8EqualityEEESI_JSF_EEE10hipError_tPvRmT3_T4_T5_T6_T7_T9_mT8_P12ihipStream_tbDpT10_ENKUlT_T0_E_clISt17integral_constantIbLb0EES19_EEDaS14_S15_EUlS14_E_NS1_11comp_targetILNS1_3genE2ELNS1_11target_archE906ELNS1_3gpuE6ELNS1_3repE0EEENS1_30default_config_static_selectorELNS0_4arch9wavefront6targetE0EEEvT1_,"axG",@progbits,_ZN7rocprim17ROCPRIM_400000_NS6detail17trampoline_kernelINS0_14default_configENS1_25partition_config_selectorILNS1_17partition_subalgoE9EllbEEZZNS1_14partition_implILS5_9ELb0ES3_jPKlN6thrust23THRUST_200600_302600_NS17counting_iteratorIlNSB_11use_defaultESD_SD_EEPNS0_10empty_typeENS0_5tupleIJPlSF_EEENSH_IJSI_SG_EEENS0_18inequality_wrapperIN6hipcub16HIPCUB_304000_NS8EqualityEEESI_JSF_EEE10hipError_tPvRmT3_T4_T5_T6_T7_T9_mT8_P12ihipStream_tbDpT10_ENKUlT_T0_E_clISt17integral_constantIbLb0EES19_EEDaS14_S15_EUlS14_E_NS1_11comp_targetILNS1_3genE2ELNS1_11target_archE906ELNS1_3gpuE6ELNS1_3repE0EEENS1_30default_config_static_selectorELNS0_4arch9wavefront6targetE0EEEvT1_,comdat
	.protected	_ZN7rocprim17ROCPRIM_400000_NS6detail17trampoline_kernelINS0_14default_configENS1_25partition_config_selectorILNS1_17partition_subalgoE9EllbEEZZNS1_14partition_implILS5_9ELb0ES3_jPKlN6thrust23THRUST_200600_302600_NS17counting_iteratorIlNSB_11use_defaultESD_SD_EEPNS0_10empty_typeENS0_5tupleIJPlSF_EEENSH_IJSI_SG_EEENS0_18inequality_wrapperIN6hipcub16HIPCUB_304000_NS8EqualityEEESI_JSF_EEE10hipError_tPvRmT3_T4_T5_T6_T7_T9_mT8_P12ihipStream_tbDpT10_ENKUlT_T0_E_clISt17integral_constantIbLb0EES19_EEDaS14_S15_EUlS14_E_NS1_11comp_targetILNS1_3genE2ELNS1_11target_archE906ELNS1_3gpuE6ELNS1_3repE0EEENS1_30default_config_static_selectorELNS0_4arch9wavefront6targetE0EEEvT1_ ; -- Begin function _ZN7rocprim17ROCPRIM_400000_NS6detail17trampoline_kernelINS0_14default_configENS1_25partition_config_selectorILNS1_17partition_subalgoE9EllbEEZZNS1_14partition_implILS5_9ELb0ES3_jPKlN6thrust23THRUST_200600_302600_NS17counting_iteratorIlNSB_11use_defaultESD_SD_EEPNS0_10empty_typeENS0_5tupleIJPlSF_EEENSH_IJSI_SG_EEENS0_18inequality_wrapperIN6hipcub16HIPCUB_304000_NS8EqualityEEESI_JSF_EEE10hipError_tPvRmT3_T4_T5_T6_T7_T9_mT8_P12ihipStream_tbDpT10_ENKUlT_T0_E_clISt17integral_constantIbLb0EES19_EEDaS14_S15_EUlS14_E_NS1_11comp_targetILNS1_3genE2ELNS1_11target_archE906ELNS1_3gpuE6ELNS1_3repE0EEENS1_30default_config_static_selectorELNS0_4arch9wavefront6targetE0EEEvT1_
	.globl	_ZN7rocprim17ROCPRIM_400000_NS6detail17trampoline_kernelINS0_14default_configENS1_25partition_config_selectorILNS1_17partition_subalgoE9EllbEEZZNS1_14partition_implILS5_9ELb0ES3_jPKlN6thrust23THRUST_200600_302600_NS17counting_iteratorIlNSB_11use_defaultESD_SD_EEPNS0_10empty_typeENS0_5tupleIJPlSF_EEENSH_IJSI_SG_EEENS0_18inequality_wrapperIN6hipcub16HIPCUB_304000_NS8EqualityEEESI_JSF_EEE10hipError_tPvRmT3_T4_T5_T6_T7_T9_mT8_P12ihipStream_tbDpT10_ENKUlT_T0_E_clISt17integral_constantIbLb0EES19_EEDaS14_S15_EUlS14_E_NS1_11comp_targetILNS1_3genE2ELNS1_11target_archE906ELNS1_3gpuE6ELNS1_3repE0EEENS1_30default_config_static_selectorELNS0_4arch9wavefront6targetE0EEEvT1_
	.p2align	8
	.type	_ZN7rocprim17ROCPRIM_400000_NS6detail17trampoline_kernelINS0_14default_configENS1_25partition_config_selectorILNS1_17partition_subalgoE9EllbEEZZNS1_14partition_implILS5_9ELb0ES3_jPKlN6thrust23THRUST_200600_302600_NS17counting_iteratorIlNSB_11use_defaultESD_SD_EEPNS0_10empty_typeENS0_5tupleIJPlSF_EEENSH_IJSI_SG_EEENS0_18inequality_wrapperIN6hipcub16HIPCUB_304000_NS8EqualityEEESI_JSF_EEE10hipError_tPvRmT3_T4_T5_T6_T7_T9_mT8_P12ihipStream_tbDpT10_ENKUlT_T0_E_clISt17integral_constantIbLb0EES19_EEDaS14_S15_EUlS14_E_NS1_11comp_targetILNS1_3genE2ELNS1_11target_archE906ELNS1_3gpuE6ELNS1_3repE0EEENS1_30default_config_static_selectorELNS0_4arch9wavefront6targetE0EEEvT1_,@function
_ZN7rocprim17ROCPRIM_400000_NS6detail17trampoline_kernelINS0_14default_configENS1_25partition_config_selectorILNS1_17partition_subalgoE9EllbEEZZNS1_14partition_implILS5_9ELb0ES3_jPKlN6thrust23THRUST_200600_302600_NS17counting_iteratorIlNSB_11use_defaultESD_SD_EEPNS0_10empty_typeENS0_5tupleIJPlSF_EEENSH_IJSI_SG_EEENS0_18inequality_wrapperIN6hipcub16HIPCUB_304000_NS8EqualityEEESI_JSF_EEE10hipError_tPvRmT3_T4_T5_T6_T7_T9_mT8_P12ihipStream_tbDpT10_ENKUlT_T0_E_clISt17integral_constantIbLb0EES19_EEDaS14_S15_EUlS14_E_NS1_11comp_targetILNS1_3genE2ELNS1_11target_archE906ELNS1_3gpuE6ELNS1_3repE0EEENS1_30default_config_static_selectorELNS0_4arch9wavefront6targetE0EEEvT1_: ; @_ZN7rocprim17ROCPRIM_400000_NS6detail17trampoline_kernelINS0_14default_configENS1_25partition_config_selectorILNS1_17partition_subalgoE9EllbEEZZNS1_14partition_implILS5_9ELb0ES3_jPKlN6thrust23THRUST_200600_302600_NS17counting_iteratorIlNSB_11use_defaultESD_SD_EEPNS0_10empty_typeENS0_5tupleIJPlSF_EEENSH_IJSI_SG_EEENS0_18inequality_wrapperIN6hipcub16HIPCUB_304000_NS8EqualityEEESI_JSF_EEE10hipError_tPvRmT3_T4_T5_T6_T7_T9_mT8_P12ihipStream_tbDpT10_ENKUlT_T0_E_clISt17integral_constantIbLb0EES19_EEDaS14_S15_EUlS14_E_NS1_11comp_targetILNS1_3genE2ELNS1_11target_archE906ELNS1_3gpuE6ELNS1_3repE0EEENS1_30default_config_static_selectorELNS0_4arch9wavefront6targetE0EEEvT1_
; %bb.0:
	.section	.rodata,"a",@progbits
	.p2align	6, 0x0
	.amdhsa_kernel _ZN7rocprim17ROCPRIM_400000_NS6detail17trampoline_kernelINS0_14default_configENS1_25partition_config_selectorILNS1_17partition_subalgoE9EllbEEZZNS1_14partition_implILS5_9ELb0ES3_jPKlN6thrust23THRUST_200600_302600_NS17counting_iteratorIlNSB_11use_defaultESD_SD_EEPNS0_10empty_typeENS0_5tupleIJPlSF_EEENSH_IJSI_SG_EEENS0_18inequality_wrapperIN6hipcub16HIPCUB_304000_NS8EqualityEEESI_JSF_EEE10hipError_tPvRmT3_T4_T5_T6_T7_T9_mT8_P12ihipStream_tbDpT10_ENKUlT_T0_E_clISt17integral_constantIbLb0EES19_EEDaS14_S15_EUlS14_E_NS1_11comp_targetILNS1_3genE2ELNS1_11target_archE906ELNS1_3gpuE6ELNS1_3repE0EEENS1_30default_config_static_selectorELNS0_4arch9wavefront6targetE0EEEvT1_
		.amdhsa_group_segment_fixed_size 0
		.amdhsa_private_segment_fixed_size 0
		.amdhsa_kernarg_size 112
		.amdhsa_user_sgpr_count 2
		.amdhsa_user_sgpr_dispatch_ptr 0
		.amdhsa_user_sgpr_queue_ptr 0
		.amdhsa_user_sgpr_kernarg_segment_ptr 1
		.amdhsa_user_sgpr_dispatch_id 0
		.amdhsa_user_sgpr_kernarg_preload_length 0
		.amdhsa_user_sgpr_kernarg_preload_offset 0
		.amdhsa_user_sgpr_private_segment_size 0
		.amdhsa_wavefront_size32 1
		.amdhsa_uses_dynamic_stack 0
		.amdhsa_enable_private_segment 0
		.amdhsa_system_sgpr_workgroup_id_x 1
		.amdhsa_system_sgpr_workgroup_id_y 0
		.amdhsa_system_sgpr_workgroup_id_z 0
		.amdhsa_system_sgpr_workgroup_info 0
		.amdhsa_system_vgpr_workitem_id 0
		.amdhsa_next_free_vgpr 1
		.amdhsa_next_free_sgpr 1
		.amdhsa_named_barrier_count 0
		.amdhsa_reserve_vcc 0
		.amdhsa_float_round_mode_32 0
		.amdhsa_float_round_mode_16_64 0
		.amdhsa_float_denorm_mode_32 3
		.amdhsa_float_denorm_mode_16_64 3
		.amdhsa_fp16_overflow 0
		.amdhsa_memory_ordered 1
		.amdhsa_forward_progress 1
		.amdhsa_inst_pref_size 0
		.amdhsa_round_robin_scheduling 0
		.amdhsa_exception_fp_ieee_invalid_op 0
		.amdhsa_exception_fp_denorm_src 0
		.amdhsa_exception_fp_ieee_div_zero 0
		.amdhsa_exception_fp_ieee_overflow 0
		.amdhsa_exception_fp_ieee_underflow 0
		.amdhsa_exception_fp_ieee_inexact 0
		.amdhsa_exception_int_div_zero 0
	.end_amdhsa_kernel
	.section	.text._ZN7rocprim17ROCPRIM_400000_NS6detail17trampoline_kernelINS0_14default_configENS1_25partition_config_selectorILNS1_17partition_subalgoE9EllbEEZZNS1_14partition_implILS5_9ELb0ES3_jPKlN6thrust23THRUST_200600_302600_NS17counting_iteratorIlNSB_11use_defaultESD_SD_EEPNS0_10empty_typeENS0_5tupleIJPlSF_EEENSH_IJSI_SG_EEENS0_18inequality_wrapperIN6hipcub16HIPCUB_304000_NS8EqualityEEESI_JSF_EEE10hipError_tPvRmT3_T4_T5_T6_T7_T9_mT8_P12ihipStream_tbDpT10_ENKUlT_T0_E_clISt17integral_constantIbLb0EES19_EEDaS14_S15_EUlS14_E_NS1_11comp_targetILNS1_3genE2ELNS1_11target_archE906ELNS1_3gpuE6ELNS1_3repE0EEENS1_30default_config_static_selectorELNS0_4arch9wavefront6targetE0EEEvT1_,"axG",@progbits,_ZN7rocprim17ROCPRIM_400000_NS6detail17trampoline_kernelINS0_14default_configENS1_25partition_config_selectorILNS1_17partition_subalgoE9EllbEEZZNS1_14partition_implILS5_9ELb0ES3_jPKlN6thrust23THRUST_200600_302600_NS17counting_iteratorIlNSB_11use_defaultESD_SD_EEPNS0_10empty_typeENS0_5tupleIJPlSF_EEENSH_IJSI_SG_EEENS0_18inequality_wrapperIN6hipcub16HIPCUB_304000_NS8EqualityEEESI_JSF_EEE10hipError_tPvRmT3_T4_T5_T6_T7_T9_mT8_P12ihipStream_tbDpT10_ENKUlT_T0_E_clISt17integral_constantIbLb0EES19_EEDaS14_S15_EUlS14_E_NS1_11comp_targetILNS1_3genE2ELNS1_11target_archE906ELNS1_3gpuE6ELNS1_3repE0EEENS1_30default_config_static_selectorELNS0_4arch9wavefront6targetE0EEEvT1_,comdat
.Lfunc_end48:
	.size	_ZN7rocprim17ROCPRIM_400000_NS6detail17trampoline_kernelINS0_14default_configENS1_25partition_config_selectorILNS1_17partition_subalgoE9EllbEEZZNS1_14partition_implILS5_9ELb0ES3_jPKlN6thrust23THRUST_200600_302600_NS17counting_iteratorIlNSB_11use_defaultESD_SD_EEPNS0_10empty_typeENS0_5tupleIJPlSF_EEENSH_IJSI_SG_EEENS0_18inequality_wrapperIN6hipcub16HIPCUB_304000_NS8EqualityEEESI_JSF_EEE10hipError_tPvRmT3_T4_T5_T6_T7_T9_mT8_P12ihipStream_tbDpT10_ENKUlT_T0_E_clISt17integral_constantIbLb0EES19_EEDaS14_S15_EUlS14_E_NS1_11comp_targetILNS1_3genE2ELNS1_11target_archE906ELNS1_3gpuE6ELNS1_3repE0EEENS1_30default_config_static_selectorELNS0_4arch9wavefront6targetE0EEEvT1_, .Lfunc_end48-_ZN7rocprim17ROCPRIM_400000_NS6detail17trampoline_kernelINS0_14default_configENS1_25partition_config_selectorILNS1_17partition_subalgoE9EllbEEZZNS1_14partition_implILS5_9ELb0ES3_jPKlN6thrust23THRUST_200600_302600_NS17counting_iteratorIlNSB_11use_defaultESD_SD_EEPNS0_10empty_typeENS0_5tupleIJPlSF_EEENSH_IJSI_SG_EEENS0_18inequality_wrapperIN6hipcub16HIPCUB_304000_NS8EqualityEEESI_JSF_EEE10hipError_tPvRmT3_T4_T5_T6_T7_T9_mT8_P12ihipStream_tbDpT10_ENKUlT_T0_E_clISt17integral_constantIbLb0EES19_EEDaS14_S15_EUlS14_E_NS1_11comp_targetILNS1_3genE2ELNS1_11target_archE906ELNS1_3gpuE6ELNS1_3repE0EEENS1_30default_config_static_selectorELNS0_4arch9wavefront6targetE0EEEvT1_
                                        ; -- End function
	.set _ZN7rocprim17ROCPRIM_400000_NS6detail17trampoline_kernelINS0_14default_configENS1_25partition_config_selectorILNS1_17partition_subalgoE9EllbEEZZNS1_14partition_implILS5_9ELb0ES3_jPKlN6thrust23THRUST_200600_302600_NS17counting_iteratorIlNSB_11use_defaultESD_SD_EEPNS0_10empty_typeENS0_5tupleIJPlSF_EEENSH_IJSI_SG_EEENS0_18inequality_wrapperIN6hipcub16HIPCUB_304000_NS8EqualityEEESI_JSF_EEE10hipError_tPvRmT3_T4_T5_T6_T7_T9_mT8_P12ihipStream_tbDpT10_ENKUlT_T0_E_clISt17integral_constantIbLb0EES19_EEDaS14_S15_EUlS14_E_NS1_11comp_targetILNS1_3genE2ELNS1_11target_archE906ELNS1_3gpuE6ELNS1_3repE0EEENS1_30default_config_static_selectorELNS0_4arch9wavefront6targetE0EEEvT1_.num_vgpr, 0
	.set _ZN7rocprim17ROCPRIM_400000_NS6detail17trampoline_kernelINS0_14default_configENS1_25partition_config_selectorILNS1_17partition_subalgoE9EllbEEZZNS1_14partition_implILS5_9ELb0ES3_jPKlN6thrust23THRUST_200600_302600_NS17counting_iteratorIlNSB_11use_defaultESD_SD_EEPNS0_10empty_typeENS0_5tupleIJPlSF_EEENSH_IJSI_SG_EEENS0_18inequality_wrapperIN6hipcub16HIPCUB_304000_NS8EqualityEEESI_JSF_EEE10hipError_tPvRmT3_T4_T5_T6_T7_T9_mT8_P12ihipStream_tbDpT10_ENKUlT_T0_E_clISt17integral_constantIbLb0EES19_EEDaS14_S15_EUlS14_E_NS1_11comp_targetILNS1_3genE2ELNS1_11target_archE906ELNS1_3gpuE6ELNS1_3repE0EEENS1_30default_config_static_selectorELNS0_4arch9wavefront6targetE0EEEvT1_.num_agpr, 0
	.set _ZN7rocprim17ROCPRIM_400000_NS6detail17trampoline_kernelINS0_14default_configENS1_25partition_config_selectorILNS1_17partition_subalgoE9EllbEEZZNS1_14partition_implILS5_9ELb0ES3_jPKlN6thrust23THRUST_200600_302600_NS17counting_iteratorIlNSB_11use_defaultESD_SD_EEPNS0_10empty_typeENS0_5tupleIJPlSF_EEENSH_IJSI_SG_EEENS0_18inequality_wrapperIN6hipcub16HIPCUB_304000_NS8EqualityEEESI_JSF_EEE10hipError_tPvRmT3_T4_T5_T6_T7_T9_mT8_P12ihipStream_tbDpT10_ENKUlT_T0_E_clISt17integral_constantIbLb0EES19_EEDaS14_S15_EUlS14_E_NS1_11comp_targetILNS1_3genE2ELNS1_11target_archE906ELNS1_3gpuE6ELNS1_3repE0EEENS1_30default_config_static_selectorELNS0_4arch9wavefront6targetE0EEEvT1_.numbered_sgpr, 0
	.set _ZN7rocprim17ROCPRIM_400000_NS6detail17trampoline_kernelINS0_14default_configENS1_25partition_config_selectorILNS1_17partition_subalgoE9EllbEEZZNS1_14partition_implILS5_9ELb0ES3_jPKlN6thrust23THRUST_200600_302600_NS17counting_iteratorIlNSB_11use_defaultESD_SD_EEPNS0_10empty_typeENS0_5tupleIJPlSF_EEENSH_IJSI_SG_EEENS0_18inequality_wrapperIN6hipcub16HIPCUB_304000_NS8EqualityEEESI_JSF_EEE10hipError_tPvRmT3_T4_T5_T6_T7_T9_mT8_P12ihipStream_tbDpT10_ENKUlT_T0_E_clISt17integral_constantIbLb0EES19_EEDaS14_S15_EUlS14_E_NS1_11comp_targetILNS1_3genE2ELNS1_11target_archE906ELNS1_3gpuE6ELNS1_3repE0EEENS1_30default_config_static_selectorELNS0_4arch9wavefront6targetE0EEEvT1_.num_named_barrier, 0
	.set _ZN7rocprim17ROCPRIM_400000_NS6detail17trampoline_kernelINS0_14default_configENS1_25partition_config_selectorILNS1_17partition_subalgoE9EllbEEZZNS1_14partition_implILS5_9ELb0ES3_jPKlN6thrust23THRUST_200600_302600_NS17counting_iteratorIlNSB_11use_defaultESD_SD_EEPNS0_10empty_typeENS0_5tupleIJPlSF_EEENSH_IJSI_SG_EEENS0_18inequality_wrapperIN6hipcub16HIPCUB_304000_NS8EqualityEEESI_JSF_EEE10hipError_tPvRmT3_T4_T5_T6_T7_T9_mT8_P12ihipStream_tbDpT10_ENKUlT_T0_E_clISt17integral_constantIbLb0EES19_EEDaS14_S15_EUlS14_E_NS1_11comp_targetILNS1_3genE2ELNS1_11target_archE906ELNS1_3gpuE6ELNS1_3repE0EEENS1_30default_config_static_selectorELNS0_4arch9wavefront6targetE0EEEvT1_.private_seg_size, 0
	.set _ZN7rocprim17ROCPRIM_400000_NS6detail17trampoline_kernelINS0_14default_configENS1_25partition_config_selectorILNS1_17partition_subalgoE9EllbEEZZNS1_14partition_implILS5_9ELb0ES3_jPKlN6thrust23THRUST_200600_302600_NS17counting_iteratorIlNSB_11use_defaultESD_SD_EEPNS0_10empty_typeENS0_5tupleIJPlSF_EEENSH_IJSI_SG_EEENS0_18inequality_wrapperIN6hipcub16HIPCUB_304000_NS8EqualityEEESI_JSF_EEE10hipError_tPvRmT3_T4_T5_T6_T7_T9_mT8_P12ihipStream_tbDpT10_ENKUlT_T0_E_clISt17integral_constantIbLb0EES19_EEDaS14_S15_EUlS14_E_NS1_11comp_targetILNS1_3genE2ELNS1_11target_archE906ELNS1_3gpuE6ELNS1_3repE0EEENS1_30default_config_static_selectorELNS0_4arch9wavefront6targetE0EEEvT1_.uses_vcc, 0
	.set _ZN7rocprim17ROCPRIM_400000_NS6detail17trampoline_kernelINS0_14default_configENS1_25partition_config_selectorILNS1_17partition_subalgoE9EllbEEZZNS1_14partition_implILS5_9ELb0ES3_jPKlN6thrust23THRUST_200600_302600_NS17counting_iteratorIlNSB_11use_defaultESD_SD_EEPNS0_10empty_typeENS0_5tupleIJPlSF_EEENSH_IJSI_SG_EEENS0_18inequality_wrapperIN6hipcub16HIPCUB_304000_NS8EqualityEEESI_JSF_EEE10hipError_tPvRmT3_T4_T5_T6_T7_T9_mT8_P12ihipStream_tbDpT10_ENKUlT_T0_E_clISt17integral_constantIbLb0EES19_EEDaS14_S15_EUlS14_E_NS1_11comp_targetILNS1_3genE2ELNS1_11target_archE906ELNS1_3gpuE6ELNS1_3repE0EEENS1_30default_config_static_selectorELNS0_4arch9wavefront6targetE0EEEvT1_.uses_flat_scratch, 0
	.set _ZN7rocprim17ROCPRIM_400000_NS6detail17trampoline_kernelINS0_14default_configENS1_25partition_config_selectorILNS1_17partition_subalgoE9EllbEEZZNS1_14partition_implILS5_9ELb0ES3_jPKlN6thrust23THRUST_200600_302600_NS17counting_iteratorIlNSB_11use_defaultESD_SD_EEPNS0_10empty_typeENS0_5tupleIJPlSF_EEENSH_IJSI_SG_EEENS0_18inequality_wrapperIN6hipcub16HIPCUB_304000_NS8EqualityEEESI_JSF_EEE10hipError_tPvRmT3_T4_T5_T6_T7_T9_mT8_P12ihipStream_tbDpT10_ENKUlT_T0_E_clISt17integral_constantIbLb0EES19_EEDaS14_S15_EUlS14_E_NS1_11comp_targetILNS1_3genE2ELNS1_11target_archE906ELNS1_3gpuE6ELNS1_3repE0EEENS1_30default_config_static_selectorELNS0_4arch9wavefront6targetE0EEEvT1_.has_dyn_sized_stack, 0
	.set _ZN7rocprim17ROCPRIM_400000_NS6detail17trampoline_kernelINS0_14default_configENS1_25partition_config_selectorILNS1_17partition_subalgoE9EllbEEZZNS1_14partition_implILS5_9ELb0ES3_jPKlN6thrust23THRUST_200600_302600_NS17counting_iteratorIlNSB_11use_defaultESD_SD_EEPNS0_10empty_typeENS0_5tupleIJPlSF_EEENSH_IJSI_SG_EEENS0_18inequality_wrapperIN6hipcub16HIPCUB_304000_NS8EqualityEEESI_JSF_EEE10hipError_tPvRmT3_T4_T5_T6_T7_T9_mT8_P12ihipStream_tbDpT10_ENKUlT_T0_E_clISt17integral_constantIbLb0EES19_EEDaS14_S15_EUlS14_E_NS1_11comp_targetILNS1_3genE2ELNS1_11target_archE906ELNS1_3gpuE6ELNS1_3repE0EEENS1_30default_config_static_selectorELNS0_4arch9wavefront6targetE0EEEvT1_.has_recursion, 0
	.set _ZN7rocprim17ROCPRIM_400000_NS6detail17trampoline_kernelINS0_14default_configENS1_25partition_config_selectorILNS1_17partition_subalgoE9EllbEEZZNS1_14partition_implILS5_9ELb0ES3_jPKlN6thrust23THRUST_200600_302600_NS17counting_iteratorIlNSB_11use_defaultESD_SD_EEPNS0_10empty_typeENS0_5tupleIJPlSF_EEENSH_IJSI_SG_EEENS0_18inequality_wrapperIN6hipcub16HIPCUB_304000_NS8EqualityEEESI_JSF_EEE10hipError_tPvRmT3_T4_T5_T6_T7_T9_mT8_P12ihipStream_tbDpT10_ENKUlT_T0_E_clISt17integral_constantIbLb0EES19_EEDaS14_S15_EUlS14_E_NS1_11comp_targetILNS1_3genE2ELNS1_11target_archE906ELNS1_3gpuE6ELNS1_3repE0EEENS1_30default_config_static_selectorELNS0_4arch9wavefront6targetE0EEEvT1_.has_indirect_call, 0
	.section	.AMDGPU.csdata,"",@progbits
; Kernel info:
; codeLenInByte = 0
; TotalNumSgprs: 0
; NumVgprs: 0
; ScratchSize: 0
; MemoryBound: 0
; FloatMode: 240
; IeeeMode: 1
; LDSByteSize: 0 bytes/workgroup (compile time only)
; SGPRBlocks: 0
; VGPRBlocks: 0
; NumSGPRsForWavesPerEU: 1
; NumVGPRsForWavesPerEU: 1
; NamedBarCnt: 0
; Occupancy: 16
; WaveLimiterHint : 0
; COMPUTE_PGM_RSRC2:SCRATCH_EN: 0
; COMPUTE_PGM_RSRC2:USER_SGPR: 2
; COMPUTE_PGM_RSRC2:TRAP_HANDLER: 0
; COMPUTE_PGM_RSRC2:TGID_X_EN: 1
; COMPUTE_PGM_RSRC2:TGID_Y_EN: 0
; COMPUTE_PGM_RSRC2:TGID_Z_EN: 0
; COMPUTE_PGM_RSRC2:TIDIG_COMP_CNT: 0
	.section	.text._ZN7rocprim17ROCPRIM_400000_NS6detail17trampoline_kernelINS0_14default_configENS1_25partition_config_selectorILNS1_17partition_subalgoE9EllbEEZZNS1_14partition_implILS5_9ELb0ES3_jPKlN6thrust23THRUST_200600_302600_NS17counting_iteratorIlNSB_11use_defaultESD_SD_EEPNS0_10empty_typeENS0_5tupleIJPlSF_EEENSH_IJSI_SG_EEENS0_18inequality_wrapperIN6hipcub16HIPCUB_304000_NS8EqualityEEESI_JSF_EEE10hipError_tPvRmT3_T4_T5_T6_T7_T9_mT8_P12ihipStream_tbDpT10_ENKUlT_T0_E_clISt17integral_constantIbLb0EES19_EEDaS14_S15_EUlS14_E_NS1_11comp_targetILNS1_3genE10ELNS1_11target_archE1200ELNS1_3gpuE4ELNS1_3repE0EEENS1_30default_config_static_selectorELNS0_4arch9wavefront6targetE0EEEvT1_,"axG",@progbits,_ZN7rocprim17ROCPRIM_400000_NS6detail17trampoline_kernelINS0_14default_configENS1_25partition_config_selectorILNS1_17partition_subalgoE9EllbEEZZNS1_14partition_implILS5_9ELb0ES3_jPKlN6thrust23THRUST_200600_302600_NS17counting_iteratorIlNSB_11use_defaultESD_SD_EEPNS0_10empty_typeENS0_5tupleIJPlSF_EEENSH_IJSI_SG_EEENS0_18inequality_wrapperIN6hipcub16HIPCUB_304000_NS8EqualityEEESI_JSF_EEE10hipError_tPvRmT3_T4_T5_T6_T7_T9_mT8_P12ihipStream_tbDpT10_ENKUlT_T0_E_clISt17integral_constantIbLb0EES19_EEDaS14_S15_EUlS14_E_NS1_11comp_targetILNS1_3genE10ELNS1_11target_archE1200ELNS1_3gpuE4ELNS1_3repE0EEENS1_30default_config_static_selectorELNS0_4arch9wavefront6targetE0EEEvT1_,comdat
	.protected	_ZN7rocprim17ROCPRIM_400000_NS6detail17trampoline_kernelINS0_14default_configENS1_25partition_config_selectorILNS1_17partition_subalgoE9EllbEEZZNS1_14partition_implILS5_9ELb0ES3_jPKlN6thrust23THRUST_200600_302600_NS17counting_iteratorIlNSB_11use_defaultESD_SD_EEPNS0_10empty_typeENS0_5tupleIJPlSF_EEENSH_IJSI_SG_EEENS0_18inequality_wrapperIN6hipcub16HIPCUB_304000_NS8EqualityEEESI_JSF_EEE10hipError_tPvRmT3_T4_T5_T6_T7_T9_mT8_P12ihipStream_tbDpT10_ENKUlT_T0_E_clISt17integral_constantIbLb0EES19_EEDaS14_S15_EUlS14_E_NS1_11comp_targetILNS1_3genE10ELNS1_11target_archE1200ELNS1_3gpuE4ELNS1_3repE0EEENS1_30default_config_static_selectorELNS0_4arch9wavefront6targetE0EEEvT1_ ; -- Begin function _ZN7rocprim17ROCPRIM_400000_NS6detail17trampoline_kernelINS0_14default_configENS1_25partition_config_selectorILNS1_17partition_subalgoE9EllbEEZZNS1_14partition_implILS5_9ELb0ES3_jPKlN6thrust23THRUST_200600_302600_NS17counting_iteratorIlNSB_11use_defaultESD_SD_EEPNS0_10empty_typeENS0_5tupleIJPlSF_EEENSH_IJSI_SG_EEENS0_18inequality_wrapperIN6hipcub16HIPCUB_304000_NS8EqualityEEESI_JSF_EEE10hipError_tPvRmT3_T4_T5_T6_T7_T9_mT8_P12ihipStream_tbDpT10_ENKUlT_T0_E_clISt17integral_constantIbLb0EES19_EEDaS14_S15_EUlS14_E_NS1_11comp_targetILNS1_3genE10ELNS1_11target_archE1200ELNS1_3gpuE4ELNS1_3repE0EEENS1_30default_config_static_selectorELNS0_4arch9wavefront6targetE0EEEvT1_
	.globl	_ZN7rocprim17ROCPRIM_400000_NS6detail17trampoline_kernelINS0_14default_configENS1_25partition_config_selectorILNS1_17partition_subalgoE9EllbEEZZNS1_14partition_implILS5_9ELb0ES3_jPKlN6thrust23THRUST_200600_302600_NS17counting_iteratorIlNSB_11use_defaultESD_SD_EEPNS0_10empty_typeENS0_5tupleIJPlSF_EEENSH_IJSI_SG_EEENS0_18inequality_wrapperIN6hipcub16HIPCUB_304000_NS8EqualityEEESI_JSF_EEE10hipError_tPvRmT3_T4_T5_T6_T7_T9_mT8_P12ihipStream_tbDpT10_ENKUlT_T0_E_clISt17integral_constantIbLb0EES19_EEDaS14_S15_EUlS14_E_NS1_11comp_targetILNS1_3genE10ELNS1_11target_archE1200ELNS1_3gpuE4ELNS1_3repE0EEENS1_30default_config_static_selectorELNS0_4arch9wavefront6targetE0EEEvT1_
	.p2align	8
	.type	_ZN7rocprim17ROCPRIM_400000_NS6detail17trampoline_kernelINS0_14default_configENS1_25partition_config_selectorILNS1_17partition_subalgoE9EllbEEZZNS1_14partition_implILS5_9ELb0ES3_jPKlN6thrust23THRUST_200600_302600_NS17counting_iteratorIlNSB_11use_defaultESD_SD_EEPNS0_10empty_typeENS0_5tupleIJPlSF_EEENSH_IJSI_SG_EEENS0_18inequality_wrapperIN6hipcub16HIPCUB_304000_NS8EqualityEEESI_JSF_EEE10hipError_tPvRmT3_T4_T5_T6_T7_T9_mT8_P12ihipStream_tbDpT10_ENKUlT_T0_E_clISt17integral_constantIbLb0EES19_EEDaS14_S15_EUlS14_E_NS1_11comp_targetILNS1_3genE10ELNS1_11target_archE1200ELNS1_3gpuE4ELNS1_3repE0EEENS1_30default_config_static_selectorELNS0_4arch9wavefront6targetE0EEEvT1_,@function
_ZN7rocprim17ROCPRIM_400000_NS6detail17trampoline_kernelINS0_14default_configENS1_25partition_config_selectorILNS1_17partition_subalgoE9EllbEEZZNS1_14partition_implILS5_9ELb0ES3_jPKlN6thrust23THRUST_200600_302600_NS17counting_iteratorIlNSB_11use_defaultESD_SD_EEPNS0_10empty_typeENS0_5tupleIJPlSF_EEENSH_IJSI_SG_EEENS0_18inequality_wrapperIN6hipcub16HIPCUB_304000_NS8EqualityEEESI_JSF_EEE10hipError_tPvRmT3_T4_T5_T6_T7_T9_mT8_P12ihipStream_tbDpT10_ENKUlT_T0_E_clISt17integral_constantIbLb0EES19_EEDaS14_S15_EUlS14_E_NS1_11comp_targetILNS1_3genE10ELNS1_11target_archE1200ELNS1_3gpuE4ELNS1_3repE0EEENS1_30default_config_static_selectorELNS0_4arch9wavefront6targetE0EEEvT1_: ; @_ZN7rocprim17ROCPRIM_400000_NS6detail17trampoline_kernelINS0_14default_configENS1_25partition_config_selectorILNS1_17partition_subalgoE9EllbEEZZNS1_14partition_implILS5_9ELb0ES3_jPKlN6thrust23THRUST_200600_302600_NS17counting_iteratorIlNSB_11use_defaultESD_SD_EEPNS0_10empty_typeENS0_5tupleIJPlSF_EEENSH_IJSI_SG_EEENS0_18inequality_wrapperIN6hipcub16HIPCUB_304000_NS8EqualityEEESI_JSF_EEE10hipError_tPvRmT3_T4_T5_T6_T7_T9_mT8_P12ihipStream_tbDpT10_ENKUlT_T0_E_clISt17integral_constantIbLb0EES19_EEDaS14_S15_EUlS14_E_NS1_11comp_targetILNS1_3genE10ELNS1_11target_archE1200ELNS1_3gpuE4ELNS1_3repE0EEENS1_30default_config_static_selectorELNS0_4arch9wavefront6targetE0EEEvT1_
; %bb.0:
	.section	.rodata,"a",@progbits
	.p2align	6, 0x0
	.amdhsa_kernel _ZN7rocprim17ROCPRIM_400000_NS6detail17trampoline_kernelINS0_14default_configENS1_25partition_config_selectorILNS1_17partition_subalgoE9EllbEEZZNS1_14partition_implILS5_9ELb0ES3_jPKlN6thrust23THRUST_200600_302600_NS17counting_iteratorIlNSB_11use_defaultESD_SD_EEPNS0_10empty_typeENS0_5tupleIJPlSF_EEENSH_IJSI_SG_EEENS0_18inequality_wrapperIN6hipcub16HIPCUB_304000_NS8EqualityEEESI_JSF_EEE10hipError_tPvRmT3_T4_T5_T6_T7_T9_mT8_P12ihipStream_tbDpT10_ENKUlT_T0_E_clISt17integral_constantIbLb0EES19_EEDaS14_S15_EUlS14_E_NS1_11comp_targetILNS1_3genE10ELNS1_11target_archE1200ELNS1_3gpuE4ELNS1_3repE0EEENS1_30default_config_static_selectorELNS0_4arch9wavefront6targetE0EEEvT1_
		.amdhsa_group_segment_fixed_size 0
		.amdhsa_private_segment_fixed_size 0
		.amdhsa_kernarg_size 112
		.amdhsa_user_sgpr_count 2
		.amdhsa_user_sgpr_dispatch_ptr 0
		.amdhsa_user_sgpr_queue_ptr 0
		.amdhsa_user_sgpr_kernarg_segment_ptr 1
		.amdhsa_user_sgpr_dispatch_id 0
		.amdhsa_user_sgpr_kernarg_preload_length 0
		.amdhsa_user_sgpr_kernarg_preload_offset 0
		.amdhsa_user_sgpr_private_segment_size 0
		.amdhsa_wavefront_size32 1
		.amdhsa_uses_dynamic_stack 0
		.amdhsa_enable_private_segment 0
		.amdhsa_system_sgpr_workgroup_id_x 1
		.amdhsa_system_sgpr_workgroup_id_y 0
		.amdhsa_system_sgpr_workgroup_id_z 0
		.amdhsa_system_sgpr_workgroup_info 0
		.amdhsa_system_vgpr_workitem_id 0
		.amdhsa_next_free_vgpr 1
		.amdhsa_next_free_sgpr 1
		.amdhsa_named_barrier_count 0
		.amdhsa_reserve_vcc 0
		.amdhsa_float_round_mode_32 0
		.amdhsa_float_round_mode_16_64 0
		.amdhsa_float_denorm_mode_32 3
		.amdhsa_float_denorm_mode_16_64 3
		.amdhsa_fp16_overflow 0
		.amdhsa_memory_ordered 1
		.amdhsa_forward_progress 1
		.amdhsa_inst_pref_size 0
		.amdhsa_round_robin_scheduling 0
		.amdhsa_exception_fp_ieee_invalid_op 0
		.amdhsa_exception_fp_denorm_src 0
		.amdhsa_exception_fp_ieee_div_zero 0
		.amdhsa_exception_fp_ieee_overflow 0
		.amdhsa_exception_fp_ieee_underflow 0
		.amdhsa_exception_fp_ieee_inexact 0
		.amdhsa_exception_int_div_zero 0
	.end_amdhsa_kernel
	.section	.text._ZN7rocprim17ROCPRIM_400000_NS6detail17trampoline_kernelINS0_14default_configENS1_25partition_config_selectorILNS1_17partition_subalgoE9EllbEEZZNS1_14partition_implILS5_9ELb0ES3_jPKlN6thrust23THRUST_200600_302600_NS17counting_iteratorIlNSB_11use_defaultESD_SD_EEPNS0_10empty_typeENS0_5tupleIJPlSF_EEENSH_IJSI_SG_EEENS0_18inequality_wrapperIN6hipcub16HIPCUB_304000_NS8EqualityEEESI_JSF_EEE10hipError_tPvRmT3_T4_T5_T6_T7_T9_mT8_P12ihipStream_tbDpT10_ENKUlT_T0_E_clISt17integral_constantIbLb0EES19_EEDaS14_S15_EUlS14_E_NS1_11comp_targetILNS1_3genE10ELNS1_11target_archE1200ELNS1_3gpuE4ELNS1_3repE0EEENS1_30default_config_static_selectorELNS0_4arch9wavefront6targetE0EEEvT1_,"axG",@progbits,_ZN7rocprim17ROCPRIM_400000_NS6detail17trampoline_kernelINS0_14default_configENS1_25partition_config_selectorILNS1_17partition_subalgoE9EllbEEZZNS1_14partition_implILS5_9ELb0ES3_jPKlN6thrust23THRUST_200600_302600_NS17counting_iteratorIlNSB_11use_defaultESD_SD_EEPNS0_10empty_typeENS0_5tupleIJPlSF_EEENSH_IJSI_SG_EEENS0_18inequality_wrapperIN6hipcub16HIPCUB_304000_NS8EqualityEEESI_JSF_EEE10hipError_tPvRmT3_T4_T5_T6_T7_T9_mT8_P12ihipStream_tbDpT10_ENKUlT_T0_E_clISt17integral_constantIbLb0EES19_EEDaS14_S15_EUlS14_E_NS1_11comp_targetILNS1_3genE10ELNS1_11target_archE1200ELNS1_3gpuE4ELNS1_3repE0EEENS1_30default_config_static_selectorELNS0_4arch9wavefront6targetE0EEEvT1_,comdat
.Lfunc_end49:
	.size	_ZN7rocprim17ROCPRIM_400000_NS6detail17trampoline_kernelINS0_14default_configENS1_25partition_config_selectorILNS1_17partition_subalgoE9EllbEEZZNS1_14partition_implILS5_9ELb0ES3_jPKlN6thrust23THRUST_200600_302600_NS17counting_iteratorIlNSB_11use_defaultESD_SD_EEPNS0_10empty_typeENS0_5tupleIJPlSF_EEENSH_IJSI_SG_EEENS0_18inequality_wrapperIN6hipcub16HIPCUB_304000_NS8EqualityEEESI_JSF_EEE10hipError_tPvRmT3_T4_T5_T6_T7_T9_mT8_P12ihipStream_tbDpT10_ENKUlT_T0_E_clISt17integral_constantIbLb0EES19_EEDaS14_S15_EUlS14_E_NS1_11comp_targetILNS1_3genE10ELNS1_11target_archE1200ELNS1_3gpuE4ELNS1_3repE0EEENS1_30default_config_static_selectorELNS0_4arch9wavefront6targetE0EEEvT1_, .Lfunc_end49-_ZN7rocprim17ROCPRIM_400000_NS6detail17trampoline_kernelINS0_14default_configENS1_25partition_config_selectorILNS1_17partition_subalgoE9EllbEEZZNS1_14partition_implILS5_9ELb0ES3_jPKlN6thrust23THRUST_200600_302600_NS17counting_iteratorIlNSB_11use_defaultESD_SD_EEPNS0_10empty_typeENS0_5tupleIJPlSF_EEENSH_IJSI_SG_EEENS0_18inequality_wrapperIN6hipcub16HIPCUB_304000_NS8EqualityEEESI_JSF_EEE10hipError_tPvRmT3_T4_T5_T6_T7_T9_mT8_P12ihipStream_tbDpT10_ENKUlT_T0_E_clISt17integral_constantIbLb0EES19_EEDaS14_S15_EUlS14_E_NS1_11comp_targetILNS1_3genE10ELNS1_11target_archE1200ELNS1_3gpuE4ELNS1_3repE0EEENS1_30default_config_static_selectorELNS0_4arch9wavefront6targetE0EEEvT1_
                                        ; -- End function
	.set _ZN7rocprim17ROCPRIM_400000_NS6detail17trampoline_kernelINS0_14default_configENS1_25partition_config_selectorILNS1_17partition_subalgoE9EllbEEZZNS1_14partition_implILS5_9ELb0ES3_jPKlN6thrust23THRUST_200600_302600_NS17counting_iteratorIlNSB_11use_defaultESD_SD_EEPNS0_10empty_typeENS0_5tupleIJPlSF_EEENSH_IJSI_SG_EEENS0_18inequality_wrapperIN6hipcub16HIPCUB_304000_NS8EqualityEEESI_JSF_EEE10hipError_tPvRmT3_T4_T5_T6_T7_T9_mT8_P12ihipStream_tbDpT10_ENKUlT_T0_E_clISt17integral_constantIbLb0EES19_EEDaS14_S15_EUlS14_E_NS1_11comp_targetILNS1_3genE10ELNS1_11target_archE1200ELNS1_3gpuE4ELNS1_3repE0EEENS1_30default_config_static_selectorELNS0_4arch9wavefront6targetE0EEEvT1_.num_vgpr, 0
	.set _ZN7rocprim17ROCPRIM_400000_NS6detail17trampoline_kernelINS0_14default_configENS1_25partition_config_selectorILNS1_17partition_subalgoE9EllbEEZZNS1_14partition_implILS5_9ELb0ES3_jPKlN6thrust23THRUST_200600_302600_NS17counting_iteratorIlNSB_11use_defaultESD_SD_EEPNS0_10empty_typeENS0_5tupleIJPlSF_EEENSH_IJSI_SG_EEENS0_18inequality_wrapperIN6hipcub16HIPCUB_304000_NS8EqualityEEESI_JSF_EEE10hipError_tPvRmT3_T4_T5_T6_T7_T9_mT8_P12ihipStream_tbDpT10_ENKUlT_T0_E_clISt17integral_constantIbLb0EES19_EEDaS14_S15_EUlS14_E_NS1_11comp_targetILNS1_3genE10ELNS1_11target_archE1200ELNS1_3gpuE4ELNS1_3repE0EEENS1_30default_config_static_selectorELNS0_4arch9wavefront6targetE0EEEvT1_.num_agpr, 0
	.set _ZN7rocprim17ROCPRIM_400000_NS6detail17trampoline_kernelINS0_14default_configENS1_25partition_config_selectorILNS1_17partition_subalgoE9EllbEEZZNS1_14partition_implILS5_9ELb0ES3_jPKlN6thrust23THRUST_200600_302600_NS17counting_iteratorIlNSB_11use_defaultESD_SD_EEPNS0_10empty_typeENS0_5tupleIJPlSF_EEENSH_IJSI_SG_EEENS0_18inequality_wrapperIN6hipcub16HIPCUB_304000_NS8EqualityEEESI_JSF_EEE10hipError_tPvRmT3_T4_T5_T6_T7_T9_mT8_P12ihipStream_tbDpT10_ENKUlT_T0_E_clISt17integral_constantIbLb0EES19_EEDaS14_S15_EUlS14_E_NS1_11comp_targetILNS1_3genE10ELNS1_11target_archE1200ELNS1_3gpuE4ELNS1_3repE0EEENS1_30default_config_static_selectorELNS0_4arch9wavefront6targetE0EEEvT1_.numbered_sgpr, 0
	.set _ZN7rocprim17ROCPRIM_400000_NS6detail17trampoline_kernelINS0_14default_configENS1_25partition_config_selectorILNS1_17partition_subalgoE9EllbEEZZNS1_14partition_implILS5_9ELb0ES3_jPKlN6thrust23THRUST_200600_302600_NS17counting_iteratorIlNSB_11use_defaultESD_SD_EEPNS0_10empty_typeENS0_5tupleIJPlSF_EEENSH_IJSI_SG_EEENS0_18inequality_wrapperIN6hipcub16HIPCUB_304000_NS8EqualityEEESI_JSF_EEE10hipError_tPvRmT3_T4_T5_T6_T7_T9_mT8_P12ihipStream_tbDpT10_ENKUlT_T0_E_clISt17integral_constantIbLb0EES19_EEDaS14_S15_EUlS14_E_NS1_11comp_targetILNS1_3genE10ELNS1_11target_archE1200ELNS1_3gpuE4ELNS1_3repE0EEENS1_30default_config_static_selectorELNS0_4arch9wavefront6targetE0EEEvT1_.num_named_barrier, 0
	.set _ZN7rocprim17ROCPRIM_400000_NS6detail17trampoline_kernelINS0_14default_configENS1_25partition_config_selectorILNS1_17partition_subalgoE9EllbEEZZNS1_14partition_implILS5_9ELb0ES3_jPKlN6thrust23THRUST_200600_302600_NS17counting_iteratorIlNSB_11use_defaultESD_SD_EEPNS0_10empty_typeENS0_5tupleIJPlSF_EEENSH_IJSI_SG_EEENS0_18inequality_wrapperIN6hipcub16HIPCUB_304000_NS8EqualityEEESI_JSF_EEE10hipError_tPvRmT3_T4_T5_T6_T7_T9_mT8_P12ihipStream_tbDpT10_ENKUlT_T0_E_clISt17integral_constantIbLb0EES19_EEDaS14_S15_EUlS14_E_NS1_11comp_targetILNS1_3genE10ELNS1_11target_archE1200ELNS1_3gpuE4ELNS1_3repE0EEENS1_30default_config_static_selectorELNS0_4arch9wavefront6targetE0EEEvT1_.private_seg_size, 0
	.set _ZN7rocprim17ROCPRIM_400000_NS6detail17trampoline_kernelINS0_14default_configENS1_25partition_config_selectorILNS1_17partition_subalgoE9EllbEEZZNS1_14partition_implILS5_9ELb0ES3_jPKlN6thrust23THRUST_200600_302600_NS17counting_iteratorIlNSB_11use_defaultESD_SD_EEPNS0_10empty_typeENS0_5tupleIJPlSF_EEENSH_IJSI_SG_EEENS0_18inequality_wrapperIN6hipcub16HIPCUB_304000_NS8EqualityEEESI_JSF_EEE10hipError_tPvRmT3_T4_T5_T6_T7_T9_mT8_P12ihipStream_tbDpT10_ENKUlT_T0_E_clISt17integral_constantIbLb0EES19_EEDaS14_S15_EUlS14_E_NS1_11comp_targetILNS1_3genE10ELNS1_11target_archE1200ELNS1_3gpuE4ELNS1_3repE0EEENS1_30default_config_static_selectorELNS0_4arch9wavefront6targetE0EEEvT1_.uses_vcc, 0
	.set _ZN7rocprim17ROCPRIM_400000_NS6detail17trampoline_kernelINS0_14default_configENS1_25partition_config_selectorILNS1_17partition_subalgoE9EllbEEZZNS1_14partition_implILS5_9ELb0ES3_jPKlN6thrust23THRUST_200600_302600_NS17counting_iteratorIlNSB_11use_defaultESD_SD_EEPNS0_10empty_typeENS0_5tupleIJPlSF_EEENSH_IJSI_SG_EEENS0_18inequality_wrapperIN6hipcub16HIPCUB_304000_NS8EqualityEEESI_JSF_EEE10hipError_tPvRmT3_T4_T5_T6_T7_T9_mT8_P12ihipStream_tbDpT10_ENKUlT_T0_E_clISt17integral_constantIbLb0EES19_EEDaS14_S15_EUlS14_E_NS1_11comp_targetILNS1_3genE10ELNS1_11target_archE1200ELNS1_3gpuE4ELNS1_3repE0EEENS1_30default_config_static_selectorELNS0_4arch9wavefront6targetE0EEEvT1_.uses_flat_scratch, 0
	.set _ZN7rocprim17ROCPRIM_400000_NS6detail17trampoline_kernelINS0_14default_configENS1_25partition_config_selectorILNS1_17partition_subalgoE9EllbEEZZNS1_14partition_implILS5_9ELb0ES3_jPKlN6thrust23THRUST_200600_302600_NS17counting_iteratorIlNSB_11use_defaultESD_SD_EEPNS0_10empty_typeENS0_5tupleIJPlSF_EEENSH_IJSI_SG_EEENS0_18inequality_wrapperIN6hipcub16HIPCUB_304000_NS8EqualityEEESI_JSF_EEE10hipError_tPvRmT3_T4_T5_T6_T7_T9_mT8_P12ihipStream_tbDpT10_ENKUlT_T0_E_clISt17integral_constantIbLb0EES19_EEDaS14_S15_EUlS14_E_NS1_11comp_targetILNS1_3genE10ELNS1_11target_archE1200ELNS1_3gpuE4ELNS1_3repE0EEENS1_30default_config_static_selectorELNS0_4arch9wavefront6targetE0EEEvT1_.has_dyn_sized_stack, 0
	.set _ZN7rocprim17ROCPRIM_400000_NS6detail17trampoline_kernelINS0_14default_configENS1_25partition_config_selectorILNS1_17partition_subalgoE9EllbEEZZNS1_14partition_implILS5_9ELb0ES3_jPKlN6thrust23THRUST_200600_302600_NS17counting_iteratorIlNSB_11use_defaultESD_SD_EEPNS0_10empty_typeENS0_5tupleIJPlSF_EEENSH_IJSI_SG_EEENS0_18inequality_wrapperIN6hipcub16HIPCUB_304000_NS8EqualityEEESI_JSF_EEE10hipError_tPvRmT3_T4_T5_T6_T7_T9_mT8_P12ihipStream_tbDpT10_ENKUlT_T0_E_clISt17integral_constantIbLb0EES19_EEDaS14_S15_EUlS14_E_NS1_11comp_targetILNS1_3genE10ELNS1_11target_archE1200ELNS1_3gpuE4ELNS1_3repE0EEENS1_30default_config_static_selectorELNS0_4arch9wavefront6targetE0EEEvT1_.has_recursion, 0
	.set _ZN7rocprim17ROCPRIM_400000_NS6detail17trampoline_kernelINS0_14default_configENS1_25partition_config_selectorILNS1_17partition_subalgoE9EllbEEZZNS1_14partition_implILS5_9ELb0ES3_jPKlN6thrust23THRUST_200600_302600_NS17counting_iteratorIlNSB_11use_defaultESD_SD_EEPNS0_10empty_typeENS0_5tupleIJPlSF_EEENSH_IJSI_SG_EEENS0_18inequality_wrapperIN6hipcub16HIPCUB_304000_NS8EqualityEEESI_JSF_EEE10hipError_tPvRmT3_T4_T5_T6_T7_T9_mT8_P12ihipStream_tbDpT10_ENKUlT_T0_E_clISt17integral_constantIbLb0EES19_EEDaS14_S15_EUlS14_E_NS1_11comp_targetILNS1_3genE10ELNS1_11target_archE1200ELNS1_3gpuE4ELNS1_3repE0EEENS1_30default_config_static_selectorELNS0_4arch9wavefront6targetE0EEEvT1_.has_indirect_call, 0
	.section	.AMDGPU.csdata,"",@progbits
; Kernel info:
; codeLenInByte = 0
; TotalNumSgprs: 0
; NumVgprs: 0
; ScratchSize: 0
; MemoryBound: 0
; FloatMode: 240
; IeeeMode: 1
; LDSByteSize: 0 bytes/workgroup (compile time only)
; SGPRBlocks: 0
; VGPRBlocks: 0
; NumSGPRsForWavesPerEU: 1
; NumVGPRsForWavesPerEU: 1
; NamedBarCnt: 0
; Occupancy: 16
; WaveLimiterHint : 0
; COMPUTE_PGM_RSRC2:SCRATCH_EN: 0
; COMPUTE_PGM_RSRC2:USER_SGPR: 2
; COMPUTE_PGM_RSRC2:TRAP_HANDLER: 0
; COMPUTE_PGM_RSRC2:TGID_X_EN: 1
; COMPUTE_PGM_RSRC2:TGID_Y_EN: 0
; COMPUTE_PGM_RSRC2:TGID_Z_EN: 0
; COMPUTE_PGM_RSRC2:TIDIG_COMP_CNT: 0
	.section	.text._ZN7rocprim17ROCPRIM_400000_NS6detail17trampoline_kernelINS0_14default_configENS1_25partition_config_selectorILNS1_17partition_subalgoE9EllbEEZZNS1_14partition_implILS5_9ELb0ES3_jPKlN6thrust23THRUST_200600_302600_NS17counting_iteratorIlNSB_11use_defaultESD_SD_EEPNS0_10empty_typeENS0_5tupleIJPlSF_EEENSH_IJSI_SG_EEENS0_18inequality_wrapperIN6hipcub16HIPCUB_304000_NS8EqualityEEESI_JSF_EEE10hipError_tPvRmT3_T4_T5_T6_T7_T9_mT8_P12ihipStream_tbDpT10_ENKUlT_T0_E_clISt17integral_constantIbLb0EES19_EEDaS14_S15_EUlS14_E_NS1_11comp_targetILNS1_3genE9ELNS1_11target_archE1100ELNS1_3gpuE3ELNS1_3repE0EEENS1_30default_config_static_selectorELNS0_4arch9wavefront6targetE0EEEvT1_,"axG",@progbits,_ZN7rocprim17ROCPRIM_400000_NS6detail17trampoline_kernelINS0_14default_configENS1_25partition_config_selectorILNS1_17partition_subalgoE9EllbEEZZNS1_14partition_implILS5_9ELb0ES3_jPKlN6thrust23THRUST_200600_302600_NS17counting_iteratorIlNSB_11use_defaultESD_SD_EEPNS0_10empty_typeENS0_5tupleIJPlSF_EEENSH_IJSI_SG_EEENS0_18inequality_wrapperIN6hipcub16HIPCUB_304000_NS8EqualityEEESI_JSF_EEE10hipError_tPvRmT3_T4_T5_T6_T7_T9_mT8_P12ihipStream_tbDpT10_ENKUlT_T0_E_clISt17integral_constantIbLb0EES19_EEDaS14_S15_EUlS14_E_NS1_11comp_targetILNS1_3genE9ELNS1_11target_archE1100ELNS1_3gpuE3ELNS1_3repE0EEENS1_30default_config_static_selectorELNS0_4arch9wavefront6targetE0EEEvT1_,comdat
	.protected	_ZN7rocprim17ROCPRIM_400000_NS6detail17trampoline_kernelINS0_14default_configENS1_25partition_config_selectorILNS1_17partition_subalgoE9EllbEEZZNS1_14partition_implILS5_9ELb0ES3_jPKlN6thrust23THRUST_200600_302600_NS17counting_iteratorIlNSB_11use_defaultESD_SD_EEPNS0_10empty_typeENS0_5tupleIJPlSF_EEENSH_IJSI_SG_EEENS0_18inequality_wrapperIN6hipcub16HIPCUB_304000_NS8EqualityEEESI_JSF_EEE10hipError_tPvRmT3_T4_T5_T6_T7_T9_mT8_P12ihipStream_tbDpT10_ENKUlT_T0_E_clISt17integral_constantIbLb0EES19_EEDaS14_S15_EUlS14_E_NS1_11comp_targetILNS1_3genE9ELNS1_11target_archE1100ELNS1_3gpuE3ELNS1_3repE0EEENS1_30default_config_static_selectorELNS0_4arch9wavefront6targetE0EEEvT1_ ; -- Begin function _ZN7rocprim17ROCPRIM_400000_NS6detail17trampoline_kernelINS0_14default_configENS1_25partition_config_selectorILNS1_17partition_subalgoE9EllbEEZZNS1_14partition_implILS5_9ELb0ES3_jPKlN6thrust23THRUST_200600_302600_NS17counting_iteratorIlNSB_11use_defaultESD_SD_EEPNS0_10empty_typeENS0_5tupleIJPlSF_EEENSH_IJSI_SG_EEENS0_18inequality_wrapperIN6hipcub16HIPCUB_304000_NS8EqualityEEESI_JSF_EEE10hipError_tPvRmT3_T4_T5_T6_T7_T9_mT8_P12ihipStream_tbDpT10_ENKUlT_T0_E_clISt17integral_constantIbLb0EES19_EEDaS14_S15_EUlS14_E_NS1_11comp_targetILNS1_3genE9ELNS1_11target_archE1100ELNS1_3gpuE3ELNS1_3repE0EEENS1_30default_config_static_selectorELNS0_4arch9wavefront6targetE0EEEvT1_
	.globl	_ZN7rocprim17ROCPRIM_400000_NS6detail17trampoline_kernelINS0_14default_configENS1_25partition_config_selectorILNS1_17partition_subalgoE9EllbEEZZNS1_14partition_implILS5_9ELb0ES3_jPKlN6thrust23THRUST_200600_302600_NS17counting_iteratorIlNSB_11use_defaultESD_SD_EEPNS0_10empty_typeENS0_5tupleIJPlSF_EEENSH_IJSI_SG_EEENS0_18inequality_wrapperIN6hipcub16HIPCUB_304000_NS8EqualityEEESI_JSF_EEE10hipError_tPvRmT3_T4_T5_T6_T7_T9_mT8_P12ihipStream_tbDpT10_ENKUlT_T0_E_clISt17integral_constantIbLb0EES19_EEDaS14_S15_EUlS14_E_NS1_11comp_targetILNS1_3genE9ELNS1_11target_archE1100ELNS1_3gpuE3ELNS1_3repE0EEENS1_30default_config_static_selectorELNS0_4arch9wavefront6targetE0EEEvT1_
	.p2align	8
	.type	_ZN7rocprim17ROCPRIM_400000_NS6detail17trampoline_kernelINS0_14default_configENS1_25partition_config_selectorILNS1_17partition_subalgoE9EllbEEZZNS1_14partition_implILS5_9ELb0ES3_jPKlN6thrust23THRUST_200600_302600_NS17counting_iteratorIlNSB_11use_defaultESD_SD_EEPNS0_10empty_typeENS0_5tupleIJPlSF_EEENSH_IJSI_SG_EEENS0_18inequality_wrapperIN6hipcub16HIPCUB_304000_NS8EqualityEEESI_JSF_EEE10hipError_tPvRmT3_T4_T5_T6_T7_T9_mT8_P12ihipStream_tbDpT10_ENKUlT_T0_E_clISt17integral_constantIbLb0EES19_EEDaS14_S15_EUlS14_E_NS1_11comp_targetILNS1_3genE9ELNS1_11target_archE1100ELNS1_3gpuE3ELNS1_3repE0EEENS1_30default_config_static_selectorELNS0_4arch9wavefront6targetE0EEEvT1_,@function
_ZN7rocprim17ROCPRIM_400000_NS6detail17trampoline_kernelINS0_14default_configENS1_25partition_config_selectorILNS1_17partition_subalgoE9EllbEEZZNS1_14partition_implILS5_9ELb0ES3_jPKlN6thrust23THRUST_200600_302600_NS17counting_iteratorIlNSB_11use_defaultESD_SD_EEPNS0_10empty_typeENS0_5tupleIJPlSF_EEENSH_IJSI_SG_EEENS0_18inequality_wrapperIN6hipcub16HIPCUB_304000_NS8EqualityEEESI_JSF_EEE10hipError_tPvRmT3_T4_T5_T6_T7_T9_mT8_P12ihipStream_tbDpT10_ENKUlT_T0_E_clISt17integral_constantIbLb0EES19_EEDaS14_S15_EUlS14_E_NS1_11comp_targetILNS1_3genE9ELNS1_11target_archE1100ELNS1_3gpuE3ELNS1_3repE0EEENS1_30default_config_static_selectorELNS0_4arch9wavefront6targetE0EEEvT1_: ; @_ZN7rocprim17ROCPRIM_400000_NS6detail17trampoline_kernelINS0_14default_configENS1_25partition_config_selectorILNS1_17partition_subalgoE9EllbEEZZNS1_14partition_implILS5_9ELb0ES3_jPKlN6thrust23THRUST_200600_302600_NS17counting_iteratorIlNSB_11use_defaultESD_SD_EEPNS0_10empty_typeENS0_5tupleIJPlSF_EEENSH_IJSI_SG_EEENS0_18inequality_wrapperIN6hipcub16HIPCUB_304000_NS8EqualityEEESI_JSF_EEE10hipError_tPvRmT3_T4_T5_T6_T7_T9_mT8_P12ihipStream_tbDpT10_ENKUlT_T0_E_clISt17integral_constantIbLb0EES19_EEDaS14_S15_EUlS14_E_NS1_11comp_targetILNS1_3genE9ELNS1_11target_archE1100ELNS1_3gpuE3ELNS1_3repE0EEENS1_30default_config_static_selectorELNS0_4arch9wavefront6targetE0EEEvT1_
; %bb.0:
	.section	.rodata,"a",@progbits
	.p2align	6, 0x0
	.amdhsa_kernel _ZN7rocprim17ROCPRIM_400000_NS6detail17trampoline_kernelINS0_14default_configENS1_25partition_config_selectorILNS1_17partition_subalgoE9EllbEEZZNS1_14partition_implILS5_9ELb0ES3_jPKlN6thrust23THRUST_200600_302600_NS17counting_iteratorIlNSB_11use_defaultESD_SD_EEPNS0_10empty_typeENS0_5tupleIJPlSF_EEENSH_IJSI_SG_EEENS0_18inequality_wrapperIN6hipcub16HIPCUB_304000_NS8EqualityEEESI_JSF_EEE10hipError_tPvRmT3_T4_T5_T6_T7_T9_mT8_P12ihipStream_tbDpT10_ENKUlT_T0_E_clISt17integral_constantIbLb0EES19_EEDaS14_S15_EUlS14_E_NS1_11comp_targetILNS1_3genE9ELNS1_11target_archE1100ELNS1_3gpuE3ELNS1_3repE0EEENS1_30default_config_static_selectorELNS0_4arch9wavefront6targetE0EEEvT1_
		.amdhsa_group_segment_fixed_size 0
		.amdhsa_private_segment_fixed_size 0
		.amdhsa_kernarg_size 112
		.amdhsa_user_sgpr_count 2
		.amdhsa_user_sgpr_dispatch_ptr 0
		.amdhsa_user_sgpr_queue_ptr 0
		.amdhsa_user_sgpr_kernarg_segment_ptr 1
		.amdhsa_user_sgpr_dispatch_id 0
		.amdhsa_user_sgpr_kernarg_preload_length 0
		.amdhsa_user_sgpr_kernarg_preload_offset 0
		.amdhsa_user_sgpr_private_segment_size 0
		.amdhsa_wavefront_size32 1
		.amdhsa_uses_dynamic_stack 0
		.amdhsa_enable_private_segment 0
		.amdhsa_system_sgpr_workgroup_id_x 1
		.amdhsa_system_sgpr_workgroup_id_y 0
		.amdhsa_system_sgpr_workgroup_id_z 0
		.amdhsa_system_sgpr_workgroup_info 0
		.amdhsa_system_vgpr_workitem_id 0
		.amdhsa_next_free_vgpr 1
		.amdhsa_next_free_sgpr 1
		.amdhsa_named_barrier_count 0
		.amdhsa_reserve_vcc 0
		.amdhsa_float_round_mode_32 0
		.amdhsa_float_round_mode_16_64 0
		.amdhsa_float_denorm_mode_32 3
		.amdhsa_float_denorm_mode_16_64 3
		.amdhsa_fp16_overflow 0
		.amdhsa_memory_ordered 1
		.amdhsa_forward_progress 1
		.amdhsa_inst_pref_size 0
		.amdhsa_round_robin_scheduling 0
		.amdhsa_exception_fp_ieee_invalid_op 0
		.amdhsa_exception_fp_denorm_src 0
		.amdhsa_exception_fp_ieee_div_zero 0
		.amdhsa_exception_fp_ieee_overflow 0
		.amdhsa_exception_fp_ieee_underflow 0
		.amdhsa_exception_fp_ieee_inexact 0
		.amdhsa_exception_int_div_zero 0
	.end_amdhsa_kernel
	.section	.text._ZN7rocprim17ROCPRIM_400000_NS6detail17trampoline_kernelINS0_14default_configENS1_25partition_config_selectorILNS1_17partition_subalgoE9EllbEEZZNS1_14partition_implILS5_9ELb0ES3_jPKlN6thrust23THRUST_200600_302600_NS17counting_iteratorIlNSB_11use_defaultESD_SD_EEPNS0_10empty_typeENS0_5tupleIJPlSF_EEENSH_IJSI_SG_EEENS0_18inequality_wrapperIN6hipcub16HIPCUB_304000_NS8EqualityEEESI_JSF_EEE10hipError_tPvRmT3_T4_T5_T6_T7_T9_mT8_P12ihipStream_tbDpT10_ENKUlT_T0_E_clISt17integral_constantIbLb0EES19_EEDaS14_S15_EUlS14_E_NS1_11comp_targetILNS1_3genE9ELNS1_11target_archE1100ELNS1_3gpuE3ELNS1_3repE0EEENS1_30default_config_static_selectorELNS0_4arch9wavefront6targetE0EEEvT1_,"axG",@progbits,_ZN7rocprim17ROCPRIM_400000_NS6detail17trampoline_kernelINS0_14default_configENS1_25partition_config_selectorILNS1_17partition_subalgoE9EllbEEZZNS1_14partition_implILS5_9ELb0ES3_jPKlN6thrust23THRUST_200600_302600_NS17counting_iteratorIlNSB_11use_defaultESD_SD_EEPNS0_10empty_typeENS0_5tupleIJPlSF_EEENSH_IJSI_SG_EEENS0_18inequality_wrapperIN6hipcub16HIPCUB_304000_NS8EqualityEEESI_JSF_EEE10hipError_tPvRmT3_T4_T5_T6_T7_T9_mT8_P12ihipStream_tbDpT10_ENKUlT_T0_E_clISt17integral_constantIbLb0EES19_EEDaS14_S15_EUlS14_E_NS1_11comp_targetILNS1_3genE9ELNS1_11target_archE1100ELNS1_3gpuE3ELNS1_3repE0EEENS1_30default_config_static_selectorELNS0_4arch9wavefront6targetE0EEEvT1_,comdat
.Lfunc_end50:
	.size	_ZN7rocprim17ROCPRIM_400000_NS6detail17trampoline_kernelINS0_14default_configENS1_25partition_config_selectorILNS1_17partition_subalgoE9EllbEEZZNS1_14partition_implILS5_9ELb0ES3_jPKlN6thrust23THRUST_200600_302600_NS17counting_iteratorIlNSB_11use_defaultESD_SD_EEPNS0_10empty_typeENS0_5tupleIJPlSF_EEENSH_IJSI_SG_EEENS0_18inequality_wrapperIN6hipcub16HIPCUB_304000_NS8EqualityEEESI_JSF_EEE10hipError_tPvRmT3_T4_T5_T6_T7_T9_mT8_P12ihipStream_tbDpT10_ENKUlT_T0_E_clISt17integral_constantIbLb0EES19_EEDaS14_S15_EUlS14_E_NS1_11comp_targetILNS1_3genE9ELNS1_11target_archE1100ELNS1_3gpuE3ELNS1_3repE0EEENS1_30default_config_static_selectorELNS0_4arch9wavefront6targetE0EEEvT1_, .Lfunc_end50-_ZN7rocprim17ROCPRIM_400000_NS6detail17trampoline_kernelINS0_14default_configENS1_25partition_config_selectorILNS1_17partition_subalgoE9EllbEEZZNS1_14partition_implILS5_9ELb0ES3_jPKlN6thrust23THRUST_200600_302600_NS17counting_iteratorIlNSB_11use_defaultESD_SD_EEPNS0_10empty_typeENS0_5tupleIJPlSF_EEENSH_IJSI_SG_EEENS0_18inequality_wrapperIN6hipcub16HIPCUB_304000_NS8EqualityEEESI_JSF_EEE10hipError_tPvRmT3_T4_T5_T6_T7_T9_mT8_P12ihipStream_tbDpT10_ENKUlT_T0_E_clISt17integral_constantIbLb0EES19_EEDaS14_S15_EUlS14_E_NS1_11comp_targetILNS1_3genE9ELNS1_11target_archE1100ELNS1_3gpuE3ELNS1_3repE0EEENS1_30default_config_static_selectorELNS0_4arch9wavefront6targetE0EEEvT1_
                                        ; -- End function
	.set _ZN7rocprim17ROCPRIM_400000_NS6detail17trampoline_kernelINS0_14default_configENS1_25partition_config_selectorILNS1_17partition_subalgoE9EllbEEZZNS1_14partition_implILS5_9ELb0ES3_jPKlN6thrust23THRUST_200600_302600_NS17counting_iteratorIlNSB_11use_defaultESD_SD_EEPNS0_10empty_typeENS0_5tupleIJPlSF_EEENSH_IJSI_SG_EEENS0_18inequality_wrapperIN6hipcub16HIPCUB_304000_NS8EqualityEEESI_JSF_EEE10hipError_tPvRmT3_T4_T5_T6_T7_T9_mT8_P12ihipStream_tbDpT10_ENKUlT_T0_E_clISt17integral_constantIbLb0EES19_EEDaS14_S15_EUlS14_E_NS1_11comp_targetILNS1_3genE9ELNS1_11target_archE1100ELNS1_3gpuE3ELNS1_3repE0EEENS1_30default_config_static_selectorELNS0_4arch9wavefront6targetE0EEEvT1_.num_vgpr, 0
	.set _ZN7rocprim17ROCPRIM_400000_NS6detail17trampoline_kernelINS0_14default_configENS1_25partition_config_selectorILNS1_17partition_subalgoE9EllbEEZZNS1_14partition_implILS5_9ELb0ES3_jPKlN6thrust23THRUST_200600_302600_NS17counting_iteratorIlNSB_11use_defaultESD_SD_EEPNS0_10empty_typeENS0_5tupleIJPlSF_EEENSH_IJSI_SG_EEENS0_18inequality_wrapperIN6hipcub16HIPCUB_304000_NS8EqualityEEESI_JSF_EEE10hipError_tPvRmT3_T4_T5_T6_T7_T9_mT8_P12ihipStream_tbDpT10_ENKUlT_T0_E_clISt17integral_constantIbLb0EES19_EEDaS14_S15_EUlS14_E_NS1_11comp_targetILNS1_3genE9ELNS1_11target_archE1100ELNS1_3gpuE3ELNS1_3repE0EEENS1_30default_config_static_selectorELNS0_4arch9wavefront6targetE0EEEvT1_.num_agpr, 0
	.set _ZN7rocprim17ROCPRIM_400000_NS6detail17trampoline_kernelINS0_14default_configENS1_25partition_config_selectorILNS1_17partition_subalgoE9EllbEEZZNS1_14partition_implILS5_9ELb0ES3_jPKlN6thrust23THRUST_200600_302600_NS17counting_iteratorIlNSB_11use_defaultESD_SD_EEPNS0_10empty_typeENS0_5tupleIJPlSF_EEENSH_IJSI_SG_EEENS0_18inequality_wrapperIN6hipcub16HIPCUB_304000_NS8EqualityEEESI_JSF_EEE10hipError_tPvRmT3_T4_T5_T6_T7_T9_mT8_P12ihipStream_tbDpT10_ENKUlT_T0_E_clISt17integral_constantIbLb0EES19_EEDaS14_S15_EUlS14_E_NS1_11comp_targetILNS1_3genE9ELNS1_11target_archE1100ELNS1_3gpuE3ELNS1_3repE0EEENS1_30default_config_static_selectorELNS0_4arch9wavefront6targetE0EEEvT1_.numbered_sgpr, 0
	.set _ZN7rocprim17ROCPRIM_400000_NS6detail17trampoline_kernelINS0_14default_configENS1_25partition_config_selectorILNS1_17partition_subalgoE9EllbEEZZNS1_14partition_implILS5_9ELb0ES3_jPKlN6thrust23THRUST_200600_302600_NS17counting_iteratorIlNSB_11use_defaultESD_SD_EEPNS0_10empty_typeENS0_5tupleIJPlSF_EEENSH_IJSI_SG_EEENS0_18inequality_wrapperIN6hipcub16HIPCUB_304000_NS8EqualityEEESI_JSF_EEE10hipError_tPvRmT3_T4_T5_T6_T7_T9_mT8_P12ihipStream_tbDpT10_ENKUlT_T0_E_clISt17integral_constantIbLb0EES19_EEDaS14_S15_EUlS14_E_NS1_11comp_targetILNS1_3genE9ELNS1_11target_archE1100ELNS1_3gpuE3ELNS1_3repE0EEENS1_30default_config_static_selectorELNS0_4arch9wavefront6targetE0EEEvT1_.num_named_barrier, 0
	.set _ZN7rocprim17ROCPRIM_400000_NS6detail17trampoline_kernelINS0_14default_configENS1_25partition_config_selectorILNS1_17partition_subalgoE9EllbEEZZNS1_14partition_implILS5_9ELb0ES3_jPKlN6thrust23THRUST_200600_302600_NS17counting_iteratorIlNSB_11use_defaultESD_SD_EEPNS0_10empty_typeENS0_5tupleIJPlSF_EEENSH_IJSI_SG_EEENS0_18inequality_wrapperIN6hipcub16HIPCUB_304000_NS8EqualityEEESI_JSF_EEE10hipError_tPvRmT3_T4_T5_T6_T7_T9_mT8_P12ihipStream_tbDpT10_ENKUlT_T0_E_clISt17integral_constantIbLb0EES19_EEDaS14_S15_EUlS14_E_NS1_11comp_targetILNS1_3genE9ELNS1_11target_archE1100ELNS1_3gpuE3ELNS1_3repE0EEENS1_30default_config_static_selectorELNS0_4arch9wavefront6targetE0EEEvT1_.private_seg_size, 0
	.set _ZN7rocprim17ROCPRIM_400000_NS6detail17trampoline_kernelINS0_14default_configENS1_25partition_config_selectorILNS1_17partition_subalgoE9EllbEEZZNS1_14partition_implILS5_9ELb0ES3_jPKlN6thrust23THRUST_200600_302600_NS17counting_iteratorIlNSB_11use_defaultESD_SD_EEPNS0_10empty_typeENS0_5tupleIJPlSF_EEENSH_IJSI_SG_EEENS0_18inequality_wrapperIN6hipcub16HIPCUB_304000_NS8EqualityEEESI_JSF_EEE10hipError_tPvRmT3_T4_T5_T6_T7_T9_mT8_P12ihipStream_tbDpT10_ENKUlT_T0_E_clISt17integral_constantIbLb0EES19_EEDaS14_S15_EUlS14_E_NS1_11comp_targetILNS1_3genE9ELNS1_11target_archE1100ELNS1_3gpuE3ELNS1_3repE0EEENS1_30default_config_static_selectorELNS0_4arch9wavefront6targetE0EEEvT1_.uses_vcc, 0
	.set _ZN7rocprim17ROCPRIM_400000_NS6detail17trampoline_kernelINS0_14default_configENS1_25partition_config_selectorILNS1_17partition_subalgoE9EllbEEZZNS1_14partition_implILS5_9ELb0ES3_jPKlN6thrust23THRUST_200600_302600_NS17counting_iteratorIlNSB_11use_defaultESD_SD_EEPNS0_10empty_typeENS0_5tupleIJPlSF_EEENSH_IJSI_SG_EEENS0_18inequality_wrapperIN6hipcub16HIPCUB_304000_NS8EqualityEEESI_JSF_EEE10hipError_tPvRmT3_T4_T5_T6_T7_T9_mT8_P12ihipStream_tbDpT10_ENKUlT_T0_E_clISt17integral_constantIbLb0EES19_EEDaS14_S15_EUlS14_E_NS1_11comp_targetILNS1_3genE9ELNS1_11target_archE1100ELNS1_3gpuE3ELNS1_3repE0EEENS1_30default_config_static_selectorELNS0_4arch9wavefront6targetE0EEEvT1_.uses_flat_scratch, 0
	.set _ZN7rocprim17ROCPRIM_400000_NS6detail17trampoline_kernelINS0_14default_configENS1_25partition_config_selectorILNS1_17partition_subalgoE9EllbEEZZNS1_14partition_implILS5_9ELb0ES3_jPKlN6thrust23THRUST_200600_302600_NS17counting_iteratorIlNSB_11use_defaultESD_SD_EEPNS0_10empty_typeENS0_5tupleIJPlSF_EEENSH_IJSI_SG_EEENS0_18inequality_wrapperIN6hipcub16HIPCUB_304000_NS8EqualityEEESI_JSF_EEE10hipError_tPvRmT3_T4_T5_T6_T7_T9_mT8_P12ihipStream_tbDpT10_ENKUlT_T0_E_clISt17integral_constantIbLb0EES19_EEDaS14_S15_EUlS14_E_NS1_11comp_targetILNS1_3genE9ELNS1_11target_archE1100ELNS1_3gpuE3ELNS1_3repE0EEENS1_30default_config_static_selectorELNS0_4arch9wavefront6targetE0EEEvT1_.has_dyn_sized_stack, 0
	.set _ZN7rocprim17ROCPRIM_400000_NS6detail17trampoline_kernelINS0_14default_configENS1_25partition_config_selectorILNS1_17partition_subalgoE9EllbEEZZNS1_14partition_implILS5_9ELb0ES3_jPKlN6thrust23THRUST_200600_302600_NS17counting_iteratorIlNSB_11use_defaultESD_SD_EEPNS0_10empty_typeENS0_5tupleIJPlSF_EEENSH_IJSI_SG_EEENS0_18inequality_wrapperIN6hipcub16HIPCUB_304000_NS8EqualityEEESI_JSF_EEE10hipError_tPvRmT3_T4_T5_T6_T7_T9_mT8_P12ihipStream_tbDpT10_ENKUlT_T0_E_clISt17integral_constantIbLb0EES19_EEDaS14_S15_EUlS14_E_NS1_11comp_targetILNS1_3genE9ELNS1_11target_archE1100ELNS1_3gpuE3ELNS1_3repE0EEENS1_30default_config_static_selectorELNS0_4arch9wavefront6targetE0EEEvT1_.has_recursion, 0
	.set _ZN7rocprim17ROCPRIM_400000_NS6detail17trampoline_kernelINS0_14default_configENS1_25partition_config_selectorILNS1_17partition_subalgoE9EllbEEZZNS1_14partition_implILS5_9ELb0ES3_jPKlN6thrust23THRUST_200600_302600_NS17counting_iteratorIlNSB_11use_defaultESD_SD_EEPNS0_10empty_typeENS0_5tupleIJPlSF_EEENSH_IJSI_SG_EEENS0_18inequality_wrapperIN6hipcub16HIPCUB_304000_NS8EqualityEEESI_JSF_EEE10hipError_tPvRmT3_T4_T5_T6_T7_T9_mT8_P12ihipStream_tbDpT10_ENKUlT_T0_E_clISt17integral_constantIbLb0EES19_EEDaS14_S15_EUlS14_E_NS1_11comp_targetILNS1_3genE9ELNS1_11target_archE1100ELNS1_3gpuE3ELNS1_3repE0EEENS1_30default_config_static_selectorELNS0_4arch9wavefront6targetE0EEEvT1_.has_indirect_call, 0
	.section	.AMDGPU.csdata,"",@progbits
; Kernel info:
; codeLenInByte = 0
; TotalNumSgprs: 0
; NumVgprs: 0
; ScratchSize: 0
; MemoryBound: 0
; FloatMode: 240
; IeeeMode: 1
; LDSByteSize: 0 bytes/workgroup (compile time only)
; SGPRBlocks: 0
; VGPRBlocks: 0
; NumSGPRsForWavesPerEU: 1
; NumVGPRsForWavesPerEU: 1
; NamedBarCnt: 0
; Occupancy: 16
; WaveLimiterHint : 0
; COMPUTE_PGM_RSRC2:SCRATCH_EN: 0
; COMPUTE_PGM_RSRC2:USER_SGPR: 2
; COMPUTE_PGM_RSRC2:TRAP_HANDLER: 0
; COMPUTE_PGM_RSRC2:TGID_X_EN: 1
; COMPUTE_PGM_RSRC2:TGID_Y_EN: 0
; COMPUTE_PGM_RSRC2:TGID_Z_EN: 0
; COMPUTE_PGM_RSRC2:TIDIG_COMP_CNT: 0
	.section	.text._ZN7rocprim17ROCPRIM_400000_NS6detail17trampoline_kernelINS0_14default_configENS1_25partition_config_selectorILNS1_17partition_subalgoE9EllbEEZZNS1_14partition_implILS5_9ELb0ES3_jPKlN6thrust23THRUST_200600_302600_NS17counting_iteratorIlNSB_11use_defaultESD_SD_EEPNS0_10empty_typeENS0_5tupleIJPlSF_EEENSH_IJSI_SG_EEENS0_18inequality_wrapperIN6hipcub16HIPCUB_304000_NS8EqualityEEESI_JSF_EEE10hipError_tPvRmT3_T4_T5_T6_T7_T9_mT8_P12ihipStream_tbDpT10_ENKUlT_T0_E_clISt17integral_constantIbLb0EES19_EEDaS14_S15_EUlS14_E_NS1_11comp_targetILNS1_3genE8ELNS1_11target_archE1030ELNS1_3gpuE2ELNS1_3repE0EEENS1_30default_config_static_selectorELNS0_4arch9wavefront6targetE0EEEvT1_,"axG",@progbits,_ZN7rocprim17ROCPRIM_400000_NS6detail17trampoline_kernelINS0_14default_configENS1_25partition_config_selectorILNS1_17partition_subalgoE9EllbEEZZNS1_14partition_implILS5_9ELb0ES3_jPKlN6thrust23THRUST_200600_302600_NS17counting_iteratorIlNSB_11use_defaultESD_SD_EEPNS0_10empty_typeENS0_5tupleIJPlSF_EEENSH_IJSI_SG_EEENS0_18inequality_wrapperIN6hipcub16HIPCUB_304000_NS8EqualityEEESI_JSF_EEE10hipError_tPvRmT3_T4_T5_T6_T7_T9_mT8_P12ihipStream_tbDpT10_ENKUlT_T0_E_clISt17integral_constantIbLb0EES19_EEDaS14_S15_EUlS14_E_NS1_11comp_targetILNS1_3genE8ELNS1_11target_archE1030ELNS1_3gpuE2ELNS1_3repE0EEENS1_30default_config_static_selectorELNS0_4arch9wavefront6targetE0EEEvT1_,comdat
	.protected	_ZN7rocprim17ROCPRIM_400000_NS6detail17trampoline_kernelINS0_14default_configENS1_25partition_config_selectorILNS1_17partition_subalgoE9EllbEEZZNS1_14partition_implILS5_9ELb0ES3_jPKlN6thrust23THRUST_200600_302600_NS17counting_iteratorIlNSB_11use_defaultESD_SD_EEPNS0_10empty_typeENS0_5tupleIJPlSF_EEENSH_IJSI_SG_EEENS0_18inequality_wrapperIN6hipcub16HIPCUB_304000_NS8EqualityEEESI_JSF_EEE10hipError_tPvRmT3_T4_T5_T6_T7_T9_mT8_P12ihipStream_tbDpT10_ENKUlT_T0_E_clISt17integral_constantIbLb0EES19_EEDaS14_S15_EUlS14_E_NS1_11comp_targetILNS1_3genE8ELNS1_11target_archE1030ELNS1_3gpuE2ELNS1_3repE0EEENS1_30default_config_static_selectorELNS0_4arch9wavefront6targetE0EEEvT1_ ; -- Begin function _ZN7rocprim17ROCPRIM_400000_NS6detail17trampoline_kernelINS0_14default_configENS1_25partition_config_selectorILNS1_17partition_subalgoE9EllbEEZZNS1_14partition_implILS5_9ELb0ES3_jPKlN6thrust23THRUST_200600_302600_NS17counting_iteratorIlNSB_11use_defaultESD_SD_EEPNS0_10empty_typeENS0_5tupleIJPlSF_EEENSH_IJSI_SG_EEENS0_18inequality_wrapperIN6hipcub16HIPCUB_304000_NS8EqualityEEESI_JSF_EEE10hipError_tPvRmT3_T4_T5_T6_T7_T9_mT8_P12ihipStream_tbDpT10_ENKUlT_T0_E_clISt17integral_constantIbLb0EES19_EEDaS14_S15_EUlS14_E_NS1_11comp_targetILNS1_3genE8ELNS1_11target_archE1030ELNS1_3gpuE2ELNS1_3repE0EEENS1_30default_config_static_selectorELNS0_4arch9wavefront6targetE0EEEvT1_
	.globl	_ZN7rocprim17ROCPRIM_400000_NS6detail17trampoline_kernelINS0_14default_configENS1_25partition_config_selectorILNS1_17partition_subalgoE9EllbEEZZNS1_14partition_implILS5_9ELb0ES3_jPKlN6thrust23THRUST_200600_302600_NS17counting_iteratorIlNSB_11use_defaultESD_SD_EEPNS0_10empty_typeENS0_5tupleIJPlSF_EEENSH_IJSI_SG_EEENS0_18inequality_wrapperIN6hipcub16HIPCUB_304000_NS8EqualityEEESI_JSF_EEE10hipError_tPvRmT3_T4_T5_T6_T7_T9_mT8_P12ihipStream_tbDpT10_ENKUlT_T0_E_clISt17integral_constantIbLb0EES19_EEDaS14_S15_EUlS14_E_NS1_11comp_targetILNS1_3genE8ELNS1_11target_archE1030ELNS1_3gpuE2ELNS1_3repE0EEENS1_30default_config_static_selectorELNS0_4arch9wavefront6targetE0EEEvT1_
	.p2align	8
	.type	_ZN7rocprim17ROCPRIM_400000_NS6detail17trampoline_kernelINS0_14default_configENS1_25partition_config_selectorILNS1_17partition_subalgoE9EllbEEZZNS1_14partition_implILS5_9ELb0ES3_jPKlN6thrust23THRUST_200600_302600_NS17counting_iteratorIlNSB_11use_defaultESD_SD_EEPNS0_10empty_typeENS0_5tupleIJPlSF_EEENSH_IJSI_SG_EEENS0_18inequality_wrapperIN6hipcub16HIPCUB_304000_NS8EqualityEEESI_JSF_EEE10hipError_tPvRmT3_T4_T5_T6_T7_T9_mT8_P12ihipStream_tbDpT10_ENKUlT_T0_E_clISt17integral_constantIbLb0EES19_EEDaS14_S15_EUlS14_E_NS1_11comp_targetILNS1_3genE8ELNS1_11target_archE1030ELNS1_3gpuE2ELNS1_3repE0EEENS1_30default_config_static_selectorELNS0_4arch9wavefront6targetE0EEEvT1_,@function
_ZN7rocprim17ROCPRIM_400000_NS6detail17trampoline_kernelINS0_14default_configENS1_25partition_config_selectorILNS1_17partition_subalgoE9EllbEEZZNS1_14partition_implILS5_9ELb0ES3_jPKlN6thrust23THRUST_200600_302600_NS17counting_iteratorIlNSB_11use_defaultESD_SD_EEPNS0_10empty_typeENS0_5tupleIJPlSF_EEENSH_IJSI_SG_EEENS0_18inequality_wrapperIN6hipcub16HIPCUB_304000_NS8EqualityEEESI_JSF_EEE10hipError_tPvRmT3_T4_T5_T6_T7_T9_mT8_P12ihipStream_tbDpT10_ENKUlT_T0_E_clISt17integral_constantIbLb0EES19_EEDaS14_S15_EUlS14_E_NS1_11comp_targetILNS1_3genE8ELNS1_11target_archE1030ELNS1_3gpuE2ELNS1_3repE0EEENS1_30default_config_static_selectorELNS0_4arch9wavefront6targetE0EEEvT1_: ; @_ZN7rocprim17ROCPRIM_400000_NS6detail17trampoline_kernelINS0_14default_configENS1_25partition_config_selectorILNS1_17partition_subalgoE9EllbEEZZNS1_14partition_implILS5_9ELb0ES3_jPKlN6thrust23THRUST_200600_302600_NS17counting_iteratorIlNSB_11use_defaultESD_SD_EEPNS0_10empty_typeENS0_5tupleIJPlSF_EEENSH_IJSI_SG_EEENS0_18inequality_wrapperIN6hipcub16HIPCUB_304000_NS8EqualityEEESI_JSF_EEE10hipError_tPvRmT3_T4_T5_T6_T7_T9_mT8_P12ihipStream_tbDpT10_ENKUlT_T0_E_clISt17integral_constantIbLb0EES19_EEDaS14_S15_EUlS14_E_NS1_11comp_targetILNS1_3genE8ELNS1_11target_archE1030ELNS1_3gpuE2ELNS1_3repE0EEENS1_30default_config_static_selectorELNS0_4arch9wavefront6targetE0EEEvT1_
; %bb.0:
	.section	.rodata,"a",@progbits
	.p2align	6, 0x0
	.amdhsa_kernel _ZN7rocprim17ROCPRIM_400000_NS6detail17trampoline_kernelINS0_14default_configENS1_25partition_config_selectorILNS1_17partition_subalgoE9EllbEEZZNS1_14partition_implILS5_9ELb0ES3_jPKlN6thrust23THRUST_200600_302600_NS17counting_iteratorIlNSB_11use_defaultESD_SD_EEPNS0_10empty_typeENS0_5tupleIJPlSF_EEENSH_IJSI_SG_EEENS0_18inequality_wrapperIN6hipcub16HIPCUB_304000_NS8EqualityEEESI_JSF_EEE10hipError_tPvRmT3_T4_T5_T6_T7_T9_mT8_P12ihipStream_tbDpT10_ENKUlT_T0_E_clISt17integral_constantIbLb0EES19_EEDaS14_S15_EUlS14_E_NS1_11comp_targetILNS1_3genE8ELNS1_11target_archE1030ELNS1_3gpuE2ELNS1_3repE0EEENS1_30default_config_static_selectorELNS0_4arch9wavefront6targetE0EEEvT1_
		.amdhsa_group_segment_fixed_size 0
		.amdhsa_private_segment_fixed_size 0
		.amdhsa_kernarg_size 112
		.amdhsa_user_sgpr_count 2
		.amdhsa_user_sgpr_dispatch_ptr 0
		.amdhsa_user_sgpr_queue_ptr 0
		.amdhsa_user_sgpr_kernarg_segment_ptr 1
		.amdhsa_user_sgpr_dispatch_id 0
		.amdhsa_user_sgpr_kernarg_preload_length 0
		.amdhsa_user_sgpr_kernarg_preload_offset 0
		.amdhsa_user_sgpr_private_segment_size 0
		.amdhsa_wavefront_size32 1
		.amdhsa_uses_dynamic_stack 0
		.amdhsa_enable_private_segment 0
		.amdhsa_system_sgpr_workgroup_id_x 1
		.amdhsa_system_sgpr_workgroup_id_y 0
		.amdhsa_system_sgpr_workgroup_id_z 0
		.amdhsa_system_sgpr_workgroup_info 0
		.amdhsa_system_vgpr_workitem_id 0
		.amdhsa_next_free_vgpr 1
		.amdhsa_next_free_sgpr 1
		.amdhsa_named_barrier_count 0
		.amdhsa_reserve_vcc 0
		.amdhsa_float_round_mode_32 0
		.amdhsa_float_round_mode_16_64 0
		.amdhsa_float_denorm_mode_32 3
		.amdhsa_float_denorm_mode_16_64 3
		.amdhsa_fp16_overflow 0
		.amdhsa_memory_ordered 1
		.amdhsa_forward_progress 1
		.amdhsa_inst_pref_size 0
		.amdhsa_round_robin_scheduling 0
		.amdhsa_exception_fp_ieee_invalid_op 0
		.amdhsa_exception_fp_denorm_src 0
		.amdhsa_exception_fp_ieee_div_zero 0
		.amdhsa_exception_fp_ieee_overflow 0
		.amdhsa_exception_fp_ieee_underflow 0
		.amdhsa_exception_fp_ieee_inexact 0
		.amdhsa_exception_int_div_zero 0
	.end_amdhsa_kernel
	.section	.text._ZN7rocprim17ROCPRIM_400000_NS6detail17trampoline_kernelINS0_14default_configENS1_25partition_config_selectorILNS1_17partition_subalgoE9EllbEEZZNS1_14partition_implILS5_9ELb0ES3_jPKlN6thrust23THRUST_200600_302600_NS17counting_iteratorIlNSB_11use_defaultESD_SD_EEPNS0_10empty_typeENS0_5tupleIJPlSF_EEENSH_IJSI_SG_EEENS0_18inequality_wrapperIN6hipcub16HIPCUB_304000_NS8EqualityEEESI_JSF_EEE10hipError_tPvRmT3_T4_T5_T6_T7_T9_mT8_P12ihipStream_tbDpT10_ENKUlT_T0_E_clISt17integral_constantIbLb0EES19_EEDaS14_S15_EUlS14_E_NS1_11comp_targetILNS1_3genE8ELNS1_11target_archE1030ELNS1_3gpuE2ELNS1_3repE0EEENS1_30default_config_static_selectorELNS0_4arch9wavefront6targetE0EEEvT1_,"axG",@progbits,_ZN7rocprim17ROCPRIM_400000_NS6detail17trampoline_kernelINS0_14default_configENS1_25partition_config_selectorILNS1_17partition_subalgoE9EllbEEZZNS1_14partition_implILS5_9ELb0ES3_jPKlN6thrust23THRUST_200600_302600_NS17counting_iteratorIlNSB_11use_defaultESD_SD_EEPNS0_10empty_typeENS0_5tupleIJPlSF_EEENSH_IJSI_SG_EEENS0_18inequality_wrapperIN6hipcub16HIPCUB_304000_NS8EqualityEEESI_JSF_EEE10hipError_tPvRmT3_T4_T5_T6_T7_T9_mT8_P12ihipStream_tbDpT10_ENKUlT_T0_E_clISt17integral_constantIbLb0EES19_EEDaS14_S15_EUlS14_E_NS1_11comp_targetILNS1_3genE8ELNS1_11target_archE1030ELNS1_3gpuE2ELNS1_3repE0EEENS1_30default_config_static_selectorELNS0_4arch9wavefront6targetE0EEEvT1_,comdat
.Lfunc_end51:
	.size	_ZN7rocprim17ROCPRIM_400000_NS6detail17trampoline_kernelINS0_14default_configENS1_25partition_config_selectorILNS1_17partition_subalgoE9EllbEEZZNS1_14partition_implILS5_9ELb0ES3_jPKlN6thrust23THRUST_200600_302600_NS17counting_iteratorIlNSB_11use_defaultESD_SD_EEPNS0_10empty_typeENS0_5tupleIJPlSF_EEENSH_IJSI_SG_EEENS0_18inequality_wrapperIN6hipcub16HIPCUB_304000_NS8EqualityEEESI_JSF_EEE10hipError_tPvRmT3_T4_T5_T6_T7_T9_mT8_P12ihipStream_tbDpT10_ENKUlT_T0_E_clISt17integral_constantIbLb0EES19_EEDaS14_S15_EUlS14_E_NS1_11comp_targetILNS1_3genE8ELNS1_11target_archE1030ELNS1_3gpuE2ELNS1_3repE0EEENS1_30default_config_static_selectorELNS0_4arch9wavefront6targetE0EEEvT1_, .Lfunc_end51-_ZN7rocprim17ROCPRIM_400000_NS6detail17trampoline_kernelINS0_14default_configENS1_25partition_config_selectorILNS1_17partition_subalgoE9EllbEEZZNS1_14partition_implILS5_9ELb0ES3_jPKlN6thrust23THRUST_200600_302600_NS17counting_iteratorIlNSB_11use_defaultESD_SD_EEPNS0_10empty_typeENS0_5tupleIJPlSF_EEENSH_IJSI_SG_EEENS0_18inequality_wrapperIN6hipcub16HIPCUB_304000_NS8EqualityEEESI_JSF_EEE10hipError_tPvRmT3_T4_T5_T6_T7_T9_mT8_P12ihipStream_tbDpT10_ENKUlT_T0_E_clISt17integral_constantIbLb0EES19_EEDaS14_S15_EUlS14_E_NS1_11comp_targetILNS1_3genE8ELNS1_11target_archE1030ELNS1_3gpuE2ELNS1_3repE0EEENS1_30default_config_static_selectorELNS0_4arch9wavefront6targetE0EEEvT1_
                                        ; -- End function
	.set _ZN7rocprim17ROCPRIM_400000_NS6detail17trampoline_kernelINS0_14default_configENS1_25partition_config_selectorILNS1_17partition_subalgoE9EllbEEZZNS1_14partition_implILS5_9ELb0ES3_jPKlN6thrust23THRUST_200600_302600_NS17counting_iteratorIlNSB_11use_defaultESD_SD_EEPNS0_10empty_typeENS0_5tupleIJPlSF_EEENSH_IJSI_SG_EEENS0_18inequality_wrapperIN6hipcub16HIPCUB_304000_NS8EqualityEEESI_JSF_EEE10hipError_tPvRmT3_T4_T5_T6_T7_T9_mT8_P12ihipStream_tbDpT10_ENKUlT_T0_E_clISt17integral_constantIbLb0EES19_EEDaS14_S15_EUlS14_E_NS1_11comp_targetILNS1_3genE8ELNS1_11target_archE1030ELNS1_3gpuE2ELNS1_3repE0EEENS1_30default_config_static_selectorELNS0_4arch9wavefront6targetE0EEEvT1_.num_vgpr, 0
	.set _ZN7rocprim17ROCPRIM_400000_NS6detail17trampoline_kernelINS0_14default_configENS1_25partition_config_selectorILNS1_17partition_subalgoE9EllbEEZZNS1_14partition_implILS5_9ELb0ES3_jPKlN6thrust23THRUST_200600_302600_NS17counting_iteratorIlNSB_11use_defaultESD_SD_EEPNS0_10empty_typeENS0_5tupleIJPlSF_EEENSH_IJSI_SG_EEENS0_18inequality_wrapperIN6hipcub16HIPCUB_304000_NS8EqualityEEESI_JSF_EEE10hipError_tPvRmT3_T4_T5_T6_T7_T9_mT8_P12ihipStream_tbDpT10_ENKUlT_T0_E_clISt17integral_constantIbLb0EES19_EEDaS14_S15_EUlS14_E_NS1_11comp_targetILNS1_3genE8ELNS1_11target_archE1030ELNS1_3gpuE2ELNS1_3repE0EEENS1_30default_config_static_selectorELNS0_4arch9wavefront6targetE0EEEvT1_.num_agpr, 0
	.set _ZN7rocprim17ROCPRIM_400000_NS6detail17trampoline_kernelINS0_14default_configENS1_25partition_config_selectorILNS1_17partition_subalgoE9EllbEEZZNS1_14partition_implILS5_9ELb0ES3_jPKlN6thrust23THRUST_200600_302600_NS17counting_iteratorIlNSB_11use_defaultESD_SD_EEPNS0_10empty_typeENS0_5tupleIJPlSF_EEENSH_IJSI_SG_EEENS0_18inequality_wrapperIN6hipcub16HIPCUB_304000_NS8EqualityEEESI_JSF_EEE10hipError_tPvRmT3_T4_T5_T6_T7_T9_mT8_P12ihipStream_tbDpT10_ENKUlT_T0_E_clISt17integral_constantIbLb0EES19_EEDaS14_S15_EUlS14_E_NS1_11comp_targetILNS1_3genE8ELNS1_11target_archE1030ELNS1_3gpuE2ELNS1_3repE0EEENS1_30default_config_static_selectorELNS0_4arch9wavefront6targetE0EEEvT1_.numbered_sgpr, 0
	.set _ZN7rocprim17ROCPRIM_400000_NS6detail17trampoline_kernelINS0_14default_configENS1_25partition_config_selectorILNS1_17partition_subalgoE9EllbEEZZNS1_14partition_implILS5_9ELb0ES3_jPKlN6thrust23THRUST_200600_302600_NS17counting_iteratorIlNSB_11use_defaultESD_SD_EEPNS0_10empty_typeENS0_5tupleIJPlSF_EEENSH_IJSI_SG_EEENS0_18inequality_wrapperIN6hipcub16HIPCUB_304000_NS8EqualityEEESI_JSF_EEE10hipError_tPvRmT3_T4_T5_T6_T7_T9_mT8_P12ihipStream_tbDpT10_ENKUlT_T0_E_clISt17integral_constantIbLb0EES19_EEDaS14_S15_EUlS14_E_NS1_11comp_targetILNS1_3genE8ELNS1_11target_archE1030ELNS1_3gpuE2ELNS1_3repE0EEENS1_30default_config_static_selectorELNS0_4arch9wavefront6targetE0EEEvT1_.num_named_barrier, 0
	.set _ZN7rocprim17ROCPRIM_400000_NS6detail17trampoline_kernelINS0_14default_configENS1_25partition_config_selectorILNS1_17partition_subalgoE9EllbEEZZNS1_14partition_implILS5_9ELb0ES3_jPKlN6thrust23THRUST_200600_302600_NS17counting_iteratorIlNSB_11use_defaultESD_SD_EEPNS0_10empty_typeENS0_5tupleIJPlSF_EEENSH_IJSI_SG_EEENS0_18inequality_wrapperIN6hipcub16HIPCUB_304000_NS8EqualityEEESI_JSF_EEE10hipError_tPvRmT3_T4_T5_T6_T7_T9_mT8_P12ihipStream_tbDpT10_ENKUlT_T0_E_clISt17integral_constantIbLb0EES19_EEDaS14_S15_EUlS14_E_NS1_11comp_targetILNS1_3genE8ELNS1_11target_archE1030ELNS1_3gpuE2ELNS1_3repE0EEENS1_30default_config_static_selectorELNS0_4arch9wavefront6targetE0EEEvT1_.private_seg_size, 0
	.set _ZN7rocprim17ROCPRIM_400000_NS6detail17trampoline_kernelINS0_14default_configENS1_25partition_config_selectorILNS1_17partition_subalgoE9EllbEEZZNS1_14partition_implILS5_9ELb0ES3_jPKlN6thrust23THRUST_200600_302600_NS17counting_iteratorIlNSB_11use_defaultESD_SD_EEPNS0_10empty_typeENS0_5tupleIJPlSF_EEENSH_IJSI_SG_EEENS0_18inequality_wrapperIN6hipcub16HIPCUB_304000_NS8EqualityEEESI_JSF_EEE10hipError_tPvRmT3_T4_T5_T6_T7_T9_mT8_P12ihipStream_tbDpT10_ENKUlT_T0_E_clISt17integral_constantIbLb0EES19_EEDaS14_S15_EUlS14_E_NS1_11comp_targetILNS1_3genE8ELNS1_11target_archE1030ELNS1_3gpuE2ELNS1_3repE0EEENS1_30default_config_static_selectorELNS0_4arch9wavefront6targetE0EEEvT1_.uses_vcc, 0
	.set _ZN7rocprim17ROCPRIM_400000_NS6detail17trampoline_kernelINS0_14default_configENS1_25partition_config_selectorILNS1_17partition_subalgoE9EllbEEZZNS1_14partition_implILS5_9ELb0ES3_jPKlN6thrust23THRUST_200600_302600_NS17counting_iteratorIlNSB_11use_defaultESD_SD_EEPNS0_10empty_typeENS0_5tupleIJPlSF_EEENSH_IJSI_SG_EEENS0_18inequality_wrapperIN6hipcub16HIPCUB_304000_NS8EqualityEEESI_JSF_EEE10hipError_tPvRmT3_T4_T5_T6_T7_T9_mT8_P12ihipStream_tbDpT10_ENKUlT_T0_E_clISt17integral_constantIbLb0EES19_EEDaS14_S15_EUlS14_E_NS1_11comp_targetILNS1_3genE8ELNS1_11target_archE1030ELNS1_3gpuE2ELNS1_3repE0EEENS1_30default_config_static_selectorELNS0_4arch9wavefront6targetE0EEEvT1_.uses_flat_scratch, 0
	.set _ZN7rocprim17ROCPRIM_400000_NS6detail17trampoline_kernelINS0_14default_configENS1_25partition_config_selectorILNS1_17partition_subalgoE9EllbEEZZNS1_14partition_implILS5_9ELb0ES3_jPKlN6thrust23THRUST_200600_302600_NS17counting_iteratorIlNSB_11use_defaultESD_SD_EEPNS0_10empty_typeENS0_5tupleIJPlSF_EEENSH_IJSI_SG_EEENS0_18inequality_wrapperIN6hipcub16HIPCUB_304000_NS8EqualityEEESI_JSF_EEE10hipError_tPvRmT3_T4_T5_T6_T7_T9_mT8_P12ihipStream_tbDpT10_ENKUlT_T0_E_clISt17integral_constantIbLb0EES19_EEDaS14_S15_EUlS14_E_NS1_11comp_targetILNS1_3genE8ELNS1_11target_archE1030ELNS1_3gpuE2ELNS1_3repE0EEENS1_30default_config_static_selectorELNS0_4arch9wavefront6targetE0EEEvT1_.has_dyn_sized_stack, 0
	.set _ZN7rocprim17ROCPRIM_400000_NS6detail17trampoline_kernelINS0_14default_configENS1_25partition_config_selectorILNS1_17partition_subalgoE9EllbEEZZNS1_14partition_implILS5_9ELb0ES3_jPKlN6thrust23THRUST_200600_302600_NS17counting_iteratorIlNSB_11use_defaultESD_SD_EEPNS0_10empty_typeENS0_5tupleIJPlSF_EEENSH_IJSI_SG_EEENS0_18inequality_wrapperIN6hipcub16HIPCUB_304000_NS8EqualityEEESI_JSF_EEE10hipError_tPvRmT3_T4_T5_T6_T7_T9_mT8_P12ihipStream_tbDpT10_ENKUlT_T0_E_clISt17integral_constantIbLb0EES19_EEDaS14_S15_EUlS14_E_NS1_11comp_targetILNS1_3genE8ELNS1_11target_archE1030ELNS1_3gpuE2ELNS1_3repE0EEENS1_30default_config_static_selectorELNS0_4arch9wavefront6targetE0EEEvT1_.has_recursion, 0
	.set _ZN7rocprim17ROCPRIM_400000_NS6detail17trampoline_kernelINS0_14default_configENS1_25partition_config_selectorILNS1_17partition_subalgoE9EllbEEZZNS1_14partition_implILS5_9ELb0ES3_jPKlN6thrust23THRUST_200600_302600_NS17counting_iteratorIlNSB_11use_defaultESD_SD_EEPNS0_10empty_typeENS0_5tupleIJPlSF_EEENSH_IJSI_SG_EEENS0_18inequality_wrapperIN6hipcub16HIPCUB_304000_NS8EqualityEEESI_JSF_EEE10hipError_tPvRmT3_T4_T5_T6_T7_T9_mT8_P12ihipStream_tbDpT10_ENKUlT_T0_E_clISt17integral_constantIbLb0EES19_EEDaS14_S15_EUlS14_E_NS1_11comp_targetILNS1_3genE8ELNS1_11target_archE1030ELNS1_3gpuE2ELNS1_3repE0EEENS1_30default_config_static_selectorELNS0_4arch9wavefront6targetE0EEEvT1_.has_indirect_call, 0
	.section	.AMDGPU.csdata,"",@progbits
; Kernel info:
; codeLenInByte = 0
; TotalNumSgprs: 0
; NumVgprs: 0
; ScratchSize: 0
; MemoryBound: 0
; FloatMode: 240
; IeeeMode: 1
; LDSByteSize: 0 bytes/workgroup (compile time only)
; SGPRBlocks: 0
; VGPRBlocks: 0
; NumSGPRsForWavesPerEU: 1
; NumVGPRsForWavesPerEU: 1
; NamedBarCnt: 0
; Occupancy: 16
; WaveLimiterHint : 0
; COMPUTE_PGM_RSRC2:SCRATCH_EN: 0
; COMPUTE_PGM_RSRC2:USER_SGPR: 2
; COMPUTE_PGM_RSRC2:TRAP_HANDLER: 0
; COMPUTE_PGM_RSRC2:TGID_X_EN: 1
; COMPUTE_PGM_RSRC2:TGID_Y_EN: 0
; COMPUTE_PGM_RSRC2:TGID_Z_EN: 0
; COMPUTE_PGM_RSRC2:TIDIG_COMP_CNT: 0
	.section	.text._ZN7rocprim17ROCPRIM_400000_NS6detail17trampoline_kernelINS0_14default_configENS1_25partition_config_selectorILNS1_17partition_subalgoE9EllbEEZZNS1_14partition_implILS5_9ELb0ES3_jPKlN6thrust23THRUST_200600_302600_NS17counting_iteratorIlNSB_11use_defaultESD_SD_EEPNS0_10empty_typeENS0_5tupleIJPlSF_EEENSH_IJSI_SG_EEENS0_18inequality_wrapperIN6hipcub16HIPCUB_304000_NS8EqualityEEESI_JSF_EEE10hipError_tPvRmT3_T4_T5_T6_T7_T9_mT8_P12ihipStream_tbDpT10_ENKUlT_T0_E_clISt17integral_constantIbLb1EES19_EEDaS14_S15_EUlS14_E_NS1_11comp_targetILNS1_3genE0ELNS1_11target_archE4294967295ELNS1_3gpuE0ELNS1_3repE0EEENS1_30default_config_static_selectorELNS0_4arch9wavefront6targetE0EEEvT1_,"axG",@progbits,_ZN7rocprim17ROCPRIM_400000_NS6detail17trampoline_kernelINS0_14default_configENS1_25partition_config_selectorILNS1_17partition_subalgoE9EllbEEZZNS1_14partition_implILS5_9ELb0ES3_jPKlN6thrust23THRUST_200600_302600_NS17counting_iteratorIlNSB_11use_defaultESD_SD_EEPNS0_10empty_typeENS0_5tupleIJPlSF_EEENSH_IJSI_SG_EEENS0_18inequality_wrapperIN6hipcub16HIPCUB_304000_NS8EqualityEEESI_JSF_EEE10hipError_tPvRmT3_T4_T5_T6_T7_T9_mT8_P12ihipStream_tbDpT10_ENKUlT_T0_E_clISt17integral_constantIbLb1EES19_EEDaS14_S15_EUlS14_E_NS1_11comp_targetILNS1_3genE0ELNS1_11target_archE4294967295ELNS1_3gpuE0ELNS1_3repE0EEENS1_30default_config_static_selectorELNS0_4arch9wavefront6targetE0EEEvT1_,comdat
	.protected	_ZN7rocprim17ROCPRIM_400000_NS6detail17trampoline_kernelINS0_14default_configENS1_25partition_config_selectorILNS1_17partition_subalgoE9EllbEEZZNS1_14partition_implILS5_9ELb0ES3_jPKlN6thrust23THRUST_200600_302600_NS17counting_iteratorIlNSB_11use_defaultESD_SD_EEPNS0_10empty_typeENS0_5tupleIJPlSF_EEENSH_IJSI_SG_EEENS0_18inequality_wrapperIN6hipcub16HIPCUB_304000_NS8EqualityEEESI_JSF_EEE10hipError_tPvRmT3_T4_T5_T6_T7_T9_mT8_P12ihipStream_tbDpT10_ENKUlT_T0_E_clISt17integral_constantIbLb1EES19_EEDaS14_S15_EUlS14_E_NS1_11comp_targetILNS1_3genE0ELNS1_11target_archE4294967295ELNS1_3gpuE0ELNS1_3repE0EEENS1_30default_config_static_selectorELNS0_4arch9wavefront6targetE0EEEvT1_ ; -- Begin function _ZN7rocprim17ROCPRIM_400000_NS6detail17trampoline_kernelINS0_14default_configENS1_25partition_config_selectorILNS1_17partition_subalgoE9EllbEEZZNS1_14partition_implILS5_9ELb0ES3_jPKlN6thrust23THRUST_200600_302600_NS17counting_iteratorIlNSB_11use_defaultESD_SD_EEPNS0_10empty_typeENS0_5tupleIJPlSF_EEENSH_IJSI_SG_EEENS0_18inequality_wrapperIN6hipcub16HIPCUB_304000_NS8EqualityEEESI_JSF_EEE10hipError_tPvRmT3_T4_T5_T6_T7_T9_mT8_P12ihipStream_tbDpT10_ENKUlT_T0_E_clISt17integral_constantIbLb1EES19_EEDaS14_S15_EUlS14_E_NS1_11comp_targetILNS1_3genE0ELNS1_11target_archE4294967295ELNS1_3gpuE0ELNS1_3repE0EEENS1_30default_config_static_selectorELNS0_4arch9wavefront6targetE0EEEvT1_
	.globl	_ZN7rocprim17ROCPRIM_400000_NS6detail17trampoline_kernelINS0_14default_configENS1_25partition_config_selectorILNS1_17partition_subalgoE9EllbEEZZNS1_14partition_implILS5_9ELb0ES3_jPKlN6thrust23THRUST_200600_302600_NS17counting_iteratorIlNSB_11use_defaultESD_SD_EEPNS0_10empty_typeENS0_5tupleIJPlSF_EEENSH_IJSI_SG_EEENS0_18inequality_wrapperIN6hipcub16HIPCUB_304000_NS8EqualityEEESI_JSF_EEE10hipError_tPvRmT3_T4_T5_T6_T7_T9_mT8_P12ihipStream_tbDpT10_ENKUlT_T0_E_clISt17integral_constantIbLb1EES19_EEDaS14_S15_EUlS14_E_NS1_11comp_targetILNS1_3genE0ELNS1_11target_archE4294967295ELNS1_3gpuE0ELNS1_3repE0EEENS1_30default_config_static_selectorELNS0_4arch9wavefront6targetE0EEEvT1_
	.p2align	8
	.type	_ZN7rocprim17ROCPRIM_400000_NS6detail17trampoline_kernelINS0_14default_configENS1_25partition_config_selectorILNS1_17partition_subalgoE9EllbEEZZNS1_14partition_implILS5_9ELb0ES3_jPKlN6thrust23THRUST_200600_302600_NS17counting_iteratorIlNSB_11use_defaultESD_SD_EEPNS0_10empty_typeENS0_5tupleIJPlSF_EEENSH_IJSI_SG_EEENS0_18inequality_wrapperIN6hipcub16HIPCUB_304000_NS8EqualityEEESI_JSF_EEE10hipError_tPvRmT3_T4_T5_T6_T7_T9_mT8_P12ihipStream_tbDpT10_ENKUlT_T0_E_clISt17integral_constantIbLb1EES19_EEDaS14_S15_EUlS14_E_NS1_11comp_targetILNS1_3genE0ELNS1_11target_archE4294967295ELNS1_3gpuE0ELNS1_3repE0EEENS1_30default_config_static_selectorELNS0_4arch9wavefront6targetE0EEEvT1_,@function
_ZN7rocprim17ROCPRIM_400000_NS6detail17trampoline_kernelINS0_14default_configENS1_25partition_config_selectorILNS1_17partition_subalgoE9EllbEEZZNS1_14partition_implILS5_9ELb0ES3_jPKlN6thrust23THRUST_200600_302600_NS17counting_iteratorIlNSB_11use_defaultESD_SD_EEPNS0_10empty_typeENS0_5tupleIJPlSF_EEENSH_IJSI_SG_EEENS0_18inequality_wrapperIN6hipcub16HIPCUB_304000_NS8EqualityEEESI_JSF_EEE10hipError_tPvRmT3_T4_T5_T6_T7_T9_mT8_P12ihipStream_tbDpT10_ENKUlT_T0_E_clISt17integral_constantIbLb1EES19_EEDaS14_S15_EUlS14_E_NS1_11comp_targetILNS1_3genE0ELNS1_11target_archE4294967295ELNS1_3gpuE0ELNS1_3repE0EEENS1_30default_config_static_selectorELNS0_4arch9wavefront6targetE0EEEvT1_: ; @_ZN7rocprim17ROCPRIM_400000_NS6detail17trampoline_kernelINS0_14default_configENS1_25partition_config_selectorILNS1_17partition_subalgoE9EllbEEZZNS1_14partition_implILS5_9ELb0ES3_jPKlN6thrust23THRUST_200600_302600_NS17counting_iteratorIlNSB_11use_defaultESD_SD_EEPNS0_10empty_typeENS0_5tupleIJPlSF_EEENSH_IJSI_SG_EEENS0_18inequality_wrapperIN6hipcub16HIPCUB_304000_NS8EqualityEEESI_JSF_EEE10hipError_tPvRmT3_T4_T5_T6_T7_T9_mT8_P12ihipStream_tbDpT10_ENKUlT_T0_E_clISt17integral_constantIbLb1EES19_EEDaS14_S15_EUlS14_E_NS1_11comp_targetILNS1_3genE0ELNS1_11target_archE4294967295ELNS1_3gpuE0ELNS1_3repE0EEENS1_30default_config_static_selectorELNS0_4arch9wavefront6targetE0EEEvT1_
; %bb.0:
	s_endpgm
	.section	.rodata,"a",@progbits
	.p2align	6, 0x0
	.amdhsa_kernel _ZN7rocprim17ROCPRIM_400000_NS6detail17trampoline_kernelINS0_14default_configENS1_25partition_config_selectorILNS1_17partition_subalgoE9EllbEEZZNS1_14partition_implILS5_9ELb0ES3_jPKlN6thrust23THRUST_200600_302600_NS17counting_iteratorIlNSB_11use_defaultESD_SD_EEPNS0_10empty_typeENS0_5tupleIJPlSF_EEENSH_IJSI_SG_EEENS0_18inequality_wrapperIN6hipcub16HIPCUB_304000_NS8EqualityEEESI_JSF_EEE10hipError_tPvRmT3_T4_T5_T6_T7_T9_mT8_P12ihipStream_tbDpT10_ENKUlT_T0_E_clISt17integral_constantIbLb1EES19_EEDaS14_S15_EUlS14_E_NS1_11comp_targetILNS1_3genE0ELNS1_11target_archE4294967295ELNS1_3gpuE0ELNS1_3repE0EEENS1_30default_config_static_selectorELNS0_4arch9wavefront6targetE0EEEvT1_
		.amdhsa_group_segment_fixed_size 0
		.amdhsa_private_segment_fixed_size 0
		.amdhsa_kernarg_size 128
		.amdhsa_user_sgpr_count 2
		.amdhsa_user_sgpr_dispatch_ptr 0
		.amdhsa_user_sgpr_queue_ptr 0
		.amdhsa_user_sgpr_kernarg_segment_ptr 1
		.amdhsa_user_sgpr_dispatch_id 0
		.amdhsa_user_sgpr_kernarg_preload_length 0
		.amdhsa_user_sgpr_kernarg_preload_offset 0
		.amdhsa_user_sgpr_private_segment_size 0
		.amdhsa_wavefront_size32 1
		.amdhsa_uses_dynamic_stack 0
		.amdhsa_enable_private_segment 0
		.amdhsa_system_sgpr_workgroup_id_x 1
		.amdhsa_system_sgpr_workgroup_id_y 0
		.amdhsa_system_sgpr_workgroup_id_z 0
		.amdhsa_system_sgpr_workgroup_info 0
		.amdhsa_system_vgpr_workitem_id 0
		.amdhsa_next_free_vgpr 1
		.amdhsa_next_free_sgpr 1
		.amdhsa_named_barrier_count 0
		.amdhsa_reserve_vcc 0
		.amdhsa_float_round_mode_32 0
		.amdhsa_float_round_mode_16_64 0
		.amdhsa_float_denorm_mode_32 3
		.amdhsa_float_denorm_mode_16_64 3
		.amdhsa_fp16_overflow 0
		.amdhsa_memory_ordered 1
		.amdhsa_forward_progress 1
		.amdhsa_inst_pref_size 1
		.amdhsa_round_robin_scheduling 0
		.amdhsa_exception_fp_ieee_invalid_op 0
		.amdhsa_exception_fp_denorm_src 0
		.amdhsa_exception_fp_ieee_div_zero 0
		.amdhsa_exception_fp_ieee_overflow 0
		.amdhsa_exception_fp_ieee_underflow 0
		.amdhsa_exception_fp_ieee_inexact 0
		.amdhsa_exception_int_div_zero 0
	.end_amdhsa_kernel
	.section	.text._ZN7rocprim17ROCPRIM_400000_NS6detail17trampoline_kernelINS0_14default_configENS1_25partition_config_selectorILNS1_17partition_subalgoE9EllbEEZZNS1_14partition_implILS5_9ELb0ES3_jPKlN6thrust23THRUST_200600_302600_NS17counting_iteratorIlNSB_11use_defaultESD_SD_EEPNS0_10empty_typeENS0_5tupleIJPlSF_EEENSH_IJSI_SG_EEENS0_18inequality_wrapperIN6hipcub16HIPCUB_304000_NS8EqualityEEESI_JSF_EEE10hipError_tPvRmT3_T4_T5_T6_T7_T9_mT8_P12ihipStream_tbDpT10_ENKUlT_T0_E_clISt17integral_constantIbLb1EES19_EEDaS14_S15_EUlS14_E_NS1_11comp_targetILNS1_3genE0ELNS1_11target_archE4294967295ELNS1_3gpuE0ELNS1_3repE0EEENS1_30default_config_static_selectorELNS0_4arch9wavefront6targetE0EEEvT1_,"axG",@progbits,_ZN7rocprim17ROCPRIM_400000_NS6detail17trampoline_kernelINS0_14default_configENS1_25partition_config_selectorILNS1_17partition_subalgoE9EllbEEZZNS1_14partition_implILS5_9ELb0ES3_jPKlN6thrust23THRUST_200600_302600_NS17counting_iteratorIlNSB_11use_defaultESD_SD_EEPNS0_10empty_typeENS0_5tupleIJPlSF_EEENSH_IJSI_SG_EEENS0_18inequality_wrapperIN6hipcub16HIPCUB_304000_NS8EqualityEEESI_JSF_EEE10hipError_tPvRmT3_T4_T5_T6_T7_T9_mT8_P12ihipStream_tbDpT10_ENKUlT_T0_E_clISt17integral_constantIbLb1EES19_EEDaS14_S15_EUlS14_E_NS1_11comp_targetILNS1_3genE0ELNS1_11target_archE4294967295ELNS1_3gpuE0ELNS1_3repE0EEENS1_30default_config_static_selectorELNS0_4arch9wavefront6targetE0EEEvT1_,comdat
.Lfunc_end52:
	.size	_ZN7rocprim17ROCPRIM_400000_NS6detail17trampoline_kernelINS0_14default_configENS1_25partition_config_selectorILNS1_17partition_subalgoE9EllbEEZZNS1_14partition_implILS5_9ELb0ES3_jPKlN6thrust23THRUST_200600_302600_NS17counting_iteratorIlNSB_11use_defaultESD_SD_EEPNS0_10empty_typeENS0_5tupleIJPlSF_EEENSH_IJSI_SG_EEENS0_18inequality_wrapperIN6hipcub16HIPCUB_304000_NS8EqualityEEESI_JSF_EEE10hipError_tPvRmT3_T4_T5_T6_T7_T9_mT8_P12ihipStream_tbDpT10_ENKUlT_T0_E_clISt17integral_constantIbLb1EES19_EEDaS14_S15_EUlS14_E_NS1_11comp_targetILNS1_3genE0ELNS1_11target_archE4294967295ELNS1_3gpuE0ELNS1_3repE0EEENS1_30default_config_static_selectorELNS0_4arch9wavefront6targetE0EEEvT1_, .Lfunc_end52-_ZN7rocprim17ROCPRIM_400000_NS6detail17trampoline_kernelINS0_14default_configENS1_25partition_config_selectorILNS1_17partition_subalgoE9EllbEEZZNS1_14partition_implILS5_9ELb0ES3_jPKlN6thrust23THRUST_200600_302600_NS17counting_iteratorIlNSB_11use_defaultESD_SD_EEPNS0_10empty_typeENS0_5tupleIJPlSF_EEENSH_IJSI_SG_EEENS0_18inequality_wrapperIN6hipcub16HIPCUB_304000_NS8EqualityEEESI_JSF_EEE10hipError_tPvRmT3_T4_T5_T6_T7_T9_mT8_P12ihipStream_tbDpT10_ENKUlT_T0_E_clISt17integral_constantIbLb1EES19_EEDaS14_S15_EUlS14_E_NS1_11comp_targetILNS1_3genE0ELNS1_11target_archE4294967295ELNS1_3gpuE0ELNS1_3repE0EEENS1_30default_config_static_selectorELNS0_4arch9wavefront6targetE0EEEvT1_
                                        ; -- End function
	.set _ZN7rocprim17ROCPRIM_400000_NS6detail17trampoline_kernelINS0_14default_configENS1_25partition_config_selectorILNS1_17partition_subalgoE9EllbEEZZNS1_14partition_implILS5_9ELb0ES3_jPKlN6thrust23THRUST_200600_302600_NS17counting_iteratorIlNSB_11use_defaultESD_SD_EEPNS0_10empty_typeENS0_5tupleIJPlSF_EEENSH_IJSI_SG_EEENS0_18inequality_wrapperIN6hipcub16HIPCUB_304000_NS8EqualityEEESI_JSF_EEE10hipError_tPvRmT3_T4_T5_T6_T7_T9_mT8_P12ihipStream_tbDpT10_ENKUlT_T0_E_clISt17integral_constantIbLb1EES19_EEDaS14_S15_EUlS14_E_NS1_11comp_targetILNS1_3genE0ELNS1_11target_archE4294967295ELNS1_3gpuE0ELNS1_3repE0EEENS1_30default_config_static_selectorELNS0_4arch9wavefront6targetE0EEEvT1_.num_vgpr, 0
	.set _ZN7rocprim17ROCPRIM_400000_NS6detail17trampoline_kernelINS0_14default_configENS1_25partition_config_selectorILNS1_17partition_subalgoE9EllbEEZZNS1_14partition_implILS5_9ELb0ES3_jPKlN6thrust23THRUST_200600_302600_NS17counting_iteratorIlNSB_11use_defaultESD_SD_EEPNS0_10empty_typeENS0_5tupleIJPlSF_EEENSH_IJSI_SG_EEENS0_18inequality_wrapperIN6hipcub16HIPCUB_304000_NS8EqualityEEESI_JSF_EEE10hipError_tPvRmT3_T4_T5_T6_T7_T9_mT8_P12ihipStream_tbDpT10_ENKUlT_T0_E_clISt17integral_constantIbLb1EES19_EEDaS14_S15_EUlS14_E_NS1_11comp_targetILNS1_3genE0ELNS1_11target_archE4294967295ELNS1_3gpuE0ELNS1_3repE0EEENS1_30default_config_static_selectorELNS0_4arch9wavefront6targetE0EEEvT1_.num_agpr, 0
	.set _ZN7rocprim17ROCPRIM_400000_NS6detail17trampoline_kernelINS0_14default_configENS1_25partition_config_selectorILNS1_17partition_subalgoE9EllbEEZZNS1_14partition_implILS5_9ELb0ES3_jPKlN6thrust23THRUST_200600_302600_NS17counting_iteratorIlNSB_11use_defaultESD_SD_EEPNS0_10empty_typeENS0_5tupleIJPlSF_EEENSH_IJSI_SG_EEENS0_18inequality_wrapperIN6hipcub16HIPCUB_304000_NS8EqualityEEESI_JSF_EEE10hipError_tPvRmT3_T4_T5_T6_T7_T9_mT8_P12ihipStream_tbDpT10_ENKUlT_T0_E_clISt17integral_constantIbLb1EES19_EEDaS14_S15_EUlS14_E_NS1_11comp_targetILNS1_3genE0ELNS1_11target_archE4294967295ELNS1_3gpuE0ELNS1_3repE0EEENS1_30default_config_static_selectorELNS0_4arch9wavefront6targetE0EEEvT1_.numbered_sgpr, 0
	.set _ZN7rocprim17ROCPRIM_400000_NS6detail17trampoline_kernelINS0_14default_configENS1_25partition_config_selectorILNS1_17partition_subalgoE9EllbEEZZNS1_14partition_implILS5_9ELb0ES3_jPKlN6thrust23THRUST_200600_302600_NS17counting_iteratorIlNSB_11use_defaultESD_SD_EEPNS0_10empty_typeENS0_5tupleIJPlSF_EEENSH_IJSI_SG_EEENS0_18inequality_wrapperIN6hipcub16HIPCUB_304000_NS8EqualityEEESI_JSF_EEE10hipError_tPvRmT3_T4_T5_T6_T7_T9_mT8_P12ihipStream_tbDpT10_ENKUlT_T0_E_clISt17integral_constantIbLb1EES19_EEDaS14_S15_EUlS14_E_NS1_11comp_targetILNS1_3genE0ELNS1_11target_archE4294967295ELNS1_3gpuE0ELNS1_3repE0EEENS1_30default_config_static_selectorELNS0_4arch9wavefront6targetE0EEEvT1_.num_named_barrier, 0
	.set _ZN7rocprim17ROCPRIM_400000_NS6detail17trampoline_kernelINS0_14default_configENS1_25partition_config_selectorILNS1_17partition_subalgoE9EllbEEZZNS1_14partition_implILS5_9ELb0ES3_jPKlN6thrust23THRUST_200600_302600_NS17counting_iteratorIlNSB_11use_defaultESD_SD_EEPNS0_10empty_typeENS0_5tupleIJPlSF_EEENSH_IJSI_SG_EEENS0_18inequality_wrapperIN6hipcub16HIPCUB_304000_NS8EqualityEEESI_JSF_EEE10hipError_tPvRmT3_T4_T5_T6_T7_T9_mT8_P12ihipStream_tbDpT10_ENKUlT_T0_E_clISt17integral_constantIbLb1EES19_EEDaS14_S15_EUlS14_E_NS1_11comp_targetILNS1_3genE0ELNS1_11target_archE4294967295ELNS1_3gpuE0ELNS1_3repE0EEENS1_30default_config_static_selectorELNS0_4arch9wavefront6targetE0EEEvT1_.private_seg_size, 0
	.set _ZN7rocprim17ROCPRIM_400000_NS6detail17trampoline_kernelINS0_14default_configENS1_25partition_config_selectorILNS1_17partition_subalgoE9EllbEEZZNS1_14partition_implILS5_9ELb0ES3_jPKlN6thrust23THRUST_200600_302600_NS17counting_iteratorIlNSB_11use_defaultESD_SD_EEPNS0_10empty_typeENS0_5tupleIJPlSF_EEENSH_IJSI_SG_EEENS0_18inequality_wrapperIN6hipcub16HIPCUB_304000_NS8EqualityEEESI_JSF_EEE10hipError_tPvRmT3_T4_T5_T6_T7_T9_mT8_P12ihipStream_tbDpT10_ENKUlT_T0_E_clISt17integral_constantIbLb1EES19_EEDaS14_S15_EUlS14_E_NS1_11comp_targetILNS1_3genE0ELNS1_11target_archE4294967295ELNS1_3gpuE0ELNS1_3repE0EEENS1_30default_config_static_selectorELNS0_4arch9wavefront6targetE0EEEvT1_.uses_vcc, 0
	.set _ZN7rocprim17ROCPRIM_400000_NS6detail17trampoline_kernelINS0_14default_configENS1_25partition_config_selectorILNS1_17partition_subalgoE9EllbEEZZNS1_14partition_implILS5_9ELb0ES3_jPKlN6thrust23THRUST_200600_302600_NS17counting_iteratorIlNSB_11use_defaultESD_SD_EEPNS0_10empty_typeENS0_5tupleIJPlSF_EEENSH_IJSI_SG_EEENS0_18inequality_wrapperIN6hipcub16HIPCUB_304000_NS8EqualityEEESI_JSF_EEE10hipError_tPvRmT3_T4_T5_T6_T7_T9_mT8_P12ihipStream_tbDpT10_ENKUlT_T0_E_clISt17integral_constantIbLb1EES19_EEDaS14_S15_EUlS14_E_NS1_11comp_targetILNS1_3genE0ELNS1_11target_archE4294967295ELNS1_3gpuE0ELNS1_3repE0EEENS1_30default_config_static_selectorELNS0_4arch9wavefront6targetE0EEEvT1_.uses_flat_scratch, 0
	.set _ZN7rocprim17ROCPRIM_400000_NS6detail17trampoline_kernelINS0_14default_configENS1_25partition_config_selectorILNS1_17partition_subalgoE9EllbEEZZNS1_14partition_implILS5_9ELb0ES3_jPKlN6thrust23THRUST_200600_302600_NS17counting_iteratorIlNSB_11use_defaultESD_SD_EEPNS0_10empty_typeENS0_5tupleIJPlSF_EEENSH_IJSI_SG_EEENS0_18inequality_wrapperIN6hipcub16HIPCUB_304000_NS8EqualityEEESI_JSF_EEE10hipError_tPvRmT3_T4_T5_T6_T7_T9_mT8_P12ihipStream_tbDpT10_ENKUlT_T0_E_clISt17integral_constantIbLb1EES19_EEDaS14_S15_EUlS14_E_NS1_11comp_targetILNS1_3genE0ELNS1_11target_archE4294967295ELNS1_3gpuE0ELNS1_3repE0EEENS1_30default_config_static_selectorELNS0_4arch9wavefront6targetE0EEEvT1_.has_dyn_sized_stack, 0
	.set _ZN7rocprim17ROCPRIM_400000_NS6detail17trampoline_kernelINS0_14default_configENS1_25partition_config_selectorILNS1_17partition_subalgoE9EllbEEZZNS1_14partition_implILS5_9ELb0ES3_jPKlN6thrust23THRUST_200600_302600_NS17counting_iteratorIlNSB_11use_defaultESD_SD_EEPNS0_10empty_typeENS0_5tupleIJPlSF_EEENSH_IJSI_SG_EEENS0_18inequality_wrapperIN6hipcub16HIPCUB_304000_NS8EqualityEEESI_JSF_EEE10hipError_tPvRmT3_T4_T5_T6_T7_T9_mT8_P12ihipStream_tbDpT10_ENKUlT_T0_E_clISt17integral_constantIbLb1EES19_EEDaS14_S15_EUlS14_E_NS1_11comp_targetILNS1_3genE0ELNS1_11target_archE4294967295ELNS1_3gpuE0ELNS1_3repE0EEENS1_30default_config_static_selectorELNS0_4arch9wavefront6targetE0EEEvT1_.has_recursion, 0
	.set _ZN7rocprim17ROCPRIM_400000_NS6detail17trampoline_kernelINS0_14default_configENS1_25partition_config_selectorILNS1_17partition_subalgoE9EllbEEZZNS1_14partition_implILS5_9ELb0ES3_jPKlN6thrust23THRUST_200600_302600_NS17counting_iteratorIlNSB_11use_defaultESD_SD_EEPNS0_10empty_typeENS0_5tupleIJPlSF_EEENSH_IJSI_SG_EEENS0_18inequality_wrapperIN6hipcub16HIPCUB_304000_NS8EqualityEEESI_JSF_EEE10hipError_tPvRmT3_T4_T5_T6_T7_T9_mT8_P12ihipStream_tbDpT10_ENKUlT_T0_E_clISt17integral_constantIbLb1EES19_EEDaS14_S15_EUlS14_E_NS1_11comp_targetILNS1_3genE0ELNS1_11target_archE4294967295ELNS1_3gpuE0ELNS1_3repE0EEENS1_30default_config_static_selectorELNS0_4arch9wavefront6targetE0EEEvT1_.has_indirect_call, 0
	.section	.AMDGPU.csdata,"",@progbits
; Kernel info:
; codeLenInByte = 4
; TotalNumSgprs: 0
; NumVgprs: 0
; ScratchSize: 0
; MemoryBound: 0
; FloatMode: 240
; IeeeMode: 1
; LDSByteSize: 0 bytes/workgroup (compile time only)
; SGPRBlocks: 0
; VGPRBlocks: 0
; NumSGPRsForWavesPerEU: 1
; NumVGPRsForWavesPerEU: 1
; NamedBarCnt: 0
; Occupancy: 16
; WaveLimiterHint : 0
; COMPUTE_PGM_RSRC2:SCRATCH_EN: 0
; COMPUTE_PGM_RSRC2:USER_SGPR: 2
; COMPUTE_PGM_RSRC2:TRAP_HANDLER: 0
; COMPUTE_PGM_RSRC2:TGID_X_EN: 1
; COMPUTE_PGM_RSRC2:TGID_Y_EN: 0
; COMPUTE_PGM_RSRC2:TGID_Z_EN: 0
; COMPUTE_PGM_RSRC2:TIDIG_COMP_CNT: 0
	.section	.text._ZN7rocprim17ROCPRIM_400000_NS6detail17trampoline_kernelINS0_14default_configENS1_25partition_config_selectorILNS1_17partition_subalgoE9EllbEEZZNS1_14partition_implILS5_9ELb0ES3_jPKlN6thrust23THRUST_200600_302600_NS17counting_iteratorIlNSB_11use_defaultESD_SD_EEPNS0_10empty_typeENS0_5tupleIJPlSF_EEENSH_IJSI_SG_EEENS0_18inequality_wrapperIN6hipcub16HIPCUB_304000_NS8EqualityEEESI_JSF_EEE10hipError_tPvRmT3_T4_T5_T6_T7_T9_mT8_P12ihipStream_tbDpT10_ENKUlT_T0_E_clISt17integral_constantIbLb1EES19_EEDaS14_S15_EUlS14_E_NS1_11comp_targetILNS1_3genE5ELNS1_11target_archE942ELNS1_3gpuE9ELNS1_3repE0EEENS1_30default_config_static_selectorELNS0_4arch9wavefront6targetE0EEEvT1_,"axG",@progbits,_ZN7rocprim17ROCPRIM_400000_NS6detail17trampoline_kernelINS0_14default_configENS1_25partition_config_selectorILNS1_17partition_subalgoE9EllbEEZZNS1_14partition_implILS5_9ELb0ES3_jPKlN6thrust23THRUST_200600_302600_NS17counting_iteratorIlNSB_11use_defaultESD_SD_EEPNS0_10empty_typeENS0_5tupleIJPlSF_EEENSH_IJSI_SG_EEENS0_18inequality_wrapperIN6hipcub16HIPCUB_304000_NS8EqualityEEESI_JSF_EEE10hipError_tPvRmT3_T4_T5_T6_T7_T9_mT8_P12ihipStream_tbDpT10_ENKUlT_T0_E_clISt17integral_constantIbLb1EES19_EEDaS14_S15_EUlS14_E_NS1_11comp_targetILNS1_3genE5ELNS1_11target_archE942ELNS1_3gpuE9ELNS1_3repE0EEENS1_30default_config_static_selectorELNS0_4arch9wavefront6targetE0EEEvT1_,comdat
	.protected	_ZN7rocprim17ROCPRIM_400000_NS6detail17trampoline_kernelINS0_14default_configENS1_25partition_config_selectorILNS1_17partition_subalgoE9EllbEEZZNS1_14partition_implILS5_9ELb0ES3_jPKlN6thrust23THRUST_200600_302600_NS17counting_iteratorIlNSB_11use_defaultESD_SD_EEPNS0_10empty_typeENS0_5tupleIJPlSF_EEENSH_IJSI_SG_EEENS0_18inequality_wrapperIN6hipcub16HIPCUB_304000_NS8EqualityEEESI_JSF_EEE10hipError_tPvRmT3_T4_T5_T6_T7_T9_mT8_P12ihipStream_tbDpT10_ENKUlT_T0_E_clISt17integral_constantIbLb1EES19_EEDaS14_S15_EUlS14_E_NS1_11comp_targetILNS1_3genE5ELNS1_11target_archE942ELNS1_3gpuE9ELNS1_3repE0EEENS1_30default_config_static_selectorELNS0_4arch9wavefront6targetE0EEEvT1_ ; -- Begin function _ZN7rocprim17ROCPRIM_400000_NS6detail17trampoline_kernelINS0_14default_configENS1_25partition_config_selectorILNS1_17partition_subalgoE9EllbEEZZNS1_14partition_implILS5_9ELb0ES3_jPKlN6thrust23THRUST_200600_302600_NS17counting_iteratorIlNSB_11use_defaultESD_SD_EEPNS0_10empty_typeENS0_5tupleIJPlSF_EEENSH_IJSI_SG_EEENS0_18inequality_wrapperIN6hipcub16HIPCUB_304000_NS8EqualityEEESI_JSF_EEE10hipError_tPvRmT3_T4_T5_T6_T7_T9_mT8_P12ihipStream_tbDpT10_ENKUlT_T0_E_clISt17integral_constantIbLb1EES19_EEDaS14_S15_EUlS14_E_NS1_11comp_targetILNS1_3genE5ELNS1_11target_archE942ELNS1_3gpuE9ELNS1_3repE0EEENS1_30default_config_static_selectorELNS0_4arch9wavefront6targetE0EEEvT1_
	.globl	_ZN7rocprim17ROCPRIM_400000_NS6detail17trampoline_kernelINS0_14default_configENS1_25partition_config_selectorILNS1_17partition_subalgoE9EllbEEZZNS1_14partition_implILS5_9ELb0ES3_jPKlN6thrust23THRUST_200600_302600_NS17counting_iteratorIlNSB_11use_defaultESD_SD_EEPNS0_10empty_typeENS0_5tupleIJPlSF_EEENSH_IJSI_SG_EEENS0_18inequality_wrapperIN6hipcub16HIPCUB_304000_NS8EqualityEEESI_JSF_EEE10hipError_tPvRmT3_T4_T5_T6_T7_T9_mT8_P12ihipStream_tbDpT10_ENKUlT_T0_E_clISt17integral_constantIbLb1EES19_EEDaS14_S15_EUlS14_E_NS1_11comp_targetILNS1_3genE5ELNS1_11target_archE942ELNS1_3gpuE9ELNS1_3repE0EEENS1_30default_config_static_selectorELNS0_4arch9wavefront6targetE0EEEvT1_
	.p2align	8
	.type	_ZN7rocprim17ROCPRIM_400000_NS6detail17trampoline_kernelINS0_14default_configENS1_25partition_config_selectorILNS1_17partition_subalgoE9EllbEEZZNS1_14partition_implILS5_9ELb0ES3_jPKlN6thrust23THRUST_200600_302600_NS17counting_iteratorIlNSB_11use_defaultESD_SD_EEPNS0_10empty_typeENS0_5tupleIJPlSF_EEENSH_IJSI_SG_EEENS0_18inequality_wrapperIN6hipcub16HIPCUB_304000_NS8EqualityEEESI_JSF_EEE10hipError_tPvRmT3_T4_T5_T6_T7_T9_mT8_P12ihipStream_tbDpT10_ENKUlT_T0_E_clISt17integral_constantIbLb1EES19_EEDaS14_S15_EUlS14_E_NS1_11comp_targetILNS1_3genE5ELNS1_11target_archE942ELNS1_3gpuE9ELNS1_3repE0EEENS1_30default_config_static_selectorELNS0_4arch9wavefront6targetE0EEEvT1_,@function
_ZN7rocprim17ROCPRIM_400000_NS6detail17trampoline_kernelINS0_14default_configENS1_25partition_config_selectorILNS1_17partition_subalgoE9EllbEEZZNS1_14partition_implILS5_9ELb0ES3_jPKlN6thrust23THRUST_200600_302600_NS17counting_iteratorIlNSB_11use_defaultESD_SD_EEPNS0_10empty_typeENS0_5tupleIJPlSF_EEENSH_IJSI_SG_EEENS0_18inequality_wrapperIN6hipcub16HIPCUB_304000_NS8EqualityEEESI_JSF_EEE10hipError_tPvRmT3_T4_T5_T6_T7_T9_mT8_P12ihipStream_tbDpT10_ENKUlT_T0_E_clISt17integral_constantIbLb1EES19_EEDaS14_S15_EUlS14_E_NS1_11comp_targetILNS1_3genE5ELNS1_11target_archE942ELNS1_3gpuE9ELNS1_3repE0EEENS1_30default_config_static_selectorELNS0_4arch9wavefront6targetE0EEEvT1_: ; @_ZN7rocprim17ROCPRIM_400000_NS6detail17trampoline_kernelINS0_14default_configENS1_25partition_config_selectorILNS1_17partition_subalgoE9EllbEEZZNS1_14partition_implILS5_9ELb0ES3_jPKlN6thrust23THRUST_200600_302600_NS17counting_iteratorIlNSB_11use_defaultESD_SD_EEPNS0_10empty_typeENS0_5tupleIJPlSF_EEENSH_IJSI_SG_EEENS0_18inequality_wrapperIN6hipcub16HIPCUB_304000_NS8EqualityEEESI_JSF_EEE10hipError_tPvRmT3_T4_T5_T6_T7_T9_mT8_P12ihipStream_tbDpT10_ENKUlT_T0_E_clISt17integral_constantIbLb1EES19_EEDaS14_S15_EUlS14_E_NS1_11comp_targetILNS1_3genE5ELNS1_11target_archE942ELNS1_3gpuE9ELNS1_3repE0EEENS1_30default_config_static_selectorELNS0_4arch9wavefront6targetE0EEEvT1_
; %bb.0:
	.section	.rodata,"a",@progbits
	.p2align	6, 0x0
	.amdhsa_kernel _ZN7rocprim17ROCPRIM_400000_NS6detail17trampoline_kernelINS0_14default_configENS1_25partition_config_selectorILNS1_17partition_subalgoE9EllbEEZZNS1_14partition_implILS5_9ELb0ES3_jPKlN6thrust23THRUST_200600_302600_NS17counting_iteratorIlNSB_11use_defaultESD_SD_EEPNS0_10empty_typeENS0_5tupleIJPlSF_EEENSH_IJSI_SG_EEENS0_18inequality_wrapperIN6hipcub16HIPCUB_304000_NS8EqualityEEESI_JSF_EEE10hipError_tPvRmT3_T4_T5_T6_T7_T9_mT8_P12ihipStream_tbDpT10_ENKUlT_T0_E_clISt17integral_constantIbLb1EES19_EEDaS14_S15_EUlS14_E_NS1_11comp_targetILNS1_3genE5ELNS1_11target_archE942ELNS1_3gpuE9ELNS1_3repE0EEENS1_30default_config_static_selectorELNS0_4arch9wavefront6targetE0EEEvT1_
		.amdhsa_group_segment_fixed_size 0
		.amdhsa_private_segment_fixed_size 0
		.amdhsa_kernarg_size 128
		.amdhsa_user_sgpr_count 2
		.amdhsa_user_sgpr_dispatch_ptr 0
		.amdhsa_user_sgpr_queue_ptr 0
		.amdhsa_user_sgpr_kernarg_segment_ptr 1
		.amdhsa_user_sgpr_dispatch_id 0
		.amdhsa_user_sgpr_kernarg_preload_length 0
		.amdhsa_user_sgpr_kernarg_preload_offset 0
		.amdhsa_user_sgpr_private_segment_size 0
		.amdhsa_wavefront_size32 1
		.amdhsa_uses_dynamic_stack 0
		.amdhsa_enable_private_segment 0
		.amdhsa_system_sgpr_workgroup_id_x 1
		.amdhsa_system_sgpr_workgroup_id_y 0
		.amdhsa_system_sgpr_workgroup_id_z 0
		.amdhsa_system_sgpr_workgroup_info 0
		.amdhsa_system_vgpr_workitem_id 0
		.amdhsa_next_free_vgpr 1
		.amdhsa_next_free_sgpr 1
		.amdhsa_named_barrier_count 0
		.amdhsa_reserve_vcc 0
		.amdhsa_float_round_mode_32 0
		.amdhsa_float_round_mode_16_64 0
		.amdhsa_float_denorm_mode_32 3
		.amdhsa_float_denorm_mode_16_64 3
		.amdhsa_fp16_overflow 0
		.amdhsa_memory_ordered 1
		.amdhsa_forward_progress 1
		.amdhsa_inst_pref_size 0
		.amdhsa_round_robin_scheduling 0
		.amdhsa_exception_fp_ieee_invalid_op 0
		.amdhsa_exception_fp_denorm_src 0
		.amdhsa_exception_fp_ieee_div_zero 0
		.amdhsa_exception_fp_ieee_overflow 0
		.amdhsa_exception_fp_ieee_underflow 0
		.amdhsa_exception_fp_ieee_inexact 0
		.amdhsa_exception_int_div_zero 0
	.end_amdhsa_kernel
	.section	.text._ZN7rocprim17ROCPRIM_400000_NS6detail17trampoline_kernelINS0_14default_configENS1_25partition_config_selectorILNS1_17partition_subalgoE9EllbEEZZNS1_14partition_implILS5_9ELb0ES3_jPKlN6thrust23THRUST_200600_302600_NS17counting_iteratorIlNSB_11use_defaultESD_SD_EEPNS0_10empty_typeENS0_5tupleIJPlSF_EEENSH_IJSI_SG_EEENS0_18inequality_wrapperIN6hipcub16HIPCUB_304000_NS8EqualityEEESI_JSF_EEE10hipError_tPvRmT3_T4_T5_T6_T7_T9_mT8_P12ihipStream_tbDpT10_ENKUlT_T0_E_clISt17integral_constantIbLb1EES19_EEDaS14_S15_EUlS14_E_NS1_11comp_targetILNS1_3genE5ELNS1_11target_archE942ELNS1_3gpuE9ELNS1_3repE0EEENS1_30default_config_static_selectorELNS0_4arch9wavefront6targetE0EEEvT1_,"axG",@progbits,_ZN7rocprim17ROCPRIM_400000_NS6detail17trampoline_kernelINS0_14default_configENS1_25partition_config_selectorILNS1_17partition_subalgoE9EllbEEZZNS1_14partition_implILS5_9ELb0ES3_jPKlN6thrust23THRUST_200600_302600_NS17counting_iteratorIlNSB_11use_defaultESD_SD_EEPNS0_10empty_typeENS0_5tupleIJPlSF_EEENSH_IJSI_SG_EEENS0_18inequality_wrapperIN6hipcub16HIPCUB_304000_NS8EqualityEEESI_JSF_EEE10hipError_tPvRmT3_T4_T5_T6_T7_T9_mT8_P12ihipStream_tbDpT10_ENKUlT_T0_E_clISt17integral_constantIbLb1EES19_EEDaS14_S15_EUlS14_E_NS1_11comp_targetILNS1_3genE5ELNS1_11target_archE942ELNS1_3gpuE9ELNS1_3repE0EEENS1_30default_config_static_selectorELNS0_4arch9wavefront6targetE0EEEvT1_,comdat
.Lfunc_end53:
	.size	_ZN7rocprim17ROCPRIM_400000_NS6detail17trampoline_kernelINS0_14default_configENS1_25partition_config_selectorILNS1_17partition_subalgoE9EllbEEZZNS1_14partition_implILS5_9ELb0ES3_jPKlN6thrust23THRUST_200600_302600_NS17counting_iteratorIlNSB_11use_defaultESD_SD_EEPNS0_10empty_typeENS0_5tupleIJPlSF_EEENSH_IJSI_SG_EEENS0_18inequality_wrapperIN6hipcub16HIPCUB_304000_NS8EqualityEEESI_JSF_EEE10hipError_tPvRmT3_T4_T5_T6_T7_T9_mT8_P12ihipStream_tbDpT10_ENKUlT_T0_E_clISt17integral_constantIbLb1EES19_EEDaS14_S15_EUlS14_E_NS1_11comp_targetILNS1_3genE5ELNS1_11target_archE942ELNS1_3gpuE9ELNS1_3repE0EEENS1_30default_config_static_selectorELNS0_4arch9wavefront6targetE0EEEvT1_, .Lfunc_end53-_ZN7rocprim17ROCPRIM_400000_NS6detail17trampoline_kernelINS0_14default_configENS1_25partition_config_selectorILNS1_17partition_subalgoE9EllbEEZZNS1_14partition_implILS5_9ELb0ES3_jPKlN6thrust23THRUST_200600_302600_NS17counting_iteratorIlNSB_11use_defaultESD_SD_EEPNS0_10empty_typeENS0_5tupleIJPlSF_EEENSH_IJSI_SG_EEENS0_18inequality_wrapperIN6hipcub16HIPCUB_304000_NS8EqualityEEESI_JSF_EEE10hipError_tPvRmT3_T4_T5_T6_T7_T9_mT8_P12ihipStream_tbDpT10_ENKUlT_T0_E_clISt17integral_constantIbLb1EES19_EEDaS14_S15_EUlS14_E_NS1_11comp_targetILNS1_3genE5ELNS1_11target_archE942ELNS1_3gpuE9ELNS1_3repE0EEENS1_30default_config_static_selectorELNS0_4arch9wavefront6targetE0EEEvT1_
                                        ; -- End function
	.set _ZN7rocprim17ROCPRIM_400000_NS6detail17trampoline_kernelINS0_14default_configENS1_25partition_config_selectorILNS1_17partition_subalgoE9EllbEEZZNS1_14partition_implILS5_9ELb0ES3_jPKlN6thrust23THRUST_200600_302600_NS17counting_iteratorIlNSB_11use_defaultESD_SD_EEPNS0_10empty_typeENS0_5tupleIJPlSF_EEENSH_IJSI_SG_EEENS0_18inequality_wrapperIN6hipcub16HIPCUB_304000_NS8EqualityEEESI_JSF_EEE10hipError_tPvRmT3_T4_T5_T6_T7_T9_mT8_P12ihipStream_tbDpT10_ENKUlT_T0_E_clISt17integral_constantIbLb1EES19_EEDaS14_S15_EUlS14_E_NS1_11comp_targetILNS1_3genE5ELNS1_11target_archE942ELNS1_3gpuE9ELNS1_3repE0EEENS1_30default_config_static_selectorELNS0_4arch9wavefront6targetE0EEEvT1_.num_vgpr, 0
	.set _ZN7rocprim17ROCPRIM_400000_NS6detail17trampoline_kernelINS0_14default_configENS1_25partition_config_selectorILNS1_17partition_subalgoE9EllbEEZZNS1_14partition_implILS5_9ELb0ES3_jPKlN6thrust23THRUST_200600_302600_NS17counting_iteratorIlNSB_11use_defaultESD_SD_EEPNS0_10empty_typeENS0_5tupleIJPlSF_EEENSH_IJSI_SG_EEENS0_18inequality_wrapperIN6hipcub16HIPCUB_304000_NS8EqualityEEESI_JSF_EEE10hipError_tPvRmT3_T4_T5_T6_T7_T9_mT8_P12ihipStream_tbDpT10_ENKUlT_T0_E_clISt17integral_constantIbLb1EES19_EEDaS14_S15_EUlS14_E_NS1_11comp_targetILNS1_3genE5ELNS1_11target_archE942ELNS1_3gpuE9ELNS1_3repE0EEENS1_30default_config_static_selectorELNS0_4arch9wavefront6targetE0EEEvT1_.num_agpr, 0
	.set _ZN7rocprim17ROCPRIM_400000_NS6detail17trampoline_kernelINS0_14default_configENS1_25partition_config_selectorILNS1_17partition_subalgoE9EllbEEZZNS1_14partition_implILS5_9ELb0ES3_jPKlN6thrust23THRUST_200600_302600_NS17counting_iteratorIlNSB_11use_defaultESD_SD_EEPNS0_10empty_typeENS0_5tupleIJPlSF_EEENSH_IJSI_SG_EEENS0_18inequality_wrapperIN6hipcub16HIPCUB_304000_NS8EqualityEEESI_JSF_EEE10hipError_tPvRmT3_T4_T5_T6_T7_T9_mT8_P12ihipStream_tbDpT10_ENKUlT_T0_E_clISt17integral_constantIbLb1EES19_EEDaS14_S15_EUlS14_E_NS1_11comp_targetILNS1_3genE5ELNS1_11target_archE942ELNS1_3gpuE9ELNS1_3repE0EEENS1_30default_config_static_selectorELNS0_4arch9wavefront6targetE0EEEvT1_.numbered_sgpr, 0
	.set _ZN7rocprim17ROCPRIM_400000_NS6detail17trampoline_kernelINS0_14default_configENS1_25partition_config_selectorILNS1_17partition_subalgoE9EllbEEZZNS1_14partition_implILS5_9ELb0ES3_jPKlN6thrust23THRUST_200600_302600_NS17counting_iteratorIlNSB_11use_defaultESD_SD_EEPNS0_10empty_typeENS0_5tupleIJPlSF_EEENSH_IJSI_SG_EEENS0_18inequality_wrapperIN6hipcub16HIPCUB_304000_NS8EqualityEEESI_JSF_EEE10hipError_tPvRmT3_T4_T5_T6_T7_T9_mT8_P12ihipStream_tbDpT10_ENKUlT_T0_E_clISt17integral_constantIbLb1EES19_EEDaS14_S15_EUlS14_E_NS1_11comp_targetILNS1_3genE5ELNS1_11target_archE942ELNS1_3gpuE9ELNS1_3repE0EEENS1_30default_config_static_selectorELNS0_4arch9wavefront6targetE0EEEvT1_.num_named_barrier, 0
	.set _ZN7rocprim17ROCPRIM_400000_NS6detail17trampoline_kernelINS0_14default_configENS1_25partition_config_selectorILNS1_17partition_subalgoE9EllbEEZZNS1_14partition_implILS5_9ELb0ES3_jPKlN6thrust23THRUST_200600_302600_NS17counting_iteratorIlNSB_11use_defaultESD_SD_EEPNS0_10empty_typeENS0_5tupleIJPlSF_EEENSH_IJSI_SG_EEENS0_18inequality_wrapperIN6hipcub16HIPCUB_304000_NS8EqualityEEESI_JSF_EEE10hipError_tPvRmT3_T4_T5_T6_T7_T9_mT8_P12ihipStream_tbDpT10_ENKUlT_T0_E_clISt17integral_constantIbLb1EES19_EEDaS14_S15_EUlS14_E_NS1_11comp_targetILNS1_3genE5ELNS1_11target_archE942ELNS1_3gpuE9ELNS1_3repE0EEENS1_30default_config_static_selectorELNS0_4arch9wavefront6targetE0EEEvT1_.private_seg_size, 0
	.set _ZN7rocprim17ROCPRIM_400000_NS6detail17trampoline_kernelINS0_14default_configENS1_25partition_config_selectorILNS1_17partition_subalgoE9EllbEEZZNS1_14partition_implILS5_9ELb0ES3_jPKlN6thrust23THRUST_200600_302600_NS17counting_iteratorIlNSB_11use_defaultESD_SD_EEPNS0_10empty_typeENS0_5tupleIJPlSF_EEENSH_IJSI_SG_EEENS0_18inequality_wrapperIN6hipcub16HIPCUB_304000_NS8EqualityEEESI_JSF_EEE10hipError_tPvRmT3_T4_T5_T6_T7_T9_mT8_P12ihipStream_tbDpT10_ENKUlT_T0_E_clISt17integral_constantIbLb1EES19_EEDaS14_S15_EUlS14_E_NS1_11comp_targetILNS1_3genE5ELNS1_11target_archE942ELNS1_3gpuE9ELNS1_3repE0EEENS1_30default_config_static_selectorELNS0_4arch9wavefront6targetE0EEEvT1_.uses_vcc, 0
	.set _ZN7rocprim17ROCPRIM_400000_NS6detail17trampoline_kernelINS0_14default_configENS1_25partition_config_selectorILNS1_17partition_subalgoE9EllbEEZZNS1_14partition_implILS5_9ELb0ES3_jPKlN6thrust23THRUST_200600_302600_NS17counting_iteratorIlNSB_11use_defaultESD_SD_EEPNS0_10empty_typeENS0_5tupleIJPlSF_EEENSH_IJSI_SG_EEENS0_18inequality_wrapperIN6hipcub16HIPCUB_304000_NS8EqualityEEESI_JSF_EEE10hipError_tPvRmT3_T4_T5_T6_T7_T9_mT8_P12ihipStream_tbDpT10_ENKUlT_T0_E_clISt17integral_constantIbLb1EES19_EEDaS14_S15_EUlS14_E_NS1_11comp_targetILNS1_3genE5ELNS1_11target_archE942ELNS1_3gpuE9ELNS1_3repE0EEENS1_30default_config_static_selectorELNS0_4arch9wavefront6targetE0EEEvT1_.uses_flat_scratch, 0
	.set _ZN7rocprim17ROCPRIM_400000_NS6detail17trampoline_kernelINS0_14default_configENS1_25partition_config_selectorILNS1_17partition_subalgoE9EllbEEZZNS1_14partition_implILS5_9ELb0ES3_jPKlN6thrust23THRUST_200600_302600_NS17counting_iteratorIlNSB_11use_defaultESD_SD_EEPNS0_10empty_typeENS0_5tupleIJPlSF_EEENSH_IJSI_SG_EEENS0_18inequality_wrapperIN6hipcub16HIPCUB_304000_NS8EqualityEEESI_JSF_EEE10hipError_tPvRmT3_T4_T5_T6_T7_T9_mT8_P12ihipStream_tbDpT10_ENKUlT_T0_E_clISt17integral_constantIbLb1EES19_EEDaS14_S15_EUlS14_E_NS1_11comp_targetILNS1_3genE5ELNS1_11target_archE942ELNS1_3gpuE9ELNS1_3repE0EEENS1_30default_config_static_selectorELNS0_4arch9wavefront6targetE0EEEvT1_.has_dyn_sized_stack, 0
	.set _ZN7rocprim17ROCPRIM_400000_NS6detail17trampoline_kernelINS0_14default_configENS1_25partition_config_selectorILNS1_17partition_subalgoE9EllbEEZZNS1_14partition_implILS5_9ELb0ES3_jPKlN6thrust23THRUST_200600_302600_NS17counting_iteratorIlNSB_11use_defaultESD_SD_EEPNS0_10empty_typeENS0_5tupleIJPlSF_EEENSH_IJSI_SG_EEENS0_18inequality_wrapperIN6hipcub16HIPCUB_304000_NS8EqualityEEESI_JSF_EEE10hipError_tPvRmT3_T4_T5_T6_T7_T9_mT8_P12ihipStream_tbDpT10_ENKUlT_T0_E_clISt17integral_constantIbLb1EES19_EEDaS14_S15_EUlS14_E_NS1_11comp_targetILNS1_3genE5ELNS1_11target_archE942ELNS1_3gpuE9ELNS1_3repE0EEENS1_30default_config_static_selectorELNS0_4arch9wavefront6targetE0EEEvT1_.has_recursion, 0
	.set _ZN7rocprim17ROCPRIM_400000_NS6detail17trampoline_kernelINS0_14default_configENS1_25partition_config_selectorILNS1_17partition_subalgoE9EllbEEZZNS1_14partition_implILS5_9ELb0ES3_jPKlN6thrust23THRUST_200600_302600_NS17counting_iteratorIlNSB_11use_defaultESD_SD_EEPNS0_10empty_typeENS0_5tupleIJPlSF_EEENSH_IJSI_SG_EEENS0_18inequality_wrapperIN6hipcub16HIPCUB_304000_NS8EqualityEEESI_JSF_EEE10hipError_tPvRmT3_T4_T5_T6_T7_T9_mT8_P12ihipStream_tbDpT10_ENKUlT_T0_E_clISt17integral_constantIbLb1EES19_EEDaS14_S15_EUlS14_E_NS1_11comp_targetILNS1_3genE5ELNS1_11target_archE942ELNS1_3gpuE9ELNS1_3repE0EEENS1_30default_config_static_selectorELNS0_4arch9wavefront6targetE0EEEvT1_.has_indirect_call, 0
	.section	.AMDGPU.csdata,"",@progbits
; Kernel info:
; codeLenInByte = 0
; TotalNumSgprs: 0
; NumVgprs: 0
; ScratchSize: 0
; MemoryBound: 0
; FloatMode: 240
; IeeeMode: 1
; LDSByteSize: 0 bytes/workgroup (compile time only)
; SGPRBlocks: 0
; VGPRBlocks: 0
; NumSGPRsForWavesPerEU: 1
; NumVGPRsForWavesPerEU: 1
; NamedBarCnt: 0
; Occupancy: 16
; WaveLimiterHint : 0
; COMPUTE_PGM_RSRC2:SCRATCH_EN: 0
; COMPUTE_PGM_RSRC2:USER_SGPR: 2
; COMPUTE_PGM_RSRC2:TRAP_HANDLER: 0
; COMPUTE_PGM_RSRC2:TGID_X_EN: 1
; COMPUTE_PGM_RSRC2:TGID_Y_EN: 0
; COMPUTE_PGM_RSRC2:TGID_Z_EN: 0
; COMPUTE_PGM_RSRC2:TIDIG_COMP_CNT: 0
	.section	.text._ZN7rocprim17ROCPRIM_400000_NS6detail17trampoline_kernelINS0_14default_configENS1_25partition_config_selectorILNS1_17partition_subalgoE9EllbEEZZNS1_14partition_implILS5_9ELb0ES3_jPKlN6thrust23THRUST_200600_302600_NS17counting_iteratorIlNSB_11use_defaultESD_SD_EEPNS0_10empty_typeENS0_5tupleIJPlSF_EEENSH_IJSI_SG_EEENS0_18inequality_wrapperIN6hipcub16HIPCUB_304000_NS8EqualityEEESI_JSF_EEE10hipError_tPvRmT3_T4_T5_T6_T7_T9_mT8_P12ihipStream_tbDpT10_ENKUlT_T0_E_clISt17integral_constantIbLb1EES19_EEDaS14_S15_EUlS14_E_NS1_11comp_targetILNS1_3genE4ELNS1_11target_archE910ELNS1_3gpuE8ELNS1_3repE0EEENS1_30default_config_static_selectorELNS0_4arch9wavefront6targetE0EEEvT1_,"axG",@progbits,_ZN7rocprim17ROCPRIM_400000_NS6detail17trampoline_kernelINS0_14default_configENS1_25partition_config_selectorILNS1_17partition_subalgoE9EllbEEZZNS1_14partition_implILS5_9ELb0ES3_jPKlN6thrust23THRUST_200600_302600_NS17counting_iteratorIlNSB_11use_defaultESD_SD_EEPNS0_10empty_typeENS0_5tupleIJPlSF_EEENSH_IJSI_SG_EEENS0_18inequality_wrapperIN6hipcub16HIPCUB_304000_NS8EqualityEEESI_JSF_EEE10hipError_tPvRmT3_T4_T5_T6_T7_T9_mT8_P12ihipStream_tbDpT10_ENKUlT_T0_E_clISt17integral_constantIbLb1EES19_EEDaS14_S15_EUlS14_E_NS1_11comp_targetILNS1_3genE4ELNS1_11target_archE910ELNS1_3gpuE8ELNS1_3repE0EEENS1_30default_config_static_selectorELNS0_4arch9wavefront6targetE0EEEvT1_,comdat
	.protected	_ZN7rocprim17ROCPRIM_400000_NS6detail17trampoline_kernelINS0_14default_configENS1_25partition_config_selectorILNS1_17partition_subalgoE9EllbEEZZNS1_14partition_implILS5_9ELb0ES3_jPKlN6thrust23THRUST_200600_302600_NS17counting_iteratorIlNSB_11use_defaultESD_SD_EEPNS0_10empty_typeENS0_5tupleIJPlSF_EEENSH_IJSI_SG_EEENS0_18inequality_wrapperIN6hipcub16HIPCUB_304000_NS8EqualityEEESI_JSF_EEE10hipError_tPvRmT3_T4_T5_T6_T7_T9_mT8_P12ihipStream_tbDpT10_ENKUlT_T0_E_clISt17integral_constantIbLb1EES19_EEDaS14_S15_EUlS14_E_NS1_11comp_targetILNS1_3genE4ELNS1_11target_archE910ELNS1_3gpuE8ELNS1_3repE0EEENS1_30default_config_static_selectorELNS0_4arch9wavefront6targetE0EEEvT1_ ; -- Begin function _ZN7rocprim17ROCPRIM_400000_NS6detail17trampoline_kernelINS0_14default_configENS1_25partition_config_selectorILNS1_17partition_subalgoE9EllbEEZZNS1_14partition_implILS5_9ELb0ES3_jPKlN6thrust23THRUST_200600_302600_NS17counting_iteratorIlNSB_11use_defaultESD_SD_EEPNS0_10empty_typeENS0_5tupleIJPlSF_EEENSH_IJSI_SG_EEENS0_18inequality_wrapperIN6hipcub16HIPCUB_304000_NS8EqualityEEESI_JSF_EEE10hipError_tPvRmT3_T4_T5_T6_T7_T9_mT8_P12ihipStream_tbDpT10_ENKUlT_T0_E_clISt17integral_constantIbLb1EES19_EEDaS14_S15_EUlS14_E_NS1_11comp_targetILNS1_3genE4ELNS1_11target_archE910ELNS1_3gpuE8ELNS1_3repE0EEENS1_30default_config_static_selectorELNS0_4arch9wavefront6targetE0EEEvT1_
	.globl	_ZN7rocprim17ROCPRIM_400000_NS6detail17trampoline_kernelINS0_14default_configENS1_25partition_config_selectorILNS1_17partition_subalgoE9EllbEEZZNS1_14partition_implILS5_9ELb0ES3_jPKlN6thrust23THRUST_200600_302600_NS17counting_iteratorIlNSB_11use_defaultESD_SD_EEPNS0_10empty_typeENS0_5tupleIJPlSF_EEENSH_IJSI_SG_EEENS0_18inequality_wrapperIN6hipcub16HIPCUB_304000_NS8EqualityEEESI_JSF_EEE10hipError_tPvRmT3_T4_T5_T6_T7_T9_mT8_P12ihipStream_tbDpT10_ENKUlT_T0_E_clISt17integral_constantIbLb1EES19_EEDaS14_S15_EUlS14_E_NS1_11comp_targetILNS1_3genE4ELNS1_11target_archE910ELNS1_3gpuE8ELNS1_3repE0EEENS1_30default_config_static_selectorELNS0_4arch9wavefront6targetE0EEEvT1_
	.p2align	8
	.type	_ZN7rocprim17ROCPRIM_400000_NS6detail17trampoline_kernelINS0_14default_configENS1_25partition_config_selectorILNS1_17partition_subalgoE9EllbEEZZNS1_14partition_implILS5_9ELb0ES3_jPKlN6thrust23THRUST_200600_302600_NS17counting_iteratorIlNSB_11use_defaultESD_SD_EEPNS0_10empty_typeENS0_5tupleIJPlSF_EEENSH_IJSI_SG_EEENS0_18inequality_wrapperIN6hipcub16HIPCUB_304000_NS8EqualityEEESI_JSF_EEE10hipError_tPvRmT3_T4_T5_T6_T7_T9_mT8_P12ihipStream_tbDpT10_ENKUlT_T0_E_clISt17integral_constantIbLb1EES19_EEDaS14_S15_EUlS14_E_NS1_11comp_targetILNS1_3genE4ELNS1_11target_archE910ELNS1_3gpuE8ELNS1_3repE0EEENS1_30default_config_static_selectorELNS0_4arch9wavefront6targetE0EEEvT1_,@function
_ZN7rocprim17ROCPRIM_400000_NS6detail17trampoline_kernelINS0_14default_configENS1_25partition_config_selectorILNS1_17partition_subalgoE9EllbEEZZNS1_14partition_implILS5_9ELb0ES3_jPKlN6thrust23THRUST_200600_302600_NS17counting_iteratorIlNSB_11use_defaultESD_SD_EEPNS0_10empty_typeENS0_5tupleIJPlSF_EEENSH_IJSI_SG_EEENS0_18inequality_wrapperIN6hipcub16HIPCUB_304000_NS8EqualityEEESI_JSF_EEE10hipError_tPvRmT3_T4_T5_T6_T7_T9_mT8_P12ihipStream_tbDpT10_ENKUlT_T0_E_clISt17integral_constantIbLb1EES19_EEDaS14_S15_EUlS14_E_NS1_11comp_targetILNS1_3genE4ELNS1_11target_archE910ELNS1_3gpuE8ELNS1_3repE0EEENS1_30default_config_static_selectorELNS0_4arch9wavefront6targetE0EEEvT1_: ; @_ZN7rocprim17ROCPRIM_400000_NS6detail17trampoline_kernelINS0_14default_configENS1_25partition_config_selectorILNS1_17partition_subalgoE9EllbEEZZNS1_14partition_implILS5_9ELb0ES3_jPKlN6thrust23THRUST_200600_302600_NS17counting_iteratorIlNSB_11use_defaultESD_SD_EEPNS0_10empty_typeENS0_5tupleIJPlSF_EEENSH_IJSI_SG_EEENS0_18inequality_wrapperIN6hipcub16HIPCUB_304000_NS8EqualityEEESI_JSF_EEE10hipError_tPvRmT3_T4_T5_T6_T7_T9_mT8_P12ihipStream_tbDpT10_ENKUlT_T0_E_clISt17integral_constantIbLb1EES19_EEDaS14_S15_EUlS14_E_NS1_11comp_targetILNS1_3genE4ELNS1_11target_archE910ELNS1_3gpuE8ELNS1_3repE0EEENS1_30default_config_static_selectorELNS0_4arch9wavefront6targetE0EEEvT1_
; %bb.0:
	.section	.rodata,"a",@progbits
	.p2align	6, 0x0
	.amdhsa_kernel _ZN7rocprim17ROCPRIM_400000_NS6detail17trampoline_kernelINS0_14default_configENS1_25partition_config_selectorILNS1_17partition_subalgoE9EllbEEZZNS1_14partition_implILS5_9ELb0ES3_jPKlN6thrust23THRUST_200600_302600_NS17counting_iteratorIlNSB_11use_defaultESD_SD_EEPNS0_10empty_typeENS0_5tupleIJPlSF_EEENSH_IJSI_SG_EEENS0_18inequality_wrapperIN6hipcub16HIPCUB_304000_NS8EqualityEEESI_JSF_EEE10hipError_tPvRmT3_T4_T5_T6_T7_T9_mT8_P12ihipStream_tbDpT10_ENKUlT_T0_E_clISt17integral_constantIbLb1EES19_EEDaS14_S15_EUlS14_E_NS1_11comp_targetILNS1_3genE4ELNS1_11target_archE910ELNS1_3gpuE8ELNS1_3repE0EEENS1_30default_config_static_selectorELNS0_4arch9wavefront6targetE0EEEvT1_
		.amdhsa_group_segment_fixed_size 0
		.amdhsa_private_segment_fixed_size 0
		.amdhsa_kernarg_size 128
		.amdhsa_user_sgpr_count 2
		.amdhsa_user_sgpr_dispatch_ptr 0
		.amdhsa_user_sgpr_queue_ptr 0
		.amdhsa_user_sgpr_kernarg_segment_ptr 1
		.amdhsa_user_sgpr_dispatch_id 0
		.amdhsa_user_sgpr_kernarg_preload_length 0
		.amdhsa_user_sgpr_kernarg_preload_offset 0
		.amdhsa_user_sgpr_private_segment_size 0
		.amdhsa_wavefront_size32 1
		.amdhsa_uses_dynamic_stack 0
		.amdhsa_enable_private_segment 0
		.amdhsa_system_sgpr_workgroup_id_x 1
		.amdhsa_system_sgpr_workgroup_id_y 0
		.amdhsa_system_sgpr_workgroup_id_z 0
		.amdhsa_system_sgpr_workgroup_info 0
		.amdhsa_system_vgpr_workitem_id 0
		.amdhsa_next_free_vgpr 1
		.amdhsa_next_free_sgpr 1
		.amdhsa_named_barrier_count 0
		.amdhsa_reserve_vcc 0
		.amdhsa_float_round_mode_32 0
		.amdhsa_float_round_mode_16_64 0
		.amdhsa_float_denorm_mode_32 3
		.amdhsa_float_denorm_mode_16_64 3
		.amdhsa_fp16_overflow 0
		.amdhsa_memory_ordered 1
		.amdhsa_forward_progress 1
		.amdhsa_inst_pref_size 0
		.amdhsa_round_robin_scheduling 0
		.amdhsa_exception_fp_ieee_invalid_op 0
		.amdhsa_exception_fp_denorm_src 0
		.amdhsa_exception_fp_ieee_div_zero 0
		.amdhsa_exception_fp_ieee_overflow 0
		.amdhsa_exception_fp_ieee_underflow 0
		.amdhsa_exception_fp_ieee_inexact 0
		.amdhsa_exception_int_div_zero 0
	.end_amdhsa_kernel
	.section	.text._ZN7rocprim17ROCPRIM_400000_NS6detail17trampoline_kernelINS0_14default_configENS1_25partition_config_selectorILNS1_17partition_subalgoE9EllbEEZZNS1_14partition_implILS5_9ELb0ES3_jPKlN6thrust23THRUST_200600_302600_NS17counting_iteratorIlNSB_11use_defaultESD_SD_EEPNS0_10empty_typeENS0_5tupleIJPlSF_EEENSH_IJSI_SG_EEENS0_18inequality_wrapperIN6hipcub16HIPCUB_304000_NS8EqualityEEESI_JSF_EEE10hipError_tPvRmT3_T4_T5_T6_T7_T9_mT8_P12ihipStream_tbDpT10_ENKUlT_T0_E_clISt17integral_constantIbLb1EES19_EEDaS14_S15_EUlS14_E_NS1_11comp_targetILNS1_3genE4ELNS1_11target_archE910ELNS1_3gpuE8ELNS1_3repE0EEENS1_30default_config_static_selectorELNS0_4arch9wavefront6targetE0EEEvT1_,"axG",@progbits,_ZN7rocprim17ROCPRIM_400000_NS6detail17trampoline_kernelINS0_14default_configENS1_25partition_config_selectorILNS1_17partition_subalgoE9EllbEEZZNS1_14partition_implILS5_9ELb0ES3_jPKlN6thrust23THRUST_200600_302600_NS17counting_iteratorIlNSB_11use_defaultESD_SD_EEPNS0_10empty_typeENS0_5tupleIJPlSF_EEENSH_IJSI_SG_EEENS0_18inequality_wrapperIN6hipcub16HIPCUB_304000_NS8EqualityEEESI_JSF_EEE10hipError_tPvRmT3_T4_T5_T6_T7_T9_mT8_P12ihipStream_tbDpT10_ENKUlT_T0_E_clISt17integral_constantIbLb1EES19_EEDaS14_S15_EUlS14_E_NS1_11comp_targetILNS1_3genE4ELNS1_11target_archE910ELNS1_3gpuE8ELNS1_3repE0EEENS1_30default_config_static_selectorELNS0_4arch9wavefront6targetE0EEEvT1_,comdat
.Lfunc_end54:
	.size	_ZN7rocprim17ROCPRIM_400000_NS6detail17trampoline_kernelINS0_14default_configENS1_25partition_config_selectorILNS1_17partition_subalgoE9EllbEEZZNS1_14partition_implILS5_9ELb0ES3_jPKlN6thrust23THRUST_200600_302600_NS17counting_iteratorIlNSB_11use_defaultESD_SD_EEPNS0_10empty_typeENS0_5tupleIJPlSF_EEENSH_IJSI_SG_EEENS0_18inequality_wrapperIN6hipcub16HIPCUB_304000_NS8EqualityEEESI_JSF_EEE10hipError_tPvRmT3_T4_T5_T6_T7_T9_mT8_P12ihipStream_tbDpT10_ENKUlT_T0_E_clISt17integral_constantIbLb1EES19_EEDaS14_S15_EUlS14_E_NS1_11comp_targetILNS1_3genE4ELNS1_11target_archE910ELNS1_3gpuE8ELNS1_3repE0EEENS1_30default_config_static_selectorELNS0_4arch9wavefront6targetE0EEEvT1_, .Lfunc_end54-_ZN7rocprim17ROCPRIM_400000_NS6detail17trampoline_kernelINS0_14default_configENS1_25partition_config_selectorILNS1_17partition_subalgoE9EllbEEZZNS1_14partition_implILS5_9ELb0ES3_jPKlN6thrust23THRUST_200600_302600_NS17counting_iteratorIlNSB_11use_defaultESD_SD_EEPNS0_10empty_typeENS0_5tupleIJPlSF_EEENSH_IJSI_SG_EEENS0_18inequality_wrapperIN6hipcub16HIPCUB_304000_NS8EqualityEEESI_JSF_EEE10hipError_tPvRmT3_T4_T5_T6_T7_T9_mT8_P12ihipStream_tbDpT10_ENKUlT_T0_E_clISt17integral_constantIbLb1EES19_EEDaS14_S15_EUlS14_E_NS1_11comp_targetILNS1_3genE4ELNS1_11target_archE910ELNS1_3gpuE8ELNS1_3repE0EEENS1_30default_config_static_selectorELNS0_4arch9wavefront6targetE0EEEvT1_
                                        ; -- End function
	.set _ZN7rocprim17ROCPRIM_400000_NS6detail17trampoline_kernelINS0_14default_configENS1_25partition_config_selectorILNS1_17partition_subalgoE9EllbEEZZNS1_14partition_implILS5_9ELb0ES3_jPKlN6thrust23THRUST_200600_302600_NS17counting_iteratorIlNSB_11use_defaultESD_SD_EEPNS0_10empty_typeENS0_5tupleIJPlSF_EEENSH_IJSI_SG_EEENS0_18inequality_wrapperIN6hipcub16HIPCUB_304000_NS8EqualityEEESI_JSF_EEE10hipError_tPvRmT3_T4_T5_T6_T7_T9_mT8_P12ihipStream_tbDpT10_ENKUlT_T0_E_clISt17integral_constantIbLb1EES19_EEDaS14_S15_EUlS14_E_NS1_11comp_targetILNS1_3genE4ELNS1_11target_archE910ELNS1_3gpuE8ELNS1_3repE0EEENS1_30default_config_static_selectorELNS0_4arch9wavefront6targetE0EEEvT1_.num_vgpr, 0
	.set _ZN7rocprim17ROCPRIM_400000_NS6detail17trampoline_kernelINS0_14default_configENS1_25partition_config_selectorILNS1_17partition_subalgoE9EllbEEZZNS1_14partition_implILS5_9ELb0ES3_jPKlN6thrust23THRUST_200600_302600_NS17counting_iteratorIlNSB_11use_defaultESD_SD_EEPNS0_10empty_typeENS0_5tupleIJPlSF_EEENSH_IJSI_SG_EEENS0_18inequality_wrapperIN6hipcub16HIPCUB_304000_NS8EqualityEEESI_JSF_EEE10hipError_tPvRmT3_T4_T5_T6_T7_T9_mT8_P12ihipStream_tbDpT10_ENKUlT_T0_E_clISt17integral_constantIbLb1EES19_EEDaS14_S15_EUlS14_E_NS1_11comp_targetILNS1_3genE4ELNS1_11target_archE910ELNS1_3gpuE8ELNS1_3repE0EEENS1_30default_config_static_selectorELNS0_4arch9wavefront6targetE0EEEvT1_.num_agpr, 0
	.set _ZN7rocprim17ROCPRIM_400000_NS6detail17trampoline_kernelINS0_14default_configENS1_25partition_config_selectorILNS1_17partition_subalgoE9EllbEEZZNS1_14partition_implILS5_9ELb0ES3_jPKlN6thrust23THRUST_200600_302600_NS17counting_iteratorIlNSB_11use_defaultESD_SD_EEPNS0_10empty_typeENS0_5tupleIJPlSF_EEENSH_IJSI_SG_EEENS0_18inequality_wrapperIN6hipcub16HIPCUB_304000_NS8EqualityEEESI_JSF_EEE10hipError_tPvRmT3_T4_T5_T6_T7_T9_mT8_P12ihipStream_tbDpT10_ENKUlT_T0_E_clISt17integral_constantIbLb1EES19_EEDaS14_S15_EUlS14_E_NS1_11comp_targetILNS1_3genE4ELNS1_11target_archE910ELNS1_3gpuE8ELNS1_3repE0EEENS1_30default_config_static_selectorELNS0_4arch9wavefront6targetE0EEEvT1_.numbered_sgpr, 0
	.set _ZN7rocprim17ROCPRIM_400000_NS6detail17trampoline_kernelINS0_14default_configENS1_25partition_config_selectorILNS1_17partition_subalgoE9EllbEEZZNS1_14partition_implILS5_9ELb0ES3_jPKlN6thrust23THRUST_200600_302600_NS17counting_iteratorIlNSB_11use_defaultESD_SD_EEPNS0_10empty_typeENS0_5tupleIJPlSF_EEENSH_IJSI_SG_EEENS0_18inequality_wrapperIN6hipcub16HIPCUB_304000_NS8EqualityEEESI_JSF_EEE10hipError_tPvRmT3_T4_T5_T6_T7_T9_mT8_P12ihipStream_tbDpT10_ENKUlT_T0_E_clISt17integral_constantIbLb1EES19_EEDaS14_S15_EUlS14_E_NS1_11comp_targetILNS1_3genE4ELNS1_11target_archE910ELNS1_3gpuE8ELNS1_3repE0EEENS1_30default_config_static_selectorELNS0_4arch9wavefront6targetE0EEEvT1_.num_named_barrier, 0
	.set _ZN7rocprim17ROCPRIM_400000_NS6detail17trampoline_kernelINS0_14default_configENS1_25partition_config_selectorILNS1_17partition_subalgoE9EllbEEZZNS1_14partition_implILS5_9ELb0ES3_jPKlN6thrust23THRUST_200600_302600_NS17counting_iteratorIlNSB_11use_defaultESD_SD_EEPNS0_10empty_typeENS0_5tupleIJPlSF_EEENSH_IJSI_SG_EEENS0_18inequality_wrapperIN6hipcub16HIPCUB_304000_NS8EqualityEEESI_JSF_EEE10hipError_tPvRmT3_T4_T5_T6_T7_T9_mT8_P12ihipStream_tbDpT10_ENKUlT_T0_E_clISt17integral_constantIbLb1EES19_EEDaS14_S15_EUlS14_E_NS1_11comp_targetILNS1_3genE4ELNS1_11target_archE910ELNS1_3gpuE8ELNS1_3repE0EEENS1_30default_config_static_selectorELNS0_4arch9wavefront6targetE0EEEvT1_.private_seg_size, 0
	.set _ZN7rocprim17ROCPRIM_400000_NS6detail17trampoline_kernelINS0_14default_configENS1_25partition_config_selectorILNS1_17partition_subalgoE9EllbEEZZNS1_14partition_implILS5_9ELb0ES3_jPKlN6thrust23THRUST_200600_302600_NS17counting_iteratorIlNSB_11use_defaultESD_SD_EEPNS0_10empty_typeENS0_5tupleIJPlSF_EEENSH_IJSI_SG_EEENS0_18inequality_wrapperIN6hipcub16HIPCUB_304000_NS8EqualityEEESI_JSF_EEE10hipError_tPvRmT3_T4_T5_T6_T7_T9_mT8_P12ihipStream_tbDpT10_ENKUlT_T0_E_clISt17integral_constantIbLb1EES19_EEDaS14_S15_EUlS14_E_NS1_11comp_targetILNS1_3genE4ELNS1_11target_archE910ELNS1_3gpuE8ELNS1_3repE0EEENS1_30default_config_static_selectorELNS0_4arch9wavefront6targetE0EEEvT1_.uses_vcc, 0
	.set _ZN7rocprim17ROCPRIM_400000_NS6detail17trampoline_kernelINS0_14default_configENS1_25partition_config_selectorILNS1_17partition_subalgoE9EllbEEZZNS1_14partition_implILS5_9ELb0ES3_jPKlN6thrust23THRUST_200600_302600_NS17counting_iteratorIlNSB_11use_defaultESD_SD_EEPNS0_10empty_typeENS0_5tupleIJPlSF_EEENSH_IJSI_SG_EEENS0_18inequality_wrapperIN6hipcub16HIPCUB_304000_NS8EqualityEEESI_JSF_EEE10hipError_tPvRmT3_T4_T5_T6_T7_T9_mT8_P12ihipStream_tbDpT10_ENKUlT_T0_E_clISt17integral_constantIbLb1EES19_EEDaS14_S15_EUlS14_E_NS1_11comp_targetILNS1_3genE4ELNS1_11target_archE910ELNS1_3gpuE8ELNS1_3repE0EEENS1_30default_config_static_selectorELNS0_4arch9wavefront6targetE0EEEvT1_.uses_flat_scratch, 0
	.set _ZN7rocprim17ROCPRIM_400000_NS6detail17trampoline_kernelINS0_14default_configENS1_25partition_config_selectorILNS1_17partition_subalgoE9EllbEEZZNS1_14partition_implILS5_9ELb0ES3_jPKlN6thrust23THRUST_200600_302600_NS17counting_iteratorIlNSB_11use_defaultESD_SD_EEPNS0_10empty_typeENS0_5tupleIJPlSF_EEENSH_IJSI_SG_EEENS0_18inequality_wrapperIN6hipcub16HIPCUB_304000_NS8EqualityEEESI_JSF_EEE10hipError_tPvRmT3_T4_T5_T6_T7_T9_mT8_P12ihipStream_tbDpT10_ENKUlT_T0_E_clISt17integral_constantIbLb1EES19_EEDaS14_S15_EUlS14_E_NS1_11comp_targetILNS1_3genE4ELNS1_11target_archE910ELNS1_3gpuE8ELNS1_3repE0EEENS1_30default_config_static_selectorELNS0_4arch9wavefront6targetE0EEEvT1_.has_dyn_sized_stack, 0
	.set _ZN7rocprim17ROCPRIM_400000_NS6detail17trampoline_kernelINS0_14default_configENS1_25partition_config_selectorILNS1_17partition_subalgoE9EllbEEZZNS1_14partition_implILS5_9ELb0ES3_jPKlN6thrust23THRUST_200600_302600_NS17counting_iteratorIlNSB_11use_defaultESD_SD_EEPNS0_10empty_typeENS0_5tupleIJPlSF_EEENSH_IJSI_SG_EEENS0_18inequality_wrapperIN6hipcub16HIPCUB_304000_NS8EqualityEEESI_JSF_EEE10hipError_tPvRmT3_T4_T5_T6_T7_T9_mT8_P12ihipStream_tbDpT10_ENKUlT_T0_E_clISt17integral_constantIbLb1EES19_EEDaS14_S15_EUlS14_E_NS1_11comp_targetILNS1_3genE4ELNS1_11target_archE910ELNS1_3gpuE8ELNS1_3repE0EEENS1_30default_config_static_selectorELNS0_4arch9wavefront6targetE0EEEvT1_.has_recursion, 0
	.set _ZN7rocprim17ROCPRIM_400000_NS6detail17trampoline_kernelINS0_14default_configENS1_25partition_config_selectorILNS1_17partition_subalgoE9EllbEEZZNS1_14partition_implILS5_9ELb0ES3_jPKlN6thrust23THRUST_200600_302600_NS17counting_iteratorIlNSB_11use_defaultESD_SD_EEPNS0_10empty_typeENS0_5tupleIJPlSF_EEENSH_IJSI_SG_EEENS0_18inequality_wrapperIN6hipcub16HIPCUB_304000_NS8EqualityEEESI_JSF_EEE10hipError_tPvRmT3_T4_T5_T6_T7_T9_mT8_P12ihipStream_tbDpT10_ENKUlT_T0_E_clISt17integral_constantIbLb1EES19_EEDaS14_S15_EUlS14_E_NS1_11comp_targetILNS1_3genE4ELNS1_11target_archE910ELNS1_3gpuE8ELNS1_3repE0EEENS1_30default_config_static_selectorELNS0_4arch9wavefront6targetE0EEEvT1_.has_indirect_call, 0
	.section	.AMDGPU.csdata,"",@progbits
; Kernel info:
; codeLenInByte = 0
; TotalNumSgprs: 0
; NumVgprs: 0
; ScratchSize: 0
; MemoryBound: 0
; FloatMode: 240
; IeeeMode: 1
; LDSByteSize: 0 bytes/workgroup (compile time only)
; SGPRBlocks: 0
; VGPRBlocks: 0
; NumSGPRsForWavesPerEU: 1
; NumVGPRsForWavesPerEU: 1
; NamedBarCnt: 0
; Occupancy: 16
; WaveLimiterHint : 0
; COMPUTE_PGM_RSRC2:SCRATCH_EN: 0
; COMPUTE_PGM_RSRC2:USER_SGPR: 2
; COMPUTE_PGM_RSRC2:TRAP_HANDLER: 0
; COMPUTE_PGM_RSRC2:TGID_X_EN: 1
; COMPUTE_PGM_RSRC2:TGID_Y_EN: 0
; COMPUTE_PGM_RSRC2:TGID_Z_EN: 0
; COMPUTE_PGM_RSRC2:TIDIG_COMP_CNT: 0
	.section	.text._ZN7rocprim17ROCPRIM_400000_NS6detail17trampoline_kernelINS0_14default_configENS1_25partition_config_selectorILNS1_17partition_subalgoE9EllbEEZZNS1_14partition_implILS5_9ELb0ES3_jPKlN6thrust23THRUST_200600_302600_NS17counting_iteratorIlNSB_11use_defaultESD_SD_EEPNS0_10empty_typeENS0_5tupleIJPlSF_EEENSH_IJSI_SG_EEENS0_18inequality_wrapperIN6hipcub16HIPCUB_304000_NS8EqualityEEESI_JSF_EEE10hipError_tPvRmT3_T4_T5_T6_T7_T9_mT8_P12ihipStream_tbDpT10_ENKUlT_T0_E_clISt17integral_constantIbLb1EES19_EEDaS14_S15_EUlS14_E_NS1_11comp_targetILNS1_3genE3ELNS1_11target_archE908ELNS1_3gpuE7ELNS1_3repE0EEENS1_30default_config_static_selectorELNS0_4arch9wavefront6targetE0EEEvT1_,"axG",@progbits,_ZN7rocprim17ROCPRIM_400000_NS6detail17trampoline_kernelINS0_14default_configENS1_25partition_config_selectorILNS1_17partition_subalgoE9EllbEEZZNS1_14partition_implILS5_9ELb0ES3_jPKlN6thrust23THRUST_200600_302600_NS17counting_iteratorIlNSB_11use_defaultESD_SD_EEPNS0_10empty_typeENS0_5tupleIJPlSF_EEENSH_IJSI_SG_EEENS0_18inequality_wrapperIN6hipcub16HIPCUB_304000_NS8EqualityEEESI_JSF_EEE10hipError_tPvRmT3_T4_T5_T6_T7_T9_mT8_P12ihipStream_tbDpT10_ENKUlT_T0_E_clISt17integral_constantIbLb1EES19_EEDaS14_S15_EUlS14_E_NS1_11comp_targetILNS1_3genE3ELNS1_11target_archE908ELNS1_3gpuE7ELNS1_3repE0EEENS1_30default_config_static_selectorELNS0_4arch9wavefront6targetE0EEEvT1_,comdat
	.protected	_ZN7rocprim17ROCPRIM_400000_NS6detail17trampoline_kernelINS0_14default_configENS1_25partition_config_selectorILNS1_17partition_subalgoE9EllbEEZZNS1_14partition_implILS5_9ELb0ES3_jPKlN6thrust23THRUST_200600_302600_NS17counting_iteratorIlNSB_11use_defaultESD_SD_EEPNS0_10empty_typeENS0_5tupleIJPlSF_EEENSH_IJSI_SG_EEENS0_18inequality_wrapperIN6hipcub16HIPCUB_304000_NS8EqualityEEESI_JSF_EEE10hipError_tPvRmT3_T4_T5_T6_T7_T9_mT8_P12ihipStream_tbDpT10_ENKUlT_T0_E_clISt17integral_constantIbLb1EES19_EEDaS14_S15_EUlS14_E_NS1_11comp_targetILNS1_3genE3ELNS1_11target_archE908ELNS1_3gpuE7ELNS1_3repE0EEENS1_30default_config_static_selectorELNS0_4arch9wavefront6targetE0EEEvT1_ ; -- Begin function _ZN7rocprim17ROCPRIM_400000_NS6detail17trampoline_kernelINS0_14default_configENS1_25partition_config_selectorILNS1_17partition_subalgoE9EllbEEZZNS1_14partition_implILS5_9ELb0ES3_jPKlN6thrust23THRUST_200600_302600_NS17counting_iteratorIlNSB_11use_defaultESD_SD_EEPNS0_10empty_typeENS0_5tupleIJPlSF_EEENSH_IJSI_SG_EEENS0_18inequality_wrapperIN6hipcub16HIPCUB_304000_NS8EqualityEEESI_JSF_EEE10hipError_tPvRmT3_T4_T5_T6_T7_T9_mT8_P12ihipStream_tbDpT10_ENKUlT_T0_E_clISt17integral_constantIbLb1EES19_EEDaS14_S15_EUlS14_E_NS1_11comp_targetILNS1_3genE3ELNS1_11target_archE908ELNS1_3gpuE7ELNS1_3repE0EEENS1_30default_config_static_selectorELNS0_4arch9wavefront6targetE0EEEvT1_
	.globl	_ZN7rocprim17ROCPRIM_400000_NS6detail17trampoline_kernelINS0_14default_configENS1_25partition_config_selectorILNS1_17partition_subalgoE9EllbEEZZNS1_14partition_implILS5_9ELb0ES3_jPKlN6thrust23THRUST_200600_302600_NS17counting_iteratorIlNSB_11use_defaultESD_SD_EEPNS0_10empty_typeENS0_5tupleIJPlSF_EEENSH_IJSI_SG_EEENS0_18inequality_wrapperIN6hipcub16HIPCUB_304000_NS8EqualityEEESI_JSF_EEE10hipError_tPvRmT3_T4_T5_T6_T7_T9_mT8_P12ihipStream_tbDpT10_ENKUlT_T0_E_clISt17integral_constantIbLb1EES19_EEDaS14_S15_EUlS14_E_NS1_11comp_targetILNS1_3genE3ELNS1_11target_archE908ELNS1_3gpuE7ELNS1_3repE0EEENS1_30default_config_static_selectorELNS0_4arch9wavefront6targetE0EEEvT1_
	.p2align	8
	.type	_ZN7rocprim17ROCPRIM_400000_NS6detail17trampoline_kernelINS0_14default_configENS1_25partition_config_selectorILNS1_17partition_subalgoE9EllbEEZZNS1_14partition_implILS5_9ELb0ES3_jPKlN6thrust23THRUST_200600_302600_NS17counting_iteratorIlNSB_11use_defaultESD_SD_EEPNS0_10empty_typeENS0_5tupleIJPlSF_EEENSH_IJSI_SG_EEENS0_18inequality_wrapperIN6hipcub16HIPCUB_304000_NS8EqualityEEESI_JSF_EEE10hipError_tPvRmT3_T4_T5_T6_T7_T9_mT8_P12ihipStream_tbDpT10_ENKUlT_T0_E_clISt17integral_constantIbLb1EES19_EEDaS14_S15_EUlS14_E_NS1_11comp_targetILNS1_3genE3ELNS1_11target_archE908ELNS1_3gpuE7ELNS1_3repE0EEENS1_30default_config_static_selectorELNS0_4arch9wavefront6targetE0EEEvT1_,@function
_ZN7rocprim17ROCPRIM_400000_NS6detail17trampoline_kernelINS0_14default_configENS1_25partition_config_selectorILNS1_17partition_subalgoE9EllbEEZZNS1_14partition_implILS5_9ELb0ES3_jPKlN6thrust23THRUST_200600_302600_NS17counting_iteratorIlNSB_11use_defaultESD_SD_EEPNS0_10empty_typeENS0_5tupleIJPlSF_EEENSH_IJSI_SG_EEENS0_18inequality_wrapperIN6hipcub16HIPCUB_304000_NS8EqualityEEESI_JSF_EEE10hipError_tPvRmT3_T4_T5_T6_T7_T9_mT8_P12ihipStream_tbDpT10_ENKUlT_T0_E_clISt17integral_constantIbLb1EES19_EEDaS14_S15_EUlS14_E_NS1_11comp_targetILNS1_3genE3ELNS1_11target_archE908ELNS1_3gpuE7ELNS1_3repE0EEENS1_30default_config_static_selectorELNS0_4arch9wavefront6targetE0EEEvT1_: ; @_ZN7rocprim17ROCPRIM_400000_NS6detail17trampoline_kernelINS0_14default_configENS1_25partition_config_selectorILNS1_17partition_subalgoE9EllbEEZZNS1_14partition_implILS5_9ELb0ES3_jPKlN6thrust23THRUST_200600_302600_NS17counting_iteratorIlNSB_11use_defaultESD_SD_EEPNS0_10empty_typeENS0_5tupleIJPlSF_EEENSH_IJSI_SG_EEENS0_18inequality_wrapperIN6hipcub16HIPCUB_304000_NS8EqualityEEESI_JSF_EEE10hipError_tPvRmT3_T4_T5_T6_T7_T9_mT8_P12ihipStream_tbDpT10_ENKUlT_T0_E_clISt17integral_constantIbLb1EES19_EEDaS14_S15_EUlS14_E_NS1_11comp_targetILNS1_3genE3ELNS1_11target_archE908ELNS1_3gpuE7ELNS1_3repE0EEENS1_30default_config_static_selectorELNS0_4arch9wavefront6targetE0EEEvT1_
; %bb.0:
	.section	.rodata,"a",@progbits
	.p2align	6, 0x0
	.amdhsa_kernel _ZN7rocprim17ROCPRIM_400000_NS6detail17trampoline_kernelINS0_14default_configENS1_25partition_config_selectorILNS1_17partition_subalgoE9EllbEEZZNS1_14partition_implILS5_9ELb0ES3_jPKlN6thrust23THRUST_200600_302600_NS17counting_iteratorIlNSB_11use_defaultESD_SD_EEPNS0_10empty_typeENS0_5tupleIJPlSF_EEENSH_IJSI_SG_EEENS0_18inequality_wrapperIN6hipcub16HIPCUB_304000_NS8EqualityEEESI_JSF_EEE10hipError_tPvRmT3_T4_T5_T6_T7_T9_mT8_P12ihipStream_tbDpT10_ENKUlT_T0_E_clISt17integral_constantIbLb1EES19_EEDaS14_S15_EUlS14_E_NS1_11comp_targetILNS1_3genE3ELNS1_11target_archE908ELNS1_3gpuE7ELNS1_3repE0EEENS1_30default_config_static_selectorELNS0_4arch9wavefront6targetE0EEEvT1_
		.amdhsa_group_segment_fixed_size 0
		.amdhsa_private_segment_fixed_size 0
		.amdhsa_kernarg_size 128
		.amdhsa_user_sgpr_count 2
		.amdhsa_user_sgpr_dispatch_ptr 0
		.amdhsa_user_sgpr_queue_ptr 0
		.amdhsa_user_sgpr_kernarg_segment_ptr 1
		.amdhsa_user_sgpr_dispatch_id 0
		.amdhsa_user_sgpr_kernarg_preload_length 0
		.amdhsa_user_sgpr_kernarg_preload_offset 0
		.amdhsa_user_sgpr_private_segment_size 0
		.amdhsa_wavefront_size32 1
		.amdhsa_uses_dynamic_stack 0
		.amdhsa_enable_private_segment 0
		.amdhsa_system_sgpr_workgroup_id_x 1
		.amdhsa_system_sgpr_workgroup_id_y 0
		.amdhsa_system_sgpr_workgroup_id_z 0
		.amdhsa_system_sgpr_workgroup_info 0
		.amdhsa_system_vgpr_workitem_id 0
		.amdhsa_next_free_vgpr 1
		.amdhsa_next_free_sgpr 1
		.amdhsa_named_barrier_count 0
		.amdhsa_reserve_vcc 0
		.amdhsa_float_round_mode_32 0
		.amdhsa_float_round_mode_16_64 0
		.amdhsa_float_denorm_mode_32 3
		.amdhsa_float_denorm_mode_16_64 3
		.amdhsa_fp16_overflow 0
		.amdhsa_memory_ordered 1
		.amdhsa_forward_progress 1
		.amdhsa_inst_pref_size 0
		.amdhsa_round_robin_scheduling 0
		.amdhsa_exception_fp_ieee_invalid_op 0
		.amdhsa_exception_fp_denorm_src 0
		.amdhsa_exception_fp_ieee_div_zero 0
		.amdhsa_exception_fp_ieee_overflow 0
		.amdhsa_exception_fp_ieee_underflow 0
		.amdhsa_exception_fp_ieee_inexact 0
		.amdhsa_exception_int_div_zero 0
	.end_amdhsa_kernel
	.section	.text._ZN7rocprim17ROCPRIM_400000_NS6detail17trampoline_kernelINS0_14default_configENS1_25partition_config_selectorILNS1_17partition_subalgoE9EllbEEZZNS1_14partition_implILS5_9ELb0ES3_jPKlN6thrust23THRUST_200600_302600_NS17counting_iteratorIlNSB_11use_defaultESD_SD_EEPNS0_10empty_typeENS0_5tupleIJPlSF_EEENSH_IJSI_SG_EEENS0_18inequality_wrapperIN6hipcub16HIPCUB_304000_NS8EqualityEEESI_JSF_EEE10hipError_tPvRmT3_T4_T5_T6_T7_T9_mT8_P12ihipStream_tbDpT10_ENKUlT_T0_E_clISt17integral_constantIbLb1EES19_EEDaS14_S15_EUlS14_E_NS1_11comp_targetILNS1_3genE3ELNS1_11target_archE908ELNS1_3gpuE7ELNS1_3repE0EEENS1_30default_config_static_selectorELNS0_4arch9wavefront6targetE0EEEvT1_,"axG",@progbits,_ZN7rocprim17ROCPRIM_400000_NS6detail17trampoline_kernelINS0_14default_configENS1_25partition_config_selectorILNS1_17partition_subalgoE9EllbEEZZNS1_14partition_implILS5_9ELb0ES3_jPKlN6thrust23THRUST_200600_302600_NS17counting_iteratorIlNSB_11use_defaultESD_SD_EEPNS0_10empty_typeENS0_5tupleIJPlSF_EEENSH_IJSI_SG_EEENS0_18inequality_wrapperIN6hipcub16HIPCUB_304000_NS8EqualityEEESI_JSF_EEE10hipError_tPvRmT3_T4_T5_T6_T7_T9_mT8_P12ihipStream_tbDpT10_ENKUlT_T0_E_clISt17integral_constantIbLb1EES19_EEDaS14_S15_EUlS14_E_NS1_11comp_targetILNS1_3genE3ELNS1_11target_archE908ELNS1_3gpuE7ELNS1_3repE0EEENS1_30default_config_static_selectorELNS0_4arch9wavefront6targetE0EEEvT1_,comdat
.Lfunc_end55:
	.size	_ZN7rocprim17ROCPRIM_400000_NS6detail17trampoline_kernelINS0_14default_configENS1_25partition_config_selectorILNS1_17partition_subalgoE9EllbEEZZNS1_14partition_implILS5_9ELb0ES3_jPKlN6thrust23THRUST_200600_302600_NS17counting_iteratorIlNSB_11use_defaultESD_SD_EEPNS0_10empty_typeENS0_5tupleIJPlSF_EEENSH_IJSI_SG_EEENS0_18inequality_wrapperIN6hipcub16HIPCUB_304000_NS8EqualityEEESI_JSF_EEE10hipError_tPvRmT3_T4_T5_T6_T7_T9_mT8_P12ihipStream_tbDpT10_ENKUlT_T0_E_clISt17integral_constantIbLb1EES19_EEDaS14_S15_EUlS14_E_NS1_11comp_targetILNS1_3genE3ELNS1_11target_archE908ELNS1_3gpuE7ELNS1_3repE0EEENS1_30default_config_static_selectorELNS0_4arch9wavefront6targetE0EEEvT1_, .Lfunc_end55-_ZN7rocprim17ROCPRIM_400000_NS6detail17trampoline_kernelINS0_14default_configENS1_25partition_config_selectorILNS1_17partition_subalgoE9EllbEEZZNS1_14partition_implILS5_9ELb0ES3_jPKlN6thrust23THRUST_200600_302600_NS17counting_iteratorIlNSB_11use_defaultESD_SD_EEPNS0_10empty_typeENS0_5tupleIJPlSF_EEENSH_IJSI_SG_EEENS0_18inequality_wrapperIN6hipcub16HIPCUB_304000_NS8EqualityEEESI_JSF_EEE10hipError_tPvRmT3_T4_T5_T6_T7_T9_mT8_P12ihipStream_tbDpT10_ENKUlT_T0_E_clISt17integral_constantIbLb1EES19_EEDaS14_S15_EUlS14_E_NS1_11comp_targetILNS1_3genE3ELNS1_11target_archE908ELNS1_3gpuE7ELNS1_3repE0EEENS1_30default_config_static_selectorELNS0_4arch9wavefront6targetE0EEEvT1_
                                        ; -- End function
	.set _ZN7rocprim17ROCPRIM_400000_NS6detail17trampoline_kernelINS0_14default_configENS1_25partition_config_selectorILNS1_17partition_subalgoE9EllbEEZZNS1_14partition_implILS5_9ELb0ES3_jPKlN6thrust23THRUST_200600_302600_NS17counting_iteratorIlNSB_11use_defaultESD_SD_EEPNS0_10empty_typeENS0_5tupleIJPlSF_EEENSH_IJSI_SG_EEENS0_18inequality_wrapperIN6hipcub16HIPCUB_304000_NS8EqualityEEESI_JSF_EEE10hipError_tPvRmT3_T4_T5_T6_T7_T9_mT8_P12ihipStream_tbDpT10_ENKUlT_T0_E_clISt17integral_constantIbLb1EES19_EEDaS14_S15_EUlS14_E_NS1_11comp_targetILNS1_3genE3ELNS1_11target_archE908ELNS1_3gpuE7ELNS1_3repE0EEENS1_30default_config_static_selectorELNS0_4arch9wavefront6targetE0EEEvT1_.num_vgpr, 0
	.set _ZN7rocprim17ROCPRIM_400000_NS6detail17trampoline_kernelINS0_14default_configENS1_25partition_config_selectorILNS1_17partition_subalgoE9EllbEEZZNS1_14partition_implILS5_9ELb0ES3_jPKlN6thrust23THRUST_200600_302600_NS17counting_iteratorIlNSB_11use_defaultESD_SD_EEPNS0_10empty_typeENS0_5tupleIJPlSF_EEENSH_IJSI_SG_EEENS0_18inequality_wrapperIN6hipcub16HIPCUB_304000_NS8EqualityEEESI_JSF_EEE10hipError_tPvRmT3_T4_T5_T6_T7_T9_mT8_P12ihipStream_tbDpT10_ENKUlT_T0_E_clISt17integral_constantIbLb1EES19_EEDaS14_S15_EUlS14_E_NS1_11comp_targetILNS1_3genE3ELNS1_11target_archE908ELNS1_3gpuE7ELNS1_3repE0EEENS1_30default_config_static_selectorELNS0_4arch9wavefront6targetE0EEEvT1_.num_agpr, 0
	.set _ZN7rocprim17ROCPRIM_400000_NS6detail17trampoline_kernelINS0_14default_configENS1_25partition_config_selectorILNS1_17partition_subalgoE9EllbEEZZNS1_14partition_implILS5_9ELb0ES3_jPKlN6thrust23THRUST_200600_302600_NS17counting_iteratorIlNSB_11use_defaultESD_SD_EEPNS0_10empty_typeENS0_5tupleIJPlSF_EEENSH_IJSI_SG_EEENS0_18inequality_wrapperIN6hipcub16HIPCUB_304000_NS8EqualityEEESI_JSF_EEE10hipError_tPvRmT3_T4_T5_T6_T7_T9_mT8_P12ihipStream_tbDpT10_ENKUlT_T0_E_clISt17integral_constantIbLb1EES19_EEDaS14_S15_EUlS14_E_NS1_11comp_targetILNS1_3genE3ELNS1_11target_archE908ELNS1_3gpuE7ELNS1_3repE0EEENS1_30default_config_static_selectorELNS0_4arch9wavefront6targetE0EEEvT1_.numbered_sgpr, 0
	.set _ZN7rocprim17ROCPRIM_400000_NS6detail17trampoline_kernelINS0_14default_configENS1_25partition_config_selectorILNS1_17partition_subalgoE9EllbEEZZNS1_14partition_implILS5_9ELb0ES3_jPKlN6thrust23THRUST_200600_302600_NS17counting_iteratorIlNSB_11use_defaultESD_SD_EEPNS0_10empty_typeENS0_5tupleIJPlSF_EEENSH_IJSI_SG_EEENS0_18inequality_wrapperIN6hipcub16HIPCUB_304000_NS8EqualityEEESI_JSF_EEE10hipError_tPvRmT3_T4_T5_T6_T7_T9_mT8_P12ihipStream_tbDpT10_ENKUlT_T0_E_clISt17integral_constantIbLb1EES19_EEDaS14_S15_EUlS14_E_NS1_11comp_targetILNS1_3genE3ELNS1_11target_archE908ELNS1_3gpuE7ELNS1_3repE0EEENS1_30default_config_static_selectorELNS0_4arch9wavefront6targetE0EEEvT1_.num_named_barrier, 0
	.set _ZN7rocprim17ROCPRIM_400000_NS6detail17trampoline_kernelINS0_14default_configENS1_25partition_config_selectorILNS1_17partition_subalgoE9EllbEEZZNS1_14partition_implILS5_9ELb0ES3_jPKlN6thrust23THRUST_200600_302600_NS17counting_iteratorIlNSB_11use_defaultESD_SD_EEPNS0_10empty_typeENS0_5tupleIJPlSF_EEENSH_IJSI_SG_EEENS0_18inequality_wrapperIN6hipcub16HIPCUB_304000_NS8EqualityEEESI_JSF_EEE10hipError_tPvRmT3_T4_T5_T6_T7_T9_mT8_P12ihipStream_tbDpT10_ENKUlT_T0_E_clISt17integral_constantIbLb1EES19_EEDaS14_S15_EUlS14_E_NS1_11comp_targetILNS1_3genE3ELNS1_11target_archE908ELNS1_3gpuE7ELNS1_3repE0EEENS1_30default_config_static_selectorELNS0_4arch9wavefront6targetE0EEEvT1_.private_seg_size, 0
	.set _ZN7rocprim17ROCPRIM_400000_NS6detail17trampoline_kernelINS0_14default_configENS1_25partition_config_selectorILNS1_17partition_subalgoE9EllbEEZZNS1_14partition_implILS5_9ELb0ES3_jPKlN6thrust23THRUST_200600_302600_NS17counting_iteratorIlNSB_11use_defaultESD_SD_EEPNS0_10empty_typeENS0_5tupleIJPlSF_EEENSH_IJSI_SG_EEENS0_18inequality_wrapperIN6hipcub16HIPCUB_304000_NS8EqualityEEESI_JSF_EEE10hipError_tPvRmT3_T4_T5_T6_T7_T9_mT8_P12ihipStream_tbDpT10_ENKUlT_T0_E_clISt17integral_constantIbLb1EES19_EEDaS14_S15_EUlS14_E_NS1_11comp_targetILNS1_3genE3ELNS1_11target_archE908ELNS1_3gpuE7ELNS1_3repE0EEENS1_30default_config_static_selectorELNS0_4arch9wavefront6targetE0EEEvT1_.uses_vcc, 0
	.set _ZN7rocprim17ROCPRIM_400000_NS6detail17trampoline_kernelINS0_14default_configENS1_25partition_config_selectorILNS1_17partition_subalgoE9EllbEEZZNS1_14partition_implILS5_9ELb0ES3_jPKlN6thrust23THRUST_200600_302600_NS17counting_iteratorIlNSB_11use_defaultESD_SD_EEPNS0_10empty_typeENS0_5tupleIJPlSF_EEENSH_IJSI_SG_EEENS0_18inequality_wrapperIN6hipcub16HIPCUB_304000_NS8EqualityEEESI_JSF_EEE10hipError_tPvRmT3_T4_T5_T6_T7_T9_mT8_P12ihipStream_tbDpT10_ENKUlT_T0_E_clISt17integral_constantIbLb1EES19_EEDaS14_S15_EUlS14_E_NS1_11comp_targetILNS1_3genE3ELNS1_11target_archE908ELNS1_3gpuE7ELNS1_3repE0EEENS1_30default_config_static_selectorELNS0_4arch9wavefront6targetE0EEEvT1_.uses_flat_scratch, 0
	.set _ZN7rocprim17ROCPRIM_400000_NS6detail17trampoline_kernelINS0_14default_configENS1_25partition_config_selectorILNS1_17partition_subalgoE9EllbEEZZNS1_14partition_implILS5_9ELb0ES3_jPKlN6thrust23THRUST_200600_302600_NS17counting_iteratorIlNSB_11use_defaultESD_SD_EEPNS0_10empty_typeENS0_5tupleIJPlSF_EEENSH_IJSI_SG_EEENS0_18inequality_wrapperIN6hipcub16HIPCUB_304000_NS8EqualityEEESI_JSF_EEE10hipError_tPvRmT3_T4_T5_T6_T7_T9_mT8_P12ihipStream_tbDpT10_ENKUlT_T0_E_clISt17integral_constantIbLb1EES19_EEDaS14_S15_EUlS14_E_NS1_11comp_targetILNS1_3genE3ELNS1_11target_archE908ELNS1_3gpuE7ELNS1_3repE0EEENS1_30default_config_static_selectorELNS0_4arch9wavefront6targetE0EEEvT1_.has_dyn_sized_stack, 0
	.set _ZN7rocprim17ROCPRIM_400000_NS6detail17trampoline_kernelINS0_14default_configENS1_25partition_config_selectorILNS1_17partition_subalgoE9EllbEEZZNS1_14partition_implILS5_9ELb0ES3_jPKlN6thrust23THRUST_200600_302600_NS17counting_iteratorIlNSB_11use_defaultESD_SD_EEPNS0_10empty_typeENS0_5tupleIJPlSF_EEENSH_IJSI_SG_EEENS0_18inequality_wrapperIN6hipcub16HIPCUB_304000_NS8EqualityEEESI_JSF_EEE10hipError_tPvRmT3_T4_T5_T6_T7_T9_mT8_P12ihipStream_tbDpT10_ENKUlT_T0_E_clISt17integral_constantIbLb1EES19_EEDaS14_S15_EUlS14_E_NS1_11comp_targetILNS1_3genE3ELNS1_11target_archE908ELNS1_3gpuE7ELNS1_3repE0EEENS1_30default_config_static_selectorELNS0_4arch9wavefront6targetE0EEEvT1_.has_recursion, 0
	.set _ZN7rocprim17ROCPRIM_400000_NS6detail17trampoline_kernelINS0_14default_configENS1_25partition_config_selectorILNS1_17partition_subalgoE9EllbEEZZNS1_14partition_implILS5_9ELb0ES3_jPKlN6thrust23THRUST_200600_302600_NS17counting_iteratorIlNSB_11use_defaultESD_SD_EEPNS0_10empty_typeENS0_5tupleIJPlSF_EEENSH_IJSI_SG_EEENS0_18inequality_wrapperIN6hipcub16HIPCUB_304000_NS8EqualityEEESI_JSF_EEE10hipError_tPvRmT3_T4_T5_T6_T7_T9_mT8_P12ihipStream_tbDpT10_ENKUlT_T0_E_clISt17integral_constantIbLb1EES19_EEDaS14_S15_EUlS14_E_NS1_11comp_targetILNS1_3genE3ELNS1_11target_archE908ELNS1_3gpuE7ELNS1_3repE0EEENS1_30default_config_static_selectorELNS0_4arch9wavefront6targetE0EEEvT1_.has_indirect_call, 0
	.section	.AMDGPU.csdata,"",@progbits
; Kernel info:
; codeLenInByte = 0
; TotalNumSgprs: 0
; NumVgprs: 0
; ScratchSize: 0
; MemoryBound: 0
; FloatMode: 240
; IeeeMode: 1
; LDSByteSize: 0 bytes/workgroup (compile time only)
; SGPRBlocks: 0
; VGPRBlocks: 0
; NumSGPRsForWavesPerEU: 1
; NumVGPRsForWavesPerEU: 1
; NamedBarCnt: 0
; Occupancy: 16
; WaveLimiterHint : 0
; COMPUTE_PGM_RSRC2:SCRATCH_EN: 0
; COMPUTE_PGM_RSRC2:USER_SGPR: 2
; COMPUTE_PGM_RSRC2:TRAP_HANDLER: 0
; COMPUTE_PGM_RSRC2:TGID_X_EN: 1
; COMPUTE_PGM_RSRC2:TGID_Y_EN: 0
; COMPUTE_PGM_RSRC2:TGID_Z_EN: 0
; COMPUTE_PGM_RSRC2:TIDIG_COMP_CNT: 0
	.section	.text._ZN7rocprim17ROCPRIM_400000_NS6detail17trampoline_kernelINS0_14default_configENS1_25partition_config_selectorILNS1_17partition_subalgoE9EllbEEZZNS1_14partition_implILS5_9ELb0ES3_jPKlN6thrust23THRUST_200600_302600_NS17counting_iteratorIlNSB_11use_defaultESD_SD_EEPNS0_10empty_typeENS0_5tupleIJPlSF_EEENSH_IJSI_SG_EEENS0_18inequality_wrapperIN6hipcub16HIPCUB_304000_NS8EqualityEEESI_JSF_EEE10hipError_tPvRmT3_T4_T5_T6_T7_T9_mT8_P12ihipStream_tbDpT10_ENKUlT_T0_E_clISt17integral_constantIbLb1EES19_EEDaS14_S15_EUlS14_E_NS1_11comp_targetILNS1_3genE2ELNS1_11target_archE906ELNS1_3gpuE6ELNS1_3repE0EEENS1_30default_config_static_selectorELNS0_4arch9wavefront6targetE0EEEvT1_,"axG",@progbits,_ZN7rocprim17ROCPRIM_400000_NS6detail17trampoline_kernelINS0_14default_configENS1_25partition_config_selectorILNS1_17partition_subalgoE9EllbEEZZNS1_14partition_implILS5_9ELb0ES3_jPKlN6thrust23THRUST_200600_302600_NS17counting_iteratorIlNSB_11use_defaultESD_SD_EEPNS0_10empty_typeENS0_5tupleIJPlSF_EEENSH_IJSI_SG_EEENS0_18inequality_wrapperIN6hipcub16HIPCUB_304000_NS8EqualityEEESI_JSF_EEE10hipError_tPvRmT3_T4_T5_T6_T7_T9_mT8_P12ihipStream_tbDpT10_ENKUlT_T0_E_clISt17integral_constantIbLb1EES19_EEDaS14_S15_EUlS14_E_NS1_11comp_targetILNS1_3genE2ELNS1_11target_archE906ELNS1_3gpuE6ELNS1_3repE0EEENS1_30default_config_static_selectorELNS0_4arch9wavefront6targetE0EEEvT1_,comdat
	.protected	_ZN7rocprim17ROCPRIM_400000_NS6detail17trampoline_kernelINS0_14default_configENS1_25partition_config_selectorILNS1_17partition_subalgoE9EllbEEZZNS1_14partition_implILS5_9ELb0ES3_jPKlN6thrust23THRUST_200600_302600_NS17counting_iteratorIlNSB_11use_defaultESD_SD_EEPNS0_10empty_typeENS0_5tupleIJPlSF_EEENSH_IJSI_SG_EEENS0_18inequality_wrapperIN6hipcub16HIPCUB_304000_NS8EqualityEEESI_JSF_EEE10hipError_tPvRmT3_T4_T5_T6_T7_T9_mT8_P12ihipStream_tbDpT10_ENKUlT_T0_E_clISt17integral_constantIbLb1EES19_EEDaS14_S15_EUlS14_E_NS1_11comp_targetILNS1_3genE2ELNS1_11target_archE906ELNS1_3gpuE6ELNS1_3repE0EEENS1_30default_config_static_selectorELNS0_4arch9wavefront6targetE0EEEvT1_ ; -- Begin function _ZN7rocprim17ROCPRIM_400000_NS6detail17trampoline_kernelINS0_14default_configENS1_25partition_config_selectorILNS1_17partition_subalgoE9EllbEEZZNS1_14partition_implILS5_9ELb0ES3_jPKlN6thrust23THRUST_200600_302600_NS17counting_iteratorIlNSB_11use_defaultESD_SD_EEPNS0_10empty_typeENS0_5tupleIJPlSF_EEENSH_IJSI_SG_EEENS0_18inequality_wrapperIN6hipcub16HIPCUB_304000_NS8EqualityEEESI_JSF_EEE10hipError_tPvRmT3_T4_T5_T6_T7_T9_mT8_P12ihipStream_tbDpT10_ENKUlT_T0_E_clISt17integral_constantIbLb1EES19_EEDaS14_S15_EUlS14_E_NS1_11comp_targetILNS1_3genE2ELNS1_11target_archE906ELNS1_3gpuE6ELNS1_3repE0EEENS1_30default_config_static_selectorELNS0_4arch9wavefront6targetE0EEEvT1_
	.globl	_ZN7rocprim17ROCPRIM_400000_NS6detail17trampoline_kernelINS0_14default_configENS1_25partition_config_selectorILNS1_17partition_subalgoE9EllbEEZZNS1_14partition_implILS5_9ELb0ES3_jPKlN6thrust23THRUST_200600_302600_NS17counting_iteratorIlNSB_11use_defaultESD_SD_EEPNS0_10empty_typeENS0_5tupleIJPlSF_EEENSH_IJSI_SG_EEENS0_18inequality_wrapperIN6hipcub16HIPCUB_304000_NS8EqualityEEESI_JSF_EEE10hipError_tPvRmT3_T4_T5_T6_T7_T9_mT8_P12ihipStream_tbDpT10_ENKUlT_T0_E_clISt17integral_constantIbLb1EES19_EEDaS14_S15_EUlS14_E_NS1_11comp_targetILNS1_3genE2ELNS1_11target_archE906ELNS1_3gpuE6ELNS1_3repE0EEENS1_30default_config_static_selectorELNS0_4arch9wavefront6targetE0EEEvT1_
	.p2align	8
	.type	_ZN7rocprim17ROCPRIM_400000_NS6detail17trampoline_kernelINS0_14default_configENS1_25partition_config_selectorILNS1_17partition_subalgoE9EllbEEZZNS1_14partition_implILS5_9ELb0ES3_jPKlN6thrust23THRUST_200600_302600_NS17counting_iteratorIlNSB_11use_defaultESD_SD_EEPNS0_10empty_typeENS0_5tupleIJPlSF_EEENSH_IJSI_SG_EEENS0_18inequality_wrapperIN6hipcub16HIPCUB_304000_NS8EqualityEEESI_JSF_EEE10hipError_tPvRmT3_T4_T5_T6_T7_T9_mT8_P12ihipStream_tbDpT10_ENKUlT_T0_E_clISt17integral_constantIbLb1EES19_EEDaS14_S15_EUlS14_E_NS1_11comp_targetILNS1_3genE2ELNS1_11target_archE906ELNS1_3gpuE6ELNS1_3repE0EEENS1_30default_config_static_selectorELNS0_4arch9wavefront6targetE0EEEvT1_,@function
_ZN7rocprim17ROCPRIM_400000_NS6detail17trampoline_kernelINS0_14default_configENS1_25partition_config_selectorILNS1_17partition_subalgoE9EllbEEZZNS1_14partition_implILS5_9ELb0ES3_jPKlN6thrust23THRUST_200600_302600_NS17counting_iteratorIlNSB_11use_defaultESD_SD_EEPNS0_10empty_typeENS0_5tupleIJPlSF_EEENSH_IJSI_SG_EEENS0_18inequality_wrapperIN6hipcub16HIPCUB_304000_NS8EqualityEEESI_JSF_EEE10hipError_tPvRmT3_T4_T5_T6_T7_T9_mT8_P12ihipStream_tbDpT10_ENKUlT_T0_E_clISt17integral_constantIbLb1EES19_EEDaS14_S15_EUlS14_E_NS1_11comp_targetILNS1_3genE2ELNS1_11target_archE906ELNS1_3gpuE6ELNS1_3repE0EEENS1_30default_config_static_selectorELNS0_4arch9wavefront6targetE0EEEvT1_: ; @_ZN7rocprim17ROCPRIM_400000_NS6detail17trampoline_kernelINS0_14default_configENS1_25partition_config_selectorILNS1_17partition_subalgoE9EllbEEZZNS1_14partition_implILS5_9ELb0ES3_jPKlN6thrust23THRUST_200600_302600_NS17counting_iteratorIlNSB_11use_defaultESD_SD_EEPNS0_10empty_typeENS0_5tupleIJPlSF_EEENSH_IJSI_SG_EEENS0_18inequality_wrapperIN6hipcub16HIPCUB_304000_NS8EqualityEEESI_JSF_EEE10hipError_tPvRmT3_T4_T5_T6_T7_T9_mT8_P12ihipStream_tbDpT10_ENKUlT_T0_E_clISt17integral_constantIbLb1EES19_EEDaS14_S15_EUlS14_E_NS1_11comp_targetILNS1_3genE2ELNS1_11target_archE906ELNS1_3gpuE6ELNS1_3repE0EEENS1_30default_config_static_selectorELNS0_4arch9wavefront6targetE0EEEvT1_
; %bb.0:
	.section	.rodata,"a",@progbits
	.p2align	6, 0x0
	.amdhsa_kernel _ZN7rocprim17ROCPRIM_400000_NS6detail17trampoline_kernelINS0_14default_configENS1_25partition_config_selectorILNS1_17partition_subalgoE9EllbEEZZNS1_14partition_implILS5_9ELb0ES3_jPKlN6thrust23THRUST_200600_302600_NS17counting_iteratorIlNSB_11use_defaultESD_SD_EEPNS0_10empty_typeENS0_5tupleIJPlSF_EEENSH_IJSI_SG_EEENS0_18inequality_wrapperIN6hipcub16HIPCUB_304000_NS8EqualityEEESI_JSF_EEE10hipError_tPvRmT3_T4_T5_T6_T7_T9_mT8_P12ihipStream_tbDpT10_ENKUlT_T0_E_clISt17integral_constantIbLb1EES19_EEDaS14_S15_EUlS14_E_NS1_11comp_targetILNS1_3genE2ELNS1_11target_archE906ELNS1_3gpuE6ELNS1_3repE0EEENS1_30default_config_static_selectorELNS0_4arch9wavefront6targetE0EEEvT1_
		.amdhsa_group_segment_fixed_size 0
		.amdhsa_private_segment_fixed_size 0
		.amdhsa_kernarg_size 128
		.amdhsa_user_sgpr_count 2
		.amdhsa_user_sgpr_dispatch_ptr 0
		.amdhsa_user_sgpr_queue_ptr 0
		.amdhsa_user_sgpr_kernarg_segment_ptr 1
		.amdhsa_user_sgpr_dispatch_id 0
		.amdhsa_user_sgpr_kernarg_preload_length 0
		.amdhsa_user_sgpr_kernarg_preload_offset 0
		.amdhsa_user_sgpr_private_segment_size 0
		.amdhsa_wavefront_size32 1
		.amdhsa_uses_dynamic_stack 0
		.amdhsa_enable_private_segment 0
		.amdhsa_system_sgpr_workgroup_id_x 1
		.amdhsa_system_sgpr_workgroup_id_y 0
		.amdhsa_system_sgpr_workgroup_id_z 0
		.amdhsa_system_sgpr_workgroup_info 0
		.amdhsa_system_vgpr_workitem_id 0
		.amdhsa_next_free_vgpr 1
		.amdhsa_next_free_sgpr 1
		.amdhsa_named_barrier_count 0
		.amdhsa_reserve_vcc 0
		.amdhsa_float_round_mode_32 0
		.amdhsa_float_round_mode_16_64 0
		.amdhsa_float_denorm_mode_32 3
		.amdhsa_float_denorm_mode_16_64 3
		.amdhsa_fp16_overflow 0
		.amdhsa_memory_ordered 1
		.amdhsa_forward_progress 1
		.amdhsa_inst_pref_size 0
		.amdhsa_round_robin_scheduling 0
		.amdhsa_exception_fp_ieee_invalid_op 0
		.amdhsa_exception_fp_denorm_src 0
		.amdhsa_exception_fp_ieee_div_zero 0
		.amdhsa_exception_fp_ieee_overflow 0
		.amdhsa_exception_fp_ieee_underflow 0
		.amdhsa_exception_fp_ieee_inexact 0
		.amdhsa_exception_int_div_zero 0
	.end_amdhsa_kernel
	.section	.text._ZN7rocprim17ROCPRIM_400000_NS6detail17trampoline_kernelINS0_14default_configENS1_25partition_config_selectorILNS1_17partition_subalgoE9EllbEEZZNS1_14partition_implILS5_9ELb0ES3_jPKlN6thrust23THRUST_200600_302600_NS17counting_iteratorIlNSB_11use_defaultESD_SD_EEPNS0_10empty_typeENS0_5tupleIJPlSF_EEENSH_IJSI_SG_EEENS0_18inequality_wrapperIN6hipcub16HIPCUB_304000_NS8EqualityEEESI_JSF_EEE10hipError_tPvRmT3_T4_T5_T6_T7_T9_mT8_P12ihipStream_tbDpT10_ENKUlT_T0_E_clISt17integral_constantIbLb1EES19_EEDaS14_S15_EUlS14_E_NS1_11comp_targetILNS1_3genE2ELNS1_11target_archE906ELNS1_3gpuE6ELNS1_3repE0EEENS1_30default_config_static_selectorELNS0_4arch9wavefront6targetE0EEEvT1_,"axG",@progbits,_ZN7rocprim17ROCPRIM_400000_NS6detail17trampoline_kernelINS0_14default_configENS1_25partition_config_selectorILNS1_17partition_subalgoE9EllbEEZZNS1_14partition_implILS5_9ELb0ES3_jPKlN6thrust23THRUST_200600_302600_NS17counting_iteratorIlNSB_11use_defaultESD_SD_EEPNS0_10empty_typeENS0_5tupleIJPlSF_EEENSH_IJSI_SG_EEENS0_18inequality_wrapperIN6hipcub16HIPCUB_304000_NS8EqualityEEESI_JSF_EEE10hipError_tPvRmT3_T4_T5_T6_T7_T9_mT8_P12ihipStream_tbDpT10_ENKUlT_T0_E_clISt17integral_constantIbLb1EES19_EEDaS14_S15_EUlS14_E_NS1_11comp_targetILNS1_3genE2ELNS1_11target_archE906ELNS1_3gpuE6ELNS1_3repE0EEENS1_30default_config_static_selectorELNS0_4arch9wavefront6targetE0EEEvT1_,comdat
.Lfunc_end56:
	.size	_ZN7rocprim17ROCPRIM_400000_NS6detail17trampoline_kernelINS0_14default_configENS1_25partition_config_selectorILNS1_17partition_subalgoE9EllbEEZZNS1_14partition_implILS5_9ELb0ES3_jPKlN6thrust23THRUST_200600_302600_NS17counting_iteratorIlNSB_11use_defaultESD_SD_EEPNS0_10empty_typeENS0_5tupleIJPlSF_EEENSH_IJSI_SG_EEENS0_18inequality_wrapperIN6hipcub16HIPCUB_304000_NS8EqualityEEESI_JSF_EEE10hipError_tPvRmT3_T4_T5_T6_T7_T9_mT8_P12ihipStream_tbDpT10_ENKUlT_T0_E_clISt17integral_constantIbLb1EES19_EEDaS14_S15_EUlS14_E_NS1_11comp_targetILNS1_3genE2ELNS1_11target_archE906ELNS1_3gpuE6ELNS1_3repE0EEENS1_30default_config_static_selectorELNS0_4arch9wavefront6targetE0EEEvT1_, .Lfunc_end56-_ZN7rocprim17ROCPRIM_400000_NS6detail17trampoline_kernelINS0_14default_configENS1_25partition_config_selectorILNS1_17partition_subalgoE9EllbEEZZNS1_14partition_implILS5_9ELb0ES3_jPKlN6thrust23THRUST_200600_302600_NS17counting_iteratorIlNSB_11use_defaultESD_SD_EEPNS0_10empty_typeENS0_5tupleIJPlSF_EEENSH_IJSI_SG_EEENS0_18inequality_wrapperIN6hipcub16HIPCUB_304000_NS8EqualityEEESI_JSF_EEE10hipError_tPvRmT3_T4_T5_T6_T7_T9_mT8_P12ihipStream_tbDpT10_ENKUlT_T0_E_clISt17integral_constantIbLb1EES19_EEDaS14_S15_EUlS14_E_NS1_11comp_targetILNS1_3genE2ELNS1_11target_archE906ELNS1_3gpuE6ELNS1_3repE0EEENS1_30default_config_static_selectorELNS0_4arch9wavefront6targetE0EEEvT1_
                                        ; -- End function
	.set _ZN7rocprim17ROCPRIM_400000_NS6detail17trampoline_kernelINS0_14default_configENS1_25partition_config_selectorILNS1_17partition_subalgoE9EllbEEZZNS1_14partition_implILS5_9ELb0ES3_jPKlN6thrust23THRUST_200600_302600_NS17counting_iteratorIlNSB_11use_defaultESD_SD_EEPNS0_10empty_typeENS0_5tupleIJPlSF_EEENSH_IJSI_SG_EEENS0_18inequality_wrapperIN6hipcub16HIPCUB_304000_NS8EqualityEEESI_JSF_EEE10hipError_tPvRmT3_T4_T5_T6_T7_T9_mT8_P12ihipStream_tbDpT10_ENKUlT_T0_E_clISt17integral_constantIbLb1EES19_EEDaS14_S15_EUlS14_E_NS1_11comp_targetILNS1_3genE2ELNS1_11target_archE906ELNS1_3gpuE6ELNS1_3repE0EEENS1_30default_config_static_selectorELNS0_4arch9wavefront6targetE0EEEvT1_.num_vgpr, 0
	.set _ZN7rocprim17ROCPRIM_400000_NS6detail17trampoline_kernelINS0_14default_configENS1_25partition_config_selectorILNS1_17partition_subalgoE9EllbEEZZNS1_14partition_implILS5_9ELb0ES3_jPKlN6thrust23THRUST_200600_302600_NS17counting_iteratorIlNSB_11use_defaultESD_SD_EEPNS0_10empty_typeENS0_5tupleIJPlSF_EEENSH_IJSI_SG_EEENS0_18inequality_wrapperIN6hipcub16HIPCUB_304000_NS8EqualityEEESI_JSF_EEE10hipError_tPvRmT3_T4_T5_T6_T7_T9_mT8_P12ihipStream_tbDpT10_ENKUlT_T0_E_clISt17integral_constantIbLb1EES19_EEDaS14_S15_EUlS14_E_NS1_11comp_targetILNS1_3genE2ELNS1_11target_archE906ELNS1_3gpuE6ELNS1_3repE0EEENS1_30default_config_static_selectorELNS0_4arch9wavefront6targetE0EEEvT1_.num_agpr, 0
	.set _ZN7rocprim17ROCPRIM_400000_NS6detail17trampoline_kernelINS0_14default_configENS1_25partition_config_selectorILNS1_17partition_subalgoE9EllbEEZZNS1_14partition_implILS5_9ELb0ES3_jPKlN6thrust23THRUST_200600_302600_NS17counting_iteratorIlNSB_11use_defaultESD_SD_EEPNS0_10empty_typeENS0_5tupleIJPlSF_EEENSH_IJSI_SG_EEENS0_18inequality_wrapperIN6hipcub16HIPCUB_304000_NS8EqualityEEESI_JSF_EEE10hipError_tPvRmT3_T4_T5_T6_T7_T9_mT8_P12ihipStream_tbDpT10_ENKUlT_T0_E_clISt17integral_constantIbLb1EES19_EEDaS14_S15_EUlS14_E_NS1_11comp_targetILNS1_3genE2ELNS1_11target_archE906ELNS1_3gpuE6ELNS1_3repE0EEENS1_30default_config_static_selectorELNS0_4arch9wavefront6targetE0EEEvT1_.numbered_sgpr, 0
	.set _ZN7rocprim17ROCPRIM_400000_NS6detail17trampoline_kernelINS0_14default_configENS1_25partition_config_selectorILNS1_17partition_subalgoE9EllbEEZZNS1_14partition_implILS5_9ELb0ES3_jPKlN6thrust23THRUST_200600_302600_NS17counting_iteratorIlNSB_11use_defaultESD_SD_EEPNS0_10empty_typeENS0_5tupleIJPlSF_EEENSH_IJSI_SG_EEENS0_18inequality_wrapperIN6hipcub16HIPCUB_304000_NS8EqualityEEESI_JSF_EEE10hipError_tPvRmT3_T4_T5_T6_T7_T9_mT8_P12ihipStream_tbDpT10_ENKUlT_T0_E_clISt17integral_constantIbLb1EES19_EEDaS14_S15_EUlS14_E_NS1_11comp_targetILNS1_3genE2ELNS1_11target_archE906ELNS1_3gpuE6ELNS1_3repE0EEENS1_30default_config_static_selectorELNS0_4arch9wavefront6targetE0EEEvT1_.num_named_barrier, 0
	.set _ZN7rocprim17ROCPRIM_400000_NS6detail17trampoline_kernelINS0_14default_configENS1_25partition_config_selectorILNS1_17partition_subalgoE9EllbEEZZNS1_14partition_implILS5_9ELb0ES3_jPKlN6thrust23THRUST_200600_302600_NS17counting_iteratorIlNSB_11use_defaultESD_SD_EEPNS0_10empty_typeENS0_5tupleIJPlSF_EEENSH_IJSI_SG_EEENS0_18inequality_wrapperIN6hipcub16HIPCUB_304000_NS8EqualityEEESI_JSF_EEE10hipError_tPvRmT3_T4_T5_T6_T7_T9_mT8_P12ihipStream_tbDpT10_ENKUlT_T0_E_clISt17integral_constantIbLb1EES19_EEDaS14_S15_EUlS14_E_NS1_11comp_targetILNS1_3genE2ELNS1_11target_archE906ELNS1_3gpuE6ELNS1_3repE0EEENS1_30default_config_static_selectorELNS0_4arch9wavefront6targetE0EEEvT1_.private_seg_size, 0
	.set _ZN7rocprim17ROCPRIM_400000_NS6detail17trampoline_kernelINS0_14default_configENS1_25partition_config_selectorILNS1_17partition_subalgoE9EllbEEZZNS1_14partition_implILS5_9ELb0ES3_jPKlN6thrust23THRUST_200600_302600_NS17counting_iteratorIlNSB_11use_defaultESD_SD_EEPNS0_10empty_typeENS0_5tupleIJPlSF_EEENSH_IJSI_SG_EEENS0_18inequality_wrapperIN6hipcub16HIPCUB_304000_NS8EqualityEEESI_JSF_EEE10hipError_tPvRmT3_T4_T5_T6_T7_T9_mT8_P12ihipStream_tbDpT10_ENKUlT_T0_E_clISt17integral_constantIbLb1EES19_EEDaS14_S15_EUlS14_E_NS1_11comp_targetILNS1_3genE2ELNS1_11target_archE906ELNS1_3gpuE6ELNS1_3repE0EEENS1_30default_config_static_selectorELNS0_4arch9wavefront6targetE0EEEvT1_.uses_vcc, 0
	.set _ZN7rocprim17ROCPRIM_400000_NS6detail17trampoline_kernelINS0_14default_configENS1_25partition_config_selectorILNS1_17partition_subalgoE9EllbEEZZNS1_14partition_implILS5_9ELb0ES3_jPKlN6thrust23THRUST_200600_302600_NS17counting_iteratorIlNSB_11use_defaultESD_SD_EEPNS0_10empty_typeENS0_5tupleIJPlSF_EEENSH_IJSI_SG_EEENS0_18inequality_wrapperIN6hipcub16HIPCUB_304000_NS8EqualityEEESI_JSF_EEE10hipError_tPvRmT3_T4_T5_T6_T7_T9_mT8_P12ihipStream_tbDpT10_ENKUlT_T0_E_clISt17integral_constantIbLb1EES19_EEDaS14_S15_EUlS14_E_NS1_11comp_targetILNS1_3genE2ELNS1_11target_archE906ELNS1_3gpuE6ELNS1_3repE0EEENS1_30default_config_static_selectorELNS0_4arch9wavefront6targetE0EEEvT1_.uses_flat_scratch, 0
	.set _ZN7rocprim17ROCPRIM_400000_NS6detail17trampoline_kernelINS0_14default_configENS1_25partition_config_selectorILNS1_17partition_subalgoE9EllbEEZZNS1_14partition_implILS5_9ELb0ES3_jPKlN6thrust23THRUST_200600_302600_NS17counting_iteratorIlNSB_11use_defaultESD_SD_EEPNS0_10empty_typeENS0_5tupleIJPlSF_EEENSH_IJSI_SG_EEENS0_18inequality_wrapperIN6hipcub16HIPCUB_304000_NS8EqualityEEESI_JSF_EEE10hipError_tPvRmT3_T4_T5_T6_T7_T9_mT8_P12ihipStream_tbDpT10_ENKUlT_T0_E_clISt17integral_constantIbLb1EES19_EEDaS14_S15_EUlS14_E_NS1_11comp_targetILNS1_3genE2ELNS1_11target_archE906ELNS1_3gpuE6ELNS1_3repE0EEENS1_30default_config_static_selectorELNS0_4arch9wavefront6targetE0EEEvT1_.has_dyn_sized_stack, 0
	.set _ZN7rocprim17ROCPRIM_400000_NS6detail17trampoline_kernelINS0_14default_configENS1_25partition_config_selectorILNS1_17partition_subalgoE9EllbEEZZNS1_14partition_implILS5_9ELb0ES3_jPKlN6thrust23THRUST_200600_302600_NS17counting_iteratorIlNSB_11use_defaultESD_SD_EEPNS0_10empty_typeENS0_5tupleIJPlSF_EEENSH_IJSI_SG_EEENS0_18inequality_wrapperIN6hipcub16HIPCUB_304000_NS8EqualityEEESI_JSF_EEE10hipError_tPvRmT3_T4_T5_T6_T7_T9_mT8_P12ihipStream_tbDpT10_ENKUlT_T0_E_clISt17integral_constantIbLb1EES19_EEDaS14_S15_EUlS14_E_NS1_11comp_targetILNS1_3genE2ELNS1_11target_archE906ELNS1_3gpuE6ELNS1_3repE0EEENS1_30default_config_static_selectorELNS0_4arch9wavefront6targetE0EEEvT1_.has_recursion, 0
	.set _ZN7rocprim17ROCPRIM_400000_NS6detail17trampoline_kernelINS0_14default_configENS1_25partition_config_selectorILNS1_17partition_subalgoE9EllbEEZZNS1_14partition_implILS5_9ELb0ES3_jPKlN6thrust23THRUST_200600_302600_NS17counting_iteratorIlNSB_11use_defaultESD_SD_EEPNS0_10empty_typeENS0_5tupleIJPlSF_EEENSH_IJSI_SG_EEENS0_18inequality_wrapperIN6hipcub16HIPCUB_304000_NS8EqualityEEESI_JSF_EEE10hipError_tPvRmT3_T4_T5_T6_T7_T9_mT8_P12ihipStream_tbDpT10_ENKUlT_T0_E_clISt17integral_constantIbLb1EES19_EEDaS14_S15_EUlS14_E_NS1_11comp_targetILNS1_3genE2ELNS1_11target_archE906ELNS1_3gpuE6ELNS1_3repE0EEENS1_30default_config_static_selectorELNS0_4arch9wavefront6targetE0EEEvT1_.has_indirect_call, 0
	.section	.AMDGPU.csdata,"",@progbits
; Kernel info:
; codeLenInByte = 0
; TotalNumSgprs: 0
; NumVgprs: 0
; ScratchSize: 0
; MemoryBound: 0
; FloatMode: 240
; IeeeMode: 1
; LDSByteSize: 0 bytes/workgroup (compile time only)
; SGPRBlocks: 0
; VGPRBlocks: 0
; NumSGPRsForWavesPerEU: 1
; NumVGPRsForWavesPerEU: 1
; NamedBarCnt: 0
; Occupancy: 16
; WaveLimiterHint : 0
; COMPUTE_PGM_RSRC2:SCRATCH_EN: 0
; COMPUTE_PGM_RSRC2:USER_SGPR: 2
; COMPUTE_PGM_RSRC2:TRAP_HANDLER: 0
; COMPUTE_PGM_RSRC2:TGID_X_EN: 1
; COMPUTE_PGM_RSRC2:TGID_Y_EN: 0
; COMPUTE_PGM_RSRC2:TGID_Z_EN: 0
; COMPUTE_PGM_RSRC2:TIDIG_COMP_CNT: 0
	.section	.text._ZN7rocprim17ROCPRIM_400000_NS6detail17trampoline_kernelINS0_14default_configENS1_25partition_config_selectorILNS1_17partition_subalgoE9EllbEEZZNS1_14partition_implILS5_9ELb0ES3_jPKlN6thrust23THRUST_200600_302600_NS17counting_iteratorIlNSB_11use_defaultESD_SD_EEPNS0_10empty_typeENS0_5tupleIJPlSF_EEENSH_IJSI_SG_EEENS0_18inequality_wrapperIN6hipcub16HIPCUB_304000_NS8EqualityEEESI_JSF_EEE10hipError_tPvRmT3_T4_T5_T6_T7_T9_mT8_P12ihipStream_tbDpT10_ENKUlT_T0_E_clISt17integral_constantIbLb1EES19_EEDaS14_S15_EUlS14_E_NS1_11comp_targetILNS1_3genE10ELNS1_11target_archE1200ELNS1_3gpuE4ELNS1_3repE0EEENS1_30default_config_static_selectorELNS0_4arch9wavefront6targetE0EEEvT1_,"axG",@progbits,_ZN7rocprim17ROCPRIM_400000_NS6detail17trampoline_kernelINS0_14default_configENS1_25partition_config_selectorILNS1_17partition_subalgoE9EllbEEZZNS1_14partition_implILS5_9ELb0ES3_jPKlN6thrust23THRUST_200600_302600_NS17counting_iteratorIlNSB_11use_defaultESD_SD_EEPNS0_10empty_typeENS0_5tupleIJPlSF_EEENSH_IJSI_SG_EEENS0_18inequality_wrapperIN6hipcub16HIPCUB_304000_NS8EqualityEEESI_JSF_EEE10hipError_tPvRmT3_T4_T5_T6_T7_T9_mT8_P12ihipStream_tbDpT10_ENKUlT_T0_E_clISt17integral_constantIbLb1EES19_EEDaS14_S15_EUlS14_E_NS1_11comp_targetILNS1_3genE10ELNS1_11target_archE1200ELNS1_3gpuE4ELNS1_3repE0EEENS1_30default_config_static_selectorELNS0_4arch9wavefront6targetE0EEEvT1_,comdat
	.protected	_ZN7rocprim17ROCPRIM_400000_NS6detail17trampoline_kernelINS0_14default_configENS1_25partition_config_selectorILNS1_17partition_subalgoE9EllbEEZZNS1_14partition_implILS5_9ELb0ES3_jPKlN6thrust23THRUST_200600_302600_NS17counting_iteratorIlNSB_11use_defaultESD_SD_EEPNS0_10empty_typeENS0_5tupleIJPlSF_EEENSH_IJSI_SG_EEENS0_18inequality_wrapperIN6hipcub16HIPCUB_304000_NS8EqualityEEESI_JSF_EEE10hipError_tPvRmT3_T4_T5_T6_T7_T9_mT8_P12ihipStream_tbDpT10_ENKUlT_T0_E_clISt17integral_constantIbLb1EES19_EEDaS14_S15_EUlS14_E_NS1_11comp_targetILNS1_3genE10ELNS1_11target_archE1200ELNS1_3gpuE4ELNS1_3repE0EEENS1_30default_config_static_selectorELNS0_4arch9wavefront6targetE0EEEvT1_ ; -- Begin function _ZN7rocprim17ROCPRIM_400000_NS6detail17trampoline_kernelINS0_14default_configENS1_25partition_config_selectorILNS1_17partition_subalgoE9EllbEEZZNS1_14partition_implILS5_9ELb0ES3_jPKlN6thrust23THRUST_200600_302600_NS17counting_iteratorIlNSB_11use_defaultESD_SD_EEPNS0_10empty_typeENS0_5tupleIJPlSF_EEENSH_IJSI_SG_EEENS0_18inequality_wrapperIN6hipcub16HIPCUB_304000_NS8EqualityEEESI_JSF_EEE10hipError_tPvRmT3_T4_T5_T6_T7_T9_mT8_P12ihipStream_tbDpT10_ENKUlT_T0_E_clISt17integral_constantIbLb1EES19_EEDaS14_S15_EUlS14_E_NS1_11comp_targetILNS1_3genE10ELNS1_11target_archE1200ELNS1_3gpuE4ELNS1_3repE0EEENS1_30default_config_static_selectorELNS0_4arch9wavefront6targetE0EEEvT1_
	.globl	_ZN7rocprim17ROCPRIM_400000_NS6detail17trampoline_kernelINS0_14default_configENS1_25partition_config_selectorILNS1_17partition_subalgoE9EllbEEZZNS1_14partition_implILS5_9ELb0ES3_jPKlN6thrust23THRUST_200600_302600_NS17counting_iteratorIlNSB_11use_defaultESD_SD_EEPNS0_10empty_typeENS0_5tupleIJPlSF_EEENSH_IJSI_SG_EEENS0_18inequality_wrapperIN6hipcub16HIPCUB_304000_NS8EqualityEEESI_JSF_EEE10hipError_tPvRmT3_T4_T5_T6_T7_T9_mT8_P12ihipStream_tbDpT10_ENKUlT_T0_E_clISt17integral_constantIbLb1EES19_EEDaS14_S15_EUlS14_E_NS1_11comp_targetILNS1_3genE10ELNS1_11target_archE1200ELNS1_3gpuE4ELNS1_3repE0EEENS1_30default_config_static_selectorELNS0_4arch9wavefront6targetE0EEEvT1_
	.p2align	8
	.type	_ZN7rocprim17ROCPRIM_400000_NS6detail17trampoline_kernelINS0_14default_configENS1_25partition_config_selectorILNS1_17partition_subalgoE9EllbEEZZNS1_14partition_implILS5_9ELb0ES3_jPKlN6thrust23THRUST_200600_302600_NS17counting_iteratorIlNSB_11use_defaultESD_SD_EEPNS0_10empty_typeENS0_5tupleIJPlSF_EEENSH_IJSI_SG_EEENS0_18inequality_wrapperIN6hipcub16HIPCUB_304000_NS8EqualityEEESI_JSF_EEE10hipError_tPvRmT3_T4_T5_T6_T7_T9_mT8_P12ihipStream_tbDpT10_ENKUlT_T0_E_clISt17integral_constantIbLb1EES19_EEDaS14_S15_EUlS14_E_NS1_11comp_targetILNS1_3genE10ELNS1_11target_archE1200ELNS1_3gpuE4ELNS1_3repE0EEENS1_30default_config_static_selectorELNS0_4arch9wavefront6targetE0EEEvT1_,@function
_ZN7rocprim17ROCPRIM_400000_NS6detail17trampoline_kernelINS0_14default_configENS1_25partition_config_selectorILNS1_17partition_subalgoE9EllbEEZZNS1_14partition_implILS5_9ELb0ES3_jPKlN6thrust23THRUST_200600_302600_NS17counting_iteratorIlNSB_11use_defaultESD_SD_EEPNS0_10empty_typeENS0_5tupleIJPlSF_EEENSH_IJSI_SG_EEENS0_18inequality_wrapperIN6hipcub16HIPCUB_304000_NS8EqualityEEESI_JSF_EEE10hipError_tPvRmT3_T4_T5_T6_T7_T9_mT8_P12ihipStream_tbDpT10_ENKUlT_T0_E_clISt17integral_constantIbLb1EES19_EEDaS14_S15_EUlS14_E_NS1_11comp_targetILNS1_3genE10ELNS1_11target_archE1200ELNS1_3gpuE4ELNS1_3repE0EEENS1_30default_config_static_selectorELNS0_4arch9wavefront6targetE0EEEvT1_: ; @_ZN7rocprim17ROCPRIM_400000_NS6detail17trampoline_kernelINS0_14default_configENS1_25partition_config_selectorILNS1_17partition_subalgoE9EllbEEZZNS1_14partition_implILS5_9ELb0ES3_jPKlN6thrust23THRUST_200600_302600_NS17counting_iteratorIlNSB_11use_defaultESD_SD_EEPNS0_10empty_typeENS0_5tupleIJPlSF_EEENSH_IJSI_SG_EEENS0_18inequality_wrapperIN6hipcub16HIPCUB_304000_NS8EqualityEEESI_JSF_EEE10hipError_tPvRmT3_T4_T5_T6_T7_T9_mT8_P12ihipStream_tbDpT10_ENKUlT_T0_E_clISt17integral_constantIbLb1EES19_EEDaS14_S15_EUlS14_E_NS1_11comp_targetILNS1_3genE10ELNS1_11target_archE1200ELNS1_3gpuE4ELNS1_3repE0EEENS1_30default_config_static_selectorELNS0_4arch9wavefront6targetE0EEEvT1_
; %bb.0:
	.section	.rodata,"a",@progbits
	.p2align	6, 0x0
	.amdhsa_kernel _ZN7rocprim17ROCPRIM_400000_NS6detail17trampoline_kernelINS0_14default_configENS1_25partition_config_selectorILNS1_17partition_subalgoE9EllbEEZZNS1_14partition_implILS5_9ELb0ES3_jPKlN6thrust23THRUST_200600_302600_NS17counting_iteratorIlNSB_11use_defaultESD_SD_EEPNS0_10empty_typeENS0_5tupleIJPlSF_EEENSH_IJSI_SG_EEENS0_18inequality_wrapperIN6hipcub16HIPCUB_304000_NS8EqualityEEESI_JSF_EEE10hipError_tPvRmT3_T4_T5_T6_T7_T9_mT8_P12ihipStream_tbDpT10_ENKUlT_T0_E_clISt17integral_constantIbLb1EES19_EEDaS14_S15_EUlS14_E_NS1_11comp_targetILNS1_3genE10ELNS1_11target_archE1200ELNS1_3gpuE4ELNS1_3repE0EEENS1_30default_config_static_selectorELNS0_4arch9wavefront6targetE0EEEvT1_
		.amdhsa_group_segment_fixed_size 0
		.amdhsa_private_segment_fixed_size 0
		.amdhsa_kernarg_size 128
		.amdhsa_user_sgpr_count 2
		.amdhsa_user_sgpr_dispatch_ptr 0
		.amdhsa_user_sgpr_queue_ptr 0
		.amdhsa_user_sgpr_kernarg_segment_ptr 1
		.amdhsa_user_sgpr_dispatch_id 0
		.amdhsa_user_sgpr_kernarg_preload_length 0
		.amdhsa_user_sgpr_kernarg_preload_offset 0
		.amdhsa_user_sgpr_private_segment_size 0
		.amdhsa_wavefront_size32 1
		.amdhsa_uses_dynamic_stack 0
		.amdhsa_enable_private_segment 0
		.amdhsa_system_sgpr_workgroup_id_x 1
		.amdhsa_system_sgpr_workgroup_id_y 0
		.amdhsa_system_sgpr_workgroup_id_z 0
		.amdhsa_system_sgpr_workgroup_info 0
		.amdhsa_system_vgpr_workitem_id 0
		.amdhsa_next_free_vgpr 1
		.amdhsa_next_free_sgpr 1
		.amdhsa_named_barrier_count 0
		.amdhsa_reserve_vcc 0
		.amdhsa_float_round_mode_32 0
		.amdhsa_float_round_mode_16_64 0
		.amdhsa_float_denorm_mode_32 3
		.amdhsa_float_denorm_mode_16_64 3
		.amdhsa_fp16_overflow 0
		.amdhsa_memory_ordered 1
		.amdhsa_forward_progress 1
		.amdhsa_inst_pref_size 0
		.amdhsa_round_robin_scheduling 0
		.amdhsa_exception_fp_ieee_invalid_op 0
		.amdhsa_exception_fp_denorm_src 0
		.amdhsa_exception_fp_ieee_div_zero 0
		.amdhsa_exception_fp_ieee_overflow 0
		.amdhsa_exception_fp_ieee_underflow 0
		.amdhsa_exception_fp_ieee_inexact 0
		.amdhsa_exception_int_div_zero 0
	.end_amdhsa_kernel
	.section	.text._ZN7rocprim17ROCPRIM_400000_NS6detail17trampoline_kernelINS0_14default_configENS1_25partition_config_selectorILNS1_17partition_subalgoE9EllbEEZZNS1_14partition_implILS5_9ELb0ES3_jPKlN6thrust23THRUST_200600_302600_NS17counting_iteratorIlNSB_11use_defaultESD_SD_EEPNS0_10empty_typeENS0_5tupleIJPlSF_EEENSH_IJSI_SG_EEENS0_18inequality_wrapperIN6hipcub16HIPCUB_304000_NS8EqualityEEESI_JSF_EEE10hipError_tPvRmT3_T4_T5_T6_T7_T9_mT8_P12ihipStream_tbDpT10_ENKUlT_T0_E_clISt17integral_constantIbLb1EES19_EEDaS14_S15_EUlS14_E_NS1_11comp_targetILNS1_3genE10ELNS1_11target_archE1200ELNS1_3gpuE4ELNS1_3repE0EEENS1_30default_config_static_selectorELNS0_4arch9wavefront6targetE0EEEvT1_,"axG",@progbits,_ZN7rocprim17ROCPRIM_400000_NS6detail17trampoline_kernelINS0_14default_configENS1_25partition_config_selectorILNS1_17partition_subalgoE9EllbEEZZNS1_14partition_implILS5_9ELb0ES3_jPKlN6thrust23THRUST_200600_302600_NS17counting_iteratorIlNSB_11use_defaultESD_SD_EEPNS0_10empty_typeENS0_5tupleIJPlSF_EEENSH_IJSI_SG_EEENS0_18inequality_wrapperIN6hipcub16HIPCUB_304000_NS8EqualityEEESI_JSF_EEE10hipError_tPvRmT3_T4_T5_T6_T7_T9_mT8_P12ihipStream_tbDpT10_ENKUlT_T0_E_clISt17integral_constantIbLb1EES19_EEDaS14_S15_EUlS14_E_NS1_11comp_targetILNS1_3genE10ELNS1_11target_archE1200ELNS1_3gpuE4ELNS1_3repE0EEENS1_30default_config_static_selectorELNS0_4arch9wavefront6targetE0EEEvT1_,comdat
.Lfunc_end57:
	.size	_ZN7rocprim17ROCPRIM_400000_NS6detail17trampoline_kernelINS0_14default_configENS1_25partition_config_selectorILNS1_17partition_subalgoE9EllbEEZZNS1_14partition_implILS5_9ELb0ES3_jPKlN6thrust23THRUST_200600_302600_NS17counting_iteratorIlNSB_11use_defaultESD_SD_EEPNS0_10empty_typeENS0_5tupleIJPlSF_EEENSH_IJSI_SG_EEENS0_18inequality_wrapperIN6hipcub16HIPCUB_304000_NS8EqualityEEESI_JSF_EEE10hipError_tPvRmT3_T4_T5_T6_T7_T9_mT8_P12ihipStream_tbDpT10_ENKUlT_T0_E_clISt17integral_constantIbLb1EES19_EEDaS14_S15_EUlS14_E_NS1_11comp_targetILNS1_3genE10ELNS1_11target_archE1200ELNS1_3gpuE4ELNS1_3repE0EEENS1_30default_config_static_selectorELNS0_4arch9wavefront6targetE0EEEvT1_, .Lfunc_end57-_ZN7rocprim17ROCPRIM_400000_NS6detail17trampoline_kernelINS0_14default_configENS1_25partition_config_selectorILNS1_17partition_subalgoE9EllbEEZZNS1_14partition_implILS5_9ELb0ES3_jPKlN6thrust23THRUST_200600_302600_NS17counting_iteratorIlNSB_11use_defaultESD_SD_EEPNS0_10empty_typeENS0_5tupleIJPlSF_EEENSH_IJSI_SG_EEENS0_18inequality_wrapperIN6hipcub16HIPCUB_304000_NS8EqualityEEESI_JSF_EEE10hipError_tPvRmT3_T4_T5_T6_T7_T9_mT8_P12ihipStream_tbDpT10_ENKUlT_T0_E_clISt17integral_constantIbLb1EES19_EEDaS14_S15_EUlS14_E_NS1_11comp_targetILNS1_3genE10ELNS1_11target_archE1200ELNS1_3gpuE4ELNS1_3repE0EEENS1_30default_config_static_selectorELNS0_4arch9wavefront6targetE0EEEvT1_
                                        ; -- End function
	.set _ZN7rocprim17ROCPRIM_400000_NS6detail17trampoline_kernelINS0_14default_configENS1_25partition_config_selectorILNS1_17partition_subalgoE9EllbEEZZNS1_14partition_implILS5_9ELb0ES3_jPKlN6thrust23THRUST_200600_302600_NS17counting_iteratorIlNSB_11use_defaultESD_SD_EEPNS0_10empty_typeENS0_5tupleIJPlSF_EEENSH_IJSI_SG_EEENS0_18inequality_wrapperIN6hipcub16HIPCUB_304000_NS8EqualityEEESI_JSF_EEE10hipError_tPvRmT3_T4_T5_T6_T7_T9_mT8_P12ihipStream_tbDpT10_ENKUlT_T0_E_clISt17integral_constantIbLb1EES19_EEDaS14_S15_EUlS14_E_NS1_11comp_targetILNS1_3genE10ELNS1_11target_archE1200ELNS1_3gpuE4ELNS1_3repE0EEENS1_30default_config_static_selectorELNS0_4arch9wavefront6targetE0EEEvT1_.num_vgpr, 0
	.set _ZN7rocprim17ROCPRIM_400000_NS6detail17trampoline_kernelINS0_14default_configENS1_25partition_config_selectorILNS1_17partition_subalgoE9EllbEEZZNS1_14partition_implILS5_9ELb0ES3_jPKlN6thrust23THRUST_200600_302600_NS17counting_iteratorIlNSB_11use_defaultESD_SD_EEPNS0_10empty_typeENS0_5tupleIJPlSF_EEENSH_IJSI_SG_EEENS0_18inequality_wrapperIN6hipcub16HIPCUB_304000_NS8EqualityEEESI_JSF_EEE10hipError_tPvRmT3_T4_T5_T6_T7_T9_mT8_P12ihipStream_tbDpT10_ENKUlT_T0_E_clISt17integral_constantIbLb1EES19_EEDaS14_S15_EUlS14_E_NS1_11comp_targetILNS1_3genE10ELNS1_11target_archE1200ELNS1_3gpuE4ELNS1_3repE0EEENS1_30default_config_static_selectorELNS0_4arch9wavefront6targetE0EEEvT1_.num_agpr, 0
	.set _ZN7rocprim17ROCPRIM_400000_NS6detail17trampoline_kernelINS0_14default_configENS1_25partition_config_selectorILNS1_17partition_subalgoE9EllbEEZZNS1_14partition_implILS5_9ELb0ES3_jPKlN6thrust23THRUST_200600_302600_NS17counting_iteratorIlNSB_11use_defaultESD_SD_EEPNS0_10empty_typeENS0_5tupleIJPlSF_EEENSH_IJSI_SG_EEENS0_18inequality_wrapperIN6hipcub16HIPCUB_304000_NS8EqualityEEESI_JSF_EEE10hipError_tPvRmT3_T4_T5_T6_T7_T9_mT8_P12ihipStream_tbDpT10_ENKUlT_T0_E_clISt17integral_constantIbLb1EES19_EEDaS14_S15_EUlS14_E_NS1_11comp_targetILNS1_3genE10ELNS1_11target_archE1200ELNS1_3gpuE4ELNS1_3repE0EEENS1_30default_config_static_selectorELNS0_4arch9wavefront6targetE0EEEvT1_.numbered_sgpr, 0
	.set _ZN7rocprim17ROCPRIM_400000_NS6detail17trampoline_kernelINS0_14default_configENS1_25partition_config_selectorILNS1_17partition_subalgoE9EllbEEZZNS1_14partition_implILS5_9ELb0ES3_jPKlN6thrust23THRUST_200600_302600_NS17counting_iteratorIlNSB_11use_defaultESD_SD_EEPNS0_10empty_typeENS0_5tupleIJPlSF_EEENSH_IJSI_SG_EEENS0_18inequality_wrapperIN6hipcub16HIPCUB_304000_NS8EqualityEEESI_JSF_EEE10hipError_tPvRmT3_T4_T5_T6_T7_T9_mT8_P12ihipStream_tbDpT10_ENKUlT_T0_E_clISt17integral_constantIbLb1EES19_EEDaS14_S15_EUlS14_E_NS1_11comp_targetILNS1_3genE10ELNS1_11target_archE1200ELNS1_3gpuE4ELNS1_3repE0EEENS1_30default_config_static_selectorELNS0_4arch9wavefront6targetE0EEEvT1_.num_named_barrier, 0
	.set _ZN7rocprim17ROCPRIM_400000_NS6detail17trampoline_kernelINS0_14default_configENS1_25partition_config_selectorILNS1_17partition_subalgoE9EllbEEZZNS1_14partition_implILS5_9ELb0ES3_jPKlN6thrust23THRUST_200600_302600_NS17counting_iteratorIlNSB_11use_defaultESD_SD_EEPNS0_10empty_typeENS0_5tupleIJPlSF_EEENSH_IJSI_SG_EEENS0_18inequality_wrapperIN6hipcub16HIPCUB_304000_NS8EqualityEEESI_JSF_EEE10hipError_tPvRmT3_T4_T5_T6_T7_T9_mT8_P12ihipStream_tbDpT10_ENKUlT_T0_E_clISt17integral_constantIbLb1EES19_EEDaS14_S15_EUlS14_E_NS1_11comp_targetILNS1_3genE10ELNS1_11target_archE1200ELNS1_3gpuE4ELNS1_3repE0EEENS1_30default_config_static_selectorELNS0_4arch9wavefront6targetE0EEEvT1_.private_seg_size, 0
	.set _ZN7rocprim17ROCPRIM_400000_NS6detail17trampoline_kernelINS0_14default_configENS1_25partition_config_selectorILNS1_17partition_subalgoE9EllbEEZZNS1_14partition_implILS5_9ELb0ES3_jPKlN6thrust23THRUST_200600_302600_NS17counting_iteratorIlNSB_11use_defaultESD_SD_EEPNS0_10empty_typeENS0_5tupleIJPlSF_EEENSH_IJSI_SG_EEENS0_18inequality_wrapperIN6hipcub16HIPCUB_304000_NS8EqualityEEESI_JSF_EEE10hipError_tPvRmT3_T4_T5_T6_T7_T9_mT8_P12ihipStream_tbDpT10_ENKUlT_T0_E_clISt17integral_constantIbLb1EES19_EEDaS14_S15_EUlS14_E_NS1_11comp_targetILNS1_3genE10ELNS1_11target_archE1200ELNS1_3gpuE4ELNS1_3repE0EEENS1_30default_config_static_selectorELNS0_4arch9wavefront6targetE0EEEvT1_.uses_vcc, 0
	.set _ZN7rocprim17ROCPRIM_400000_NS6detail17trampoline_kernelINS0_14default_configENS1_25partition_config_selectorILNS1_17partition_subalgoE9EllbEEZZNS1_14partition_implILS5_9ELb0ES3_jPKlN6thrust23THRUST_200600_302600_NS17counting_iteratorIlNSB_11use_defaultESD_SD_EEPNS0_10empty_typeENS0_5tupleIJPlSF_EEENSH_IJSI_SG_EEENS0_18inequality_wrapperIN6hipcub16HIPCUB_304000_NS8EqualityEEESI_JSF_EEE10hipError_tPvRmT3_T4_T5_T6_T7_T9_mT8_P12ihipStream_tbDpT10_ENKUlT_T0_E_clISt17integral_constantIbLb1EES19_EEDaS14_S15_EUlS14_E_NS1_11comp_targetILNS1_3genE10ELNS1_11target_archE1200ELNS1_3gpuE4ELNS1_3repE0EEENS1_30default_config_static_selectorELNS0_4arch9wavefront6targetE0EEEvT1_.uses_flat_scratch, 0
	.set _ZN7rocprim17ROCPRIM_400000_NS6detail17trampoline_kernelINS0_14default_configENS1_25partition_config_selectorILNS1_17partition_subalgoE9EllbEEZZNS1_14partition_implILS5_9ELb0ES3_jPKlN6thrust23THRUST_200600_302600_NS17counting_iteratorIlNSB_11use_defaultESD_SD_EEPNS0_10empty_typeENS0_5tupleIJPlSF_EEENSH_IJSI_SG_EEENS0_18inequality_wrapperIN6hipcub16HIPCUB_304000_NS8EqualityEEESI_JSF_EEE10hipError_tPvRmT3_T4_T5_T6_T7_T9_mT8_P12ihipStream_tbDpT10_ENKUlT_T0_E_clISt17integral_constantIbLb1EES19_EEDaS14_S15_EUlS14_E_NS1_11comp_targetILNS1_3genE10ELNS1_11target_archE1200ELNS1_3gpuE4ELNS1_3repE0EEENS1_30default_config_static_selectorELNS0_4arch9wavefront6targetE0EEEvT1_.has_dyn_sized_stack, 0
	.set _ZN7rocprim17ROCPRIM_400000_NS6detail17trampoline_kernelINS0_14default_configENS1_25partition_config_selectorILNS1_17partition_subalgoE9EllbEEZZNS1_14partition_implILS5_9ELb0ES3_jPKlN6thrust23THRUST_200600_302600_NS17counting_iteratorIlNSB_11use_defaultESD_SD_EEPNS0_10empty_typeENS0_5tupleIJPlSF_EEENSH_IJSI_SG_EEENS0_18inequality_wrapperIN6hipcub16HIPCUB_304000_NS8EqualityEEESI_JSF_EEE10hipError_tPvRmT3_T4_T5_T6_T7_T9_mT8_P12ihipStream_tbDpT10_ENKUlT_T0_E_clISt17integral_constantIbLb1EES19_EEDaS14_S15_EUlS14_E_NS1_11comp_targetILNS1_3genE10ELNS1_11target_archE1200ELNS1_3gpuE4ELNS1_3repE0EEENS1_30default_config_static_selectorELNS0_4arch9wavefront6targetE0EEEvT1_.has_recursion, 0
	.set _ZN7rocprim17ROCPRIM_400000_NS6detail17trampoline_kernelINS0_14default_configENS1_25partition_config_selectorILNS1_17partition_subalgoE9EllbEEZZNS1_14partition_implILS5_9ELb0ES3_jPKlN6thrust23THRUST_200600_302600_NS17counting_iteratorIlNSB_11use_defaultESD_SD_EEPNS0_10empty_typeENS0_5tupleIJPlSF_EEENSH_IJSI_SG_EEENS0_18inequality_wrapperIN6hipcub16HIPCUB_304000_NS8EqualityEEESI_JSF_EEE10hipError_tPvRmT3_T4_T5_T6_T7_T9_mT8_P12ihipStream_tbDpT10_ENKUlT_T0_E_clISt17integral_constantIbLb1EES19_EEDaS14_S15_EUlS14_E_NS1_11comp_targetILNS1_3genE10ELNS1_11target_archE1200ELNS1_3gpuE4ELNS1_3repE0EEENS1_30default_config_static_selectorELNS0_4arch9wavefront6targetE0EEEvT1_.has_indirect_call, 0
	.section	.AMDGPU.csdata,"",@progbits
; Kernel info:
; codeLenInByte = 0
; TotalNumSgprs: 0
; NumVgprs: 0
; ScratchSize: 0
; MemoryBound: 0
; FloatMode: 240
; IeeeMode: 1
; LDSByteSize: 0 bytes/workgroup (compile time only)
; SGPRBlocks: 0
; VGPRBlocks: 0
; NumSGPRsForWavesPerEU: 1
; NumVGPRsForWavesPerEU: 1
; NamedBarCnt: 0
; Occupancy: 16
; WaveLimiterHint : 0
; COMPUTE_PGM_RSRC2:SCRATCH_EN: 0
; COMPUTE_PGM_RSRC2:USER_SGPR: 2
; COMPUTE_PGM_RSRC2:TRAP_HANDLER: 0
; COMPUTE_PGM_RSRC2:TGID_X_EN: 1
; COMPUTE_PGM_RSRC2:TGID_Y_EN: 0
; COMPUTE_PGM_RSRC2:TGID_Z_EN: 0
; COMPUTE_PGM_RSRC2:TIDIG_COMP_CNT: 0
	.section	.text._ZN7rocprim17ROCPRIM_400000_NS6detail17trampoline_kernelINS0_14default_configENS1_25partition_config_selectorILNS1_17partition_subalgoE9EllbEEZZNS1_14partition_implILS5_9ELb0ES3_jPKlN6thrust23THRUST_200600_302600_NS17counting_iteratorIlNSB_11use_defaultESD_SD_EEPNS0_10empty_typeENS0_5tupleIJPlSF_EEENSH_IJSI_SG_EEENS0_18inequality_wrapperIN6hipcub16HIPCUB_304000_NS8EqualityEEESI_JSF_EEE10hipError_tPvRmT3_T4_T5_T6_T7_T9_mT8_P12ihipStream_tbDpT10_ENKUlT_T0_E_clISt17integral_constantIbLb1EES19_EEDaS14_S15_EUlS14_E_NS1_11comp_targetILNS1_3genE9ELNS1_11target_archE1100ELNS1_3gpuE3ELNS1_3repE0EEENS1_30default_config_static_selectorELNS0_4arch9wavefront6targetE0EEEvT1_,"axG",@progbits,_ZN7rocprim17ROCPRIM_400000_NS6detail17trampoline_kernelINS0_14default_configENS1_25partition_config_selectorILNS1_17partition_subalgoE9EllbEEZZNS1_14partition_implILS5_9ELb0ES3_jPKlN6thrust23THRUST_200600_302600_NS17counting_iteratorIlNSB_11use_defaultESD_SD_EEPNS0_10empty_typeENS0_5tupleIJPlSF_EEENSH_IJSI_SG_EEENS0_18inequality_wrapperIN6hipcub16HIPCUB_304000_NS8EqualityEEESI_JSF_EEE10hipError_tPvRmT3_T4_T5_T6_T7_T9_mT8_P12ihipStream_tbDpT10_ENKUlT_T0_E_clISt17integral_constantIbLb1EES19_EEDaS14_S15_EUlS14_E_NS1_11comp_targetILNS1_3genE9ELNS1_11target_archE1100ELNS1_3gpuE3ELNS1_3repE0EEENS1_30default_config_static_selectorELNS0_4arch9wavefront6targetE0EEEvT1_,comdat
	.protected	_ZN7rocprim17ROCPRIM_400000_NS6detail17trampoline_kernelINS0_14default_configENS1_25partition_config_selectorILNS1_17partition_subalgoE9EllbEEZZNS1_14partition_implILS5_9ELb0ES3_jPKlN6thrust23THRUST_200600_302600_NS17counting_iteratorIlNSB_11use_defaultESD_SD_EEPNS0_10empty_typeENS0_5tupleIJPlSF_EEENSH_IJSI_SG_EEENS0_18inequality_wrapperIN6hipcub16HIPCUB_304000_NS8EqualityEEESI_JSF_EEE10hipError_tPvRmT3_T4_T5_T6_T7_T9_mT8_P12ihipStream_tbDpT10_ENKUlT_T0_E_clISt17integral_constantIbLb1EES19_EEDaS14_S15_EUlS14_E_NS1_11comp_targetILNS1_3genE9ELNS1_11target_archE1100ELNS1_3gpuE3ELNS1_3repE0EEENS1_30default_config_static_selectorELNS0_4arch9wavefront6targetE0EEEvT1_ ; -- Begin function _ZN7rocprim17ROCPRIM_400000_NS6detail17trampoline_kernelINS0_14default_configENS1_25partition_config_selectorILNS1_17partition_subalgoE9EllbEEZZNS1_14partition_implILS5_9ELb0ES3_jPKlN6thrust23THRUST_200600_302600_NS17counting_iteratorIlNSB_11use_defaultESD_SD_EEPNS0_10empty_typeENS0_5tupleIJPlSF_EEENSH_IJSI_SG_EEENS0_18inequality_wrapperIN6hipcub16HIPCUB_304000_NS8EqualityEEESI_JSF_EEE10hipError_tPvRmT3_T4_T5_T6_T7_T9_mT8_P12ihipStream_tbDpT10_ENKUlT_T0_E_clISt17integral_constantIbLb1EES19_EEDaS14_S15_EUlS14_E_NS1_11comp_targetILNS1_3genE9ELNS1_11target_archE1100ELNS1_3gpuE3ELNS1_3repE0EEENS1_30default_config_static_selectorELNS0_4arch9wavefront6targetE0EEEvT1_
	.globl	_ZN7rocprim17ROCPRIM_400000_NS6detail17trampoline_kernelINS0_14default_configENS1_25partition_config_selectorILNS1_17partition_subalgoE9EllbEEZZNS1_14partition_implILS5_9ELb0ES3_jPKlN6thrust23THRUST_200600_302600_NS17counting_iteratorIlNSB_11use_defaultESD_SD_EEPNS0_10empty_typeENS0_5tupleIJPlSF_EEENSH_IJSI_SG_EEENS0_18inequality_wrapperIN6hipcub16HIPCUB_304000_NS8EqualityEEESI_JSF_EEE10hipError_tPvRmT3_T4_T5_T6_T7_T9_mT8_P12ihipStream_tbDpT10_ENKUlT_T0_E_clISt17integral_constantIbLb1EES19_EEDaS14_S15_EUlS14_E_NS1_11comp_targetILNS1_3genE9ELNS1_11target_archE1100ELNS1_3gpuE3ELNS1_3repE0EEENS1_30default_config_static_selectorELNS0_4arch9wavefront6targetE0EEEvT1_
	.p2align	8
	.type	_ZN7rocprim17ROCPRIM_400000_NS6detail17trampoline_kernelINS0_14default_configENS1_25partition_config_selectorILNS1_17partition_subalgoE9EllbEEZZNS1_14partition_implILS5_9ELb0ES3_jPKlN6thrust23THRUST_200600_302600_NS17counting_iteratorIlNSB_11use_defaultESD_SD_EEPNS0_10empty_typeENS0_5tupleIJPlSF_EEENSH_IJSI_SG_EEENS0_18inequality_wrapperIN6hipcub16HIPCUB_304000_NS8EqualityEEESI_JSF_EEE10hipError_tPvRmT3_T4_T5_T6_T7_T9_mT8_P12ihipStream_tbDpT10_ENKUlT_T0_E_clISt17integral_constantIbLb1EES19_EEDaS14_S15_EUlS14_E_NS1_11comp_targetILNS1_3genE9ELNS1_11target_archE1100ELNS1_3gpuE3ELNS1_3repE0EEENS1_30default_config_static_selectorELNS0_4arch9wavefront6targetE0EEEvT1_,@function
_ZN7rocprim17ROCPRIM_400000_NS6detail17trampoline_kernelINS0_14default_configENS1_25partition_config_selectorILNS1_17partition_subalgoE9EllbEEZZNS1_14partition_implILS5_9ELb0ES3_jPKlN6thrust23THRUST_200600_302600_NS17counting_iteratorIlNSB_11use_defaultESD_SD_EEPNS0_10empty_typeENS0_5tupleIJPlSF_EEENSH_IJSI_SG_EEENS0_18inequality_wrapperIN6hipcub16HIPCUB_304000_NS8EqualityEEESI_JSF_EEE10hipError_tPvRmT3_T4_T5_T6_T7_T9_mT8_P12ihipStream_tbDpT10_ENKUlT_T0_E_clISt17integral_constantIbLb1EES19_EEDaS14_S15_EUlS14_E_NS1_11comp_targetILNS1_3genE9ELNS1_11target_archE1100ELNS1_3gpuE3ELNS1_3repE0EEENS1_30default_config_static_selectorELNS0_4arch9wavefront6targetE0EEEvT1_: ; @_ZN7rocprim17ROCPRIM_400000_NS6detail17trampoline_kernelINS0_14default_configENS1_25partition_config_selectorILNS1_17partition_subalgoE9EllbEEZZNS1_14partition_implILS5_9ELb0ES3_jPKlN6thrust23THRUST_200600_302600_NS17counting_iteratorIlNSB_11use_defaultESD_SD_EEPNS0_10empty_typeENS0_5tupleIJPlSF_EEENSH_IJSI_SG_EEENS0_18inequality_wrapperIN6hipcub16HIPCUB_304000_NS8EqualityEEESI_JSF_EEE10hipError_tPvRmT3_T4_T5_T6_T7_T9_mT8_P12ihipStream_tbDpT10_ENKUlT_T0_E_clISt17integral_constantIbLb1EES19_EEDaS14_S15_EUlS14_E_NS1_11comp_targetILNS1_3genE9ELNS1_11target_archE1100ELNS1_3gpuE3ELNS1_3repE0EEENS1_30default_config_static_selectorELNS0_4arch9wavefront6targetE0EEEvT1_
; %bb.0:
	.section	.rodata,"a",@progbits
	.p2align	6, 0x0
	.amdhsa_kernel _ZN7rocprim17ROCPRIM_400000_NS6detail17trampoline_kernelINS0_14default_configENS1_25partition_config_selectorILNS1_17partition_subalgoE9EllbEEZZNS1_14partition_implILS5_9ELb0ES3_jPKlN6thrust23THRUST_200600_302600_NS17counting_iteratorIlNSB_11use_defaultESD_SD_EEPNS0_10empty_typeENS0_5tupleIJPlSF_EEENSH_IJSI_SG_EEENS0_18inequality_wrapperIN6hipcub16HIPCUB_304000_NS8EqualityEEESI_JSF_EEE10hipError_tPvRmT3_T4_T5_T6_T7_T9_mT8_P12ihipStream_tbDpT10_ENKUlT_T0_E_clISt17integral_constantIbLb1EES19_EEDaS14_S15_EUlS14_E_NS1_11comp_targetILNS1_3genE9ELNS1_11target_archE1100ELNS1_3gpuE3ELNS1_3repE0EEENS1_30default_config_static_selectorELNS0_4arch9wavefront6targetE0EEEvT1_
		.amdhsa_group_segment_fixed_size 0
		.amdhsa_private_segment_fixed_size 0
		.amdhsa_kernarg_size 128
		.amdhsa_user_sgpr_count 2
		.amdhsa_user_sgpr_dispatch_ptr 0
		.amdhsa_user_sgpr_queue_ptr 0
		.amdhsa_user_sgpr_kernarg_segment_ptr 1
		.amdhsa_user_sgpr_dispatch_id 0
		.amdhsa_user_sgpr_kernarg_preload_length 0
		.amdhsa_user_sgpr_kernarg_preload_offset 0
		.amdhsa_user_sgpr_private_segment_size 0
		.amdhsa_wavefront_size32 1
		.amdhsa_uses_dynamic_stack 0
		.amdhsa_enable_private_segment 0
		.amdhsa_system_sgpr_workgroup_id_x 1
		.amdhsa_system_sgpr_workgroup_id_y 0
		.amdhsa_system_sgpr_workgroup_id_z 0
		.amdhsa_system_sgpr_workgroup_info 0
		.amdhsa_system_vgpr_workitem_id 0
		.amdhsa_next_free_vgpr 1
		.amdhsa_next_free_sgpr 1
		.amdhsa_named_barrier_count 0
		.amdhsa_reserve_vcc 0
		.amdhsa_float_round_mode_32 0
		.amdhsa_float_round_mode_16_64 0
		.amdhsa_float_denorm_mode_32 3
		.amdhsa_float_denorm_mode_16_64 3
		.amdhsa_fp16_overflow 0
		.amdhsa_memory_ordered 1
		.amdhsa_forward_progress 1
		.amdhsa_inst_pref_size 0
		.amdhsa_round_robin_scheduling 0
		.amdhsa_exception_fp_ieee_invalid_op 0
		.amdhsa_exception_fp_denorm_src 0
		.amdhsa_exception_fp_ieee_div_zero 0
		.amdhsa_exception_fp_ieee_overflow 0
		.amdhsa_exception_fp_ieee_underflow 0
		.amdhsa_exception_fp_ieee_inexact 0
		.amdhsa_exception_int_div_zero 0
	.end_amdhsa_kernel
	.section	.text._ZN7rocprim17ROCPRIM_400000_NS6detail17trampoline_kernelINS0_14default_configENS1_25partition_config_selectorILNS1_17partition_subalgoE9EllbEEZZNS1_14partition_implILS5_9ELb0ES3_jPKlN6thrust23THRUST_200600_302600_NS17counting_iteratorIlNSB_11use_defaultESD_SD_EEPNS0_10empty_typeENS0_5tupleIJPlSF_EEENSH_IJSI_SG_EEENS0_18inequality_wrapperIN6hipcub16HIPCUB_304000_NS8EqualityEEESI_JSF_EEE10hipError_tPvRmT3_T4_T5_T6_T7_T9_mT8_P12ihipStream_tbDpT10_ENKUlT_T0_E_clISt17integral_constantIbLb1EES19_EEDaS14_S15_EUlS14_E_NS1_11comp_targetILNS1_3genE9ELNS1_11target_archE1100ELNS1_3gpuE3ELNS1_3repE0EEENS1_30default_config_static_selectorELNS0_4arch9wavefront6targetE0EEEvT1_,"axG",@progbits,_ZN7rocprim17ROCPRIM_400000_NS6detail17trampoline_kernelINS0_14default_configENS1_25partition_config_selectorILNS1_17partition_subalgoE9EllbEEZZNS1_14partition_implILS5_9ELb0ES3_jPKlN6thrust23THRUST_200600_302600_NS17counting_iteratorIlNSB_11use_defaultESD_SD_EEPNS0_10empty_typeENS0_5tupleIJPlSF_EEENSH_IJSI_SG_EEENS0_18inequality_wrapperIN6hipcub16HIPCUB_304000_NS8EqualityEEESI_JSF_EEE10hipError_tPvRmT3_T4_T5_T6_T7_T9_mT8_P12ihipStream_tbDpT10_ENKUlT_T0_E_clISt17integral_constantIbLb1EES19_EEDaS14_S15_EUlS14_E_NS1_11comp_targetILNS1_3genE9ELNS1_11target_archE1100ELNS1_3gpuE3ELNS1_3repE0EEENS1_30default_config_static_selectorELNS0_4arch9wavefront6targetE0EEEvT1_,comdat
.Lfunc_end58:
	.size	_ZN7rocprim17ROCPRIM_400000_NS6detail17trampoline_kernelINS0_14default_configENS1_25partition_config_selectorILNS1_17partition_subalgoE9EllbEEZZNS1_14partition_implILS5_9ELb0ES3_jPKlN6thrust23THRUST_200600_302600_NS17counting_iteratorIlNSB_11use_defaultESD_SD_EEPNS0_10empty_typeENS0_5tupleIJPlSF_EEENSH_IJSI_SG_EEENS0_18inequality_wrapperIN6hipcub16HIPCUB_304000_NS8EqualityEEESI_JSF_EEE10hipError_tPvRmT3_T4_T5_T6_T7_T9_mT8_P12ihipStream_tbDpT10_ENKUlT_T0_E_clISt17integral_constantIbLb1EES19_EEDaS14_S15_EUlS14_E_NS1_11comp_targetILNS1_3genE9ELNS1_11target_archE1100ELNS1_3gpuE3ELNS1_3repE0EEENS1_30default_config_static_selectorELNS0_4arch9wavefront6targetE0EEEvT1_, .Lfunc_end58-_ZN7rocprim17ROCPRIM_400000_NS6detail17trampoline_kernelINS0_14default_configENS1_25partition_config_selectorILNS1_17partition_subalgoE9EllbEEZZNS1_14partition_implILS5_9ELb0ES3_jPKlN6thrust23THRUST_200600_302600_NS17counting_iteratorIlNSB_11use_defaultESD_SD_EEPNS0_10empty_typeENS0_5tupleIJPlSF_EEENSH_IJSI_SG_EEENS0_18inequality_wrapperIN6hipcub16HIPCUB_304000_NS8EqualityEEESI_JSF_EEE10hipError_tPvRmT3_T4_T5_T6_T7_T9_mT8_P12ihipStream_tbDpT10_ENKUlT_T0_E_clISt17integral_constantIbLb1EES19_EEDaS14_S15_EUlS14_E_NS1_11comp_targetILNS1_3genE9ELNS1_11target_archE1100ELNS1_3gpuE3ELNS1_3repE0EEENS1_30default_config_static_selectorELNS0_4arch9wavefront6targetE0EEEvT1_
                                        ; -- End function
	.set _ZN7rocprim17ROCPRIM_400000_NS6detail17trampoline_kernelINS0_14default_configENS1_25partition_config_selectorILNS1_17partition_subalgoE9EllbEEZZNS1_14partition_implILS5_9ELb0ES3_jPKlN6thrust23THRUST_200600_302600_NS17counting_iteratorIlNSB_11use_defaultESD_SD_EEPNS0_10empty_typeENS0_5tupleIJPlSF_EEENSH_IJSI_SG_EEENS0_18inequality_wrapperIN6hipcub16HIPCUB_304000_NS8EqualityEEESI_JSF_EEE10hipError_tPvRmT3_T4_T5_T6_T7_T9_mT8_P12ihipStream_tbDpT10_ENKUlT_T0_E_clISt17integral_constantIbLb1EES19_EEDaS14_S15_EUlS14_E_NS1_11comp_targetILNS1_3genE9ELNS1_11target_archE1100ELNS1_3gpuE3ELNS1_3repE0EEENS1_30default_config_static_selectorELNS0_4arch9wavefront6targetE0EEEvT1_.num_vgpr, 0
	.set _ZN7rocprim17ROCPRIM_400000_NS6detail17trampoline_kernelINS0_14default_configENS1_25partition_config_selectorILNS1_17partition_subalgoE9EllbEEZZNS1_14partition_implILS5_9ELb0ES3_jPKlN6thrust23THRUST_200600_302600_NS17counting_iteratorIlNSB_11use_defaultESD_SD_EEPNS0_10empty_typeENS0_5tupleIJPlSF_EEENSH_IJSI_SG_EEENS0_18inequality_wrapperIN6hipcub16HIPCUB_304000_NS8EqualityEEESI_JSF_EEE10hipError_tPvRmT3_T4_T5_T6_T7_T9_mT8_P12ihipStream_tbDpT10_ENKUlT_T0_E_clISt17integral_constantIbLb1EES19_EEDaS14_S15_EUlS14_E_NS1_11comp_targetILNS1_3genE9ELNS1_11target_archE1100ELNS1_3gpuE3ELNS1_3repE0EEENS1_30default_config_static_selectorELNS0_4arch9wavefront6targetE0EEEvT1_.num_agpr, 0
	.set _ZN7rocprim17ROCPRIM_400000_NS6detail17trampoline_kernelINS0_14default_configENS1_25partition_config_selectorILNS1_17partition_subalgoE9EllbEEZZNS1_14partition_implILS5_9ELb0ES3_jPKlN6thrust23THRUST_200600_302600_NS17counting_iteratorIlNSB_11use_defaultESD_SD_EEPNS0_10empty_typeENS0_5tupleIJPlSF_EEENSH_IJSI_SG_EEENS0_18inequality_wrapperIN6hipcub16HIPCUB_304000_NS8EqualityEEESI_JSF_EEE10hipError_tPvRmT3_T4_T5_T6_T7_T9_mT8_P12ihipStream_tbDpT10_ENKUlT_T0_E_clISt17integral_constantIbLb1EES19_EEDaS14_S15_EUlS14_E_NS1_11comp_targetILNS1_3genE9ELNS1_11target_archE1100ELNS1_3gpuE3ELNS1_3repE0EEENS1_30default_config_static_selectorELNS0_4arch9wavefront6targetE0EEEvT1_.numbered_sgpr, 0
	.set _ZN7rocprim17ROCPRIM_400000_NS6detail17trampoline_kernelINS0_14default_configENS1_25partition_config_selectorILNS1_17partition_subalgoE9EllbEEZZNS1_14partition_implILS5_9ELb0ES3_jPKlN6thrust23THRUST_200600_302600_NS17counting_iteratorIlNSB_11use_defaultESD_SD_EEPNS0_10empty_typeENS0_5tupleIJPlSF_EEENSH_IJSI_SG_EEENS0_18inequality_wrapperIN6hipcub16HIPCUB_304000_NS8EqualityEEESI_JSF_EEE10hipError_tPvRmT3_T4_T5_T6_T7_T9_mT8_P12ihipStream_tbDpT10_ENKUlT_T0_E_clISt17integral_constantIbLb1EES19_EEDaS14_S15_EUlS14_E_NS1_11comp_targetILNS1_3genE9ELNS1_11target_archE1100ELNS1_3gpuE3ELNS1_3repE0EEENS1_30default_config_static_selectorELNS0_4arch9wavefront6targetE0EEEvT1_.num_named_barrier, 0
	.set _ZN7rocprim17ROCPRIM_400000_NS6detail17trampoline_kernelINS0_14default_configENS1_25partition_config_selectorILNS1_17partition_subalgoE9EllbEEZZNS1_14partition_implILS5_9ELb0ES3_jPKlN6thrust23THRUST_200600_302600_NS17counting_iteratorIlNSB_11use_defaultESD_SD_EEPNS0_10empty_typeENS0_5tupleIJPlSF_EEENSH_IJSI_SG_EEENS0_18inequality_wrapperIN6hipcub16HIPCUB_304000_NS8EqualityEEESI_JSF_EEE10hipError_tPvRmT3_T4_T5_T6_T7_T9_mT8_P12ihipStream_tbDpT10_ENKUlT_T0_E_clISt17integral_constantIbLb1EES19_EEDaS14_S15_EUlS14_E_NS1_11comp_targetILNS1_3genE9ELNS1_11target_archE1100ELNS1_3gpuE3ELNS1_3repE0EEENS1_30default_config_static_selectorELNS0_4arch9wavefront6targetE0EEEvT1_.private_seg_size, 0
	.set _ZN7rocprim17ROCPRIM_400000_NS6detail17trampoline_kernelINS0_14default_configENS1_25partition_config_selectorILNS1_17partition_subalgoE9EllbEEZZNS1_14partition_implILS5_9ELb0ES3_jPKlN6thrust23THRUST_200600_302600_NS17counting_iteratorIlNSB_11use_defaultESD_SD_EEPNS0_10empty_typeENS0_5tupleIJPlSF_EEENSH_IJSI_SG_EEENS0_18inequality_wrapperIN6hipcub16HIPCUB_304000_NS8EqualityEEESI_JSF_EEE10hipError_tPvRmT3_T4_T5_T6_T7_T9_mT8_P12ihipStream_tbDpT10_ENKUlT_T0_E_clISt17integral_constantIbLb1EES19_EEDaS14_S15_EUlS14_E_NS1_11comp_targetILNS1_3genE9ELNS1_11target_archE1100ELNS1_3gpuE3ELNS1_3repE0EEENS1_30default_config_static_selectorELNS0_4arch9wavefront6targetE0EEEvT1_.uses_vcc, 0
	.set _ZN7rocprim17ROCPRIM_400000_NS6detail17trampoline_kernelINS0_14default_configENS1_25partition_config_selectorILNS1_17partition_subalgoE9EllbEEZZNS1_14partition_implILS5_9ELb0ES3_jPKlN6thrust23THRUST_200600_302600_NS17counting_iteratorIlNSB_11use_defaultESD_SD_EEPNS0_10empty_typeENS0_5tupleIJPlSF_EEENSH_IJSI_SG_EEENS0_18inequality_wrapperIN6hipcub16HIPCUB_304000_NS8EqualityEEESI_JSF_EEE10hipError_tPvRmT3_T4_T5_T6_T7_T9_mT8_P12ihipStream_tbDpT10_ENKUlT_T0_E_clISt17integral_constantIbLb1EES19_EEDaS14_S15_EUlS14_E_NS1_11comp_targetILNS1_3genE9ELNS1_11target_archE1100ELNS1_3gpuE3ELNS1_3repE0EEENS1_30default_config_static_selectorELNS0_4arch9wavefront6targetE0EEEvT1_.uses_flat_scratch, 0
	.set _ZN7rocprim17ROCPRIM_400000_NS6detail17trampoline_kernelINS0_14default_configENS1_25partition_config_selectorILNS1_17partition_subalgoE9EllbEEZZNS1_14partition_implILS5_9ELb0ES3_jPKlN6thrust23THRUST_200600_302600_NS17counting_iteratorIlNSB_11use_defaultESD_SD_EEPNS0_10empty_typeENS0_5tupleIJPlSF_EEENSH_IJSI_SG_EEENS0_18inequality_wrapperIN6hipcub16HIPCUB_304000_NS8EqualityEEESI_JSF_EEE10hipError_tPvRmT3_T4_T5_T6_T7_T9_mT8_P12ihipStream_tbDpT10_ENKUlT_T0_E_clISt17integral_constantIbLb1EES19_EEDaS14_S15_EUlS14_E_NS1_11comp_targetILNS1_3genE9ELNS1_11target_archE1100ELNS1_3gpuE3ELNS1_3repE0EEENS1_30default_config_static_selectorELNS0_4arch9wavefront6targetE0EEEvT1_.has_dyn_sized_stack, 0
	.set _ZN7rocprim17ROCPRIM_400000_NS6detail17trampoline_kernelINS0_14default_configENS1_25partition_config_selectorILNS1_17partition_subalgoE9EllbEEZZNS1_14partition_implILS5_9ELb0ES3_jPKlN6thrust23THRUST_200600_302600_NS17counting_iteratorIlNSB_11use_defaultESD_SD_EEPNS0_10empty_typeENS0_5tupleIJPlSF_EEENSH_IJSI_SG_EEENS0_18inequality_wrapperIN6hipcub16HIPCUB_304000_NS8EqualityEEESI_JSF_EEE10hipError_tPvRmT3_T4_T5_T6_T7_T9_mT8_P12ihipStream_tbDpT10_ENKUlT_T0_E_clISt17integral_constantIbLb1EES19_EEDaS14_S15_EUlS14_E_NS1_11comp_targetILNS1_3genE9ELNS1_11target_archE1100ELNS1_3gpuE3ELNS1_3repE0EEENS1_30default_config_static_selectorELNS0_4arch9wavefront6targetE0EEEvT1_.has_recursion, 0
	.set _ZN7rocprim17ROCPRIM_400000_NS6detail17trampoline_kernelINS0_14default_configENS1_25partition_config_selectorILNS1_17partition_subalgoE9EllbEEZZNS1_14partition_implILS5_9ELb0ES3_jPKlN6thrust23THRUST_200600_302600_NS17counting_iteratorIlNSB_11use_defaultESD_SD_EEPNS0_10empty_typeENS0_5tupleIJPlSF_EEENSH_IJSI_SG_EEENS0_18inequality_wrapperIN6hipcub16HIPCUB_304000_NS8EqualityEEESI_JSF_EEE10hipError_tPvRmT3_T4_T5_T6_T7_T9_mT8_P12ihipStream_tbDpT10_ENKUlT_T0_E_clISt17integral_constantIbLb1EES19_EEDaS14_S15_EUlS14_E_NS1_11comp_targetILNS1_3genE9ELNS1_11target_archE1100ELNS1_3gpuE3ELNS1_3repE0EEENS1_30default_config_static_selectorELNS0_4arch9wavefront6targetE0EEEvT1_.has_indirect_call, 0
	.section	.AMDGPU.csdata,"",@progbits
; Kernel info:
; codeLenInByte = 0
; TotalNumSgprs: 0
; NumVgprs: 0
; ScratchSize: 0
; MemoryBound: 0
; FloatMode: 240
; IeeeMode: 1
; LDSByteSize: 0 bytes/workgroup (compile time only)
; SGPRBlocks: 0
; VGPRBlocks: 0
; NumSGPRsForWavesPerEU: 1
; NumVGPRsForWavesPerEU: 1
; NamedBarCnt: 0
; Occupancy: 16
; WaveLimiterHint : 0
; COMPUTE_PGM_RSRC2:SCRATCH_EN: 0
; COMPUTE_PGM_RSRC2:USER_SGPR: 2
; COMPUTE_PGM_RSRC2:TRAP_HANDLER: 0
; COMPUTE_PGM_RSRC2:TGID_X_EN: 1
; COMPUTE_PGM_RSRC2:TGID_Y_EN: 0
; COMPUTE_PGM_RSRC2:TGID_Z_EN: 0
; COMPUTE_PGM_RSRC2:TIDIG_COMP_CNT: 0
	.section	.text._ZN7rocprim17ROCPRIM_400000_NS6detail17trampoline_kernelINS0_14default_configENS1_25partition_config_selectorILNS1_17partition_subalgoE9EllbEEZZNS1_14partition_implILS5_9ELb0ES3_jPKlN6thrust23THRUST_200600_302600_NS17counting_iteratorIlNSB_11use_defaultESD_SD_EEPNS0_10empty_typeENS0_5tupleIJPlSF_EEENSH_IJSI_SG_EEENS0_18inequality_wrapperIN6hipcub16HIPCUB_304000_NS8EqualityEEESI_JSF_EEE10hipError_tPvRmT3_T4_T5_T6_T7_T9_mT8_P12ihipStream_tbDpT10_ENKUlT_T0_E_clISt17integral_constantIbLb1EES19_EEDaS14_S15_EUlS14_E_NS1_11comp_targetILNS1_3genE8ELNS1_11target_archE1030ELNS1_3gpuE2ELNS1_3repE0EEENS1_30default_config_static_selectorELNS0_4arch9wavefront6targetE0EEEvT1_,"axG",@progbits,_ZN7rocprim17ROCPRIM_400000_NS6detail17trampoline_kernelINS0_14default_configENS1_25partition_config_selectorILNS1_17partition_subalgoE9EllbEEZZNS1_14partition_implILS5_9ELb0ES3_jPKlN6thrust23THRUST_200600_302600_NS17counting_iteratorIlNSB_11use_defaultESD_SD_EEPNS0_10empty_typeENS0_5tupleIJPlSF_EEENSH_IJSI_SG_EEENS0_18inequality_wrapperIN6hipcub16HIPCUB_304000_NS8EqualityEEESI_JSF_EEE10hipError_tPvRmT3_T4_T5_T6_T7_T9_mT8_P12ihipStream_tbDpT10_ENKUlT_T0_E_clISt17integral_constantIbLb1EES19_EEDaS14_S15_EUlS14_E_NS1_11comp_targetILNS1_3genE8ELNS1_11target_archE1030ELNS1_3gpuE2ELNS1_3repE0EEENS1_30default_config_static_selectorELNS0_4arch9wavefront6targetE0EEEvT1_,comdat
	.protected	_ZN7rocprim17ROCPRIM_400000_NS6detail17trampoline_kernelINS0_14default_configENS1_25partition_config_selectorILNS1_17partition_subalgoE9EllbEEZZNS1_14partition_implILS5_9ELb0ES3_jPKlN6thrust23THRUST_200600_302600_NS17counting_iteratorIlNSB_11use_defaultESD_SD_EEPNS0_10empty_typeENS0_5tupleIJPlSF_EEENSH_IJSI_SG_EEENS0_18inequality_wrapperIN6hipcub16HIPCUB_304000_NS8EqualityEEESI_JSF_EEE10hipError_tPvRmT3_T4_T5_T6_T7_T9_mT8_P12ihipStream_tbDpT10_ENKUlT_T0_E_clISt17integral_constantIbLb1EES19_EEDaS14_S15_EUlS14_E_NS1_11comp_targetILNS1_3genE8ELNS1_11target_archE1030ELNS1_3gpuE2ELNS1_3repE0EEENS1_30default_config_static_selectorELNS0_4arch9wavefront6targetE0EEEvT1_ ; -- Begin function _ZN7rocprim17ROCPRIM_400000_NS6detail17trampoline_kernelINS0_14default_configENS1_25partition_config_selectorILNS1_17partition_subalgoE9EllbEEZZNS1_14partition_implILS5_9ELb0ES3_jPKlN6thrust23THRUST_200600_302600_NS17counting_iteratorIlNSB_11use_defaultESD_SD_EEPNS0_10empty_typeENS0_5tupleIJPlSF_EEENSH_IJSI_SG_EEENS0_18inequality_wrapperIN6hipcub16HIPCUB_304000_NS8EqualityEEESI_JSF_EEE10hipError_tPvRmT3_T4_T5_T6_T7_T9_mT8_P12ihipStream_tbDpT10_ENKUlT_T0_E_clISt17integral_constantIbLb1EES19_EEDaS14_S15_EUlS14_E_NS1_11comp_targetILNS1_3genE8ELNS1_11target_archE1030ELNS1_3gpuE2ELNS1_3repE0EEENS1_30default_config_static_selectorELNS0_4arch9wavefront6targetE0EEEvT1_
	.globl	_ZN7rocprim17ROCPRIM_400000_NS6detail17trampoline_kernelINS0_14default_configENS1_25partition_config_selectorILNS1_17partition_subalgoE9EllbEEZZNS1_14partition_implILS5_9ELb0ES3_jPKlN6thrust23THRUST_200600_302600_NS17counting_iteratorIlNSB_11use_defaultESD_SD_EEPNS0_10empty_typeENS0_5tupleIJPlSF_EEENSH_IJSI_SG_EEENS0_18inequality_wrapperIN6hipcub16HIPCUB_304000_NS8EqualityEEESI_JSF_EEE10hipError_tPvRmT3_T4_T5_T6_T7_T9_mT8_P12ihipStream_tbDpT10_ENKUlT_T0_E_clISt17integral_constantIbLb1EES19_EEDaS14_S15_EUlS14_E_NS1_11comp_targetILNS1_3genE8ELNS1_11target_archE1030ELNS1_3gpuE2ELNS1_3repE0EEENS1_30default_config_static_selectorELNS0_4arch9wavefront6targetE0EEEvT1_
	.p2align	8
	.type	_ZN7rocprim17ROCPRIM_400000_NS6detail17trampoline_kernelINS0_14default_configENS1_25partition_config_selectorILNS1_17partition_subalgoE9EllbEEZZNS1_14partition_implILS5_9ELb0ES3_jPKlN6thrust23THRUST_200600_302600_NS17counting_iteratorIlNSB_11use_defaultESD_SD_EEPNS0_10empty_typeENS0_5tupleIJPlSF_EEENSH_IJSI_SG_EEENS0_18inequality_wrapperIN6hipcub16HIPCUB_304000_NS8EqualityEEESI_JSF_EEE10hipError_tPvRmT3_T4_T5_T6_T7_T9_mT8_P12ihipStream_tbDpT10_ENKUlT_T0_E_clISt17integral_constantIbLb1EES19_EEDaS14_S15_EUlS14_E_NS1_11comp_targetILNS1_3genE8ELNS1_11target_archE1030ELNS1_3gpuE2ELNS1_3repE0EEENS1_30default_config_static_selectorELNS0_4arch9wavefront6targetE0EEEvT1_,@function
_ZN7rocprim17ROCPRIM_400000_NS6detail17trampoline_kernelINS0_14default_configENS1_25partition_config_selectorILNS1_17partition_subalgoE9EllbEEZZNS1_14partition_implILS5_9ELb0ES3_jPKlN6thrust23THRUST_200600_302600_NS17counting_iteratorIlNSB_11use_defaultESD_SD_EEPNS0_10empty_typeENS0_5tupleIJPlSF_EEENSH_IJSI_SG_EEENS0_18inequality_wrapperIN6hipcub16HIPCUB_304000_NS8EqualityEEESI_JSF_EEE10hipError_tPvRmT3_T4_T5_T6_T7_T9_mT8_P12ihipStream_tbDpT10_ENKUlT_T0_E_clISt17integral_constantIbLb1EES19_EEDaS14_S15_EUlS14_E_NS1_11comp_targetILNS1_3genE8ELNS1_11target_archE1030ELNS1_3gpuE2ELNS1_3repE0EEENS1_30default_config_static_selectorELNS0_4arch9wavefront6targetE0EEEvT1_: ; @_ZN7rocprim17ROCPRIM_400000_NS6detail17trampoline_kernelINS0_14default_configENS1_25partition_config_selectorILNS1_17partition_subalgoE9EllbEEZZNS1_14partition_implILS5_9ELb0ES3_jPKlN6thrust23THRUST_200600_302600_NS17counting_iteratorIlNSB_11use_defaultESD_SD_EEPNS0_10empty_typeENS0_5tupleIJPlSF_EEENSH_IJSI_SG_EEENS0_18inequality_wrapperIN6hipcub16HIPCUB_304000_NS8EqualityEEESI_JSF_EEE10hipError_tPvRmT3_T4_T5_T6_T7_T9_mT8_P12ihipStream_tbDpT10_ENKUlT_T0_E_clISt17integral_constantIbLb1EES19_EEDaS14_S15_EUlS14_E_NS1_11comp_targetILNS1_3genE8ELNS1_11target_archE1030ELNS1_3gpuE2ELNS1_3repE0EEENS1_30default_config_static_selectorELNS0_4arch9wavefront6targetE0EEEvT1_
; %bb.0:
	.section	.rodata,"a",@progbits
	.p2align	6, 0x0
	.amdhsa_kernel _ZN7rocprim17ROCPRIM_400000_NS6detail17trampoline_kernelINS0_14default_configENS1_25partition_config_selectorILNS1_17partition_subalgoE9EllbEEZZNS1_14partition_implILS5_9ELb0ES3_jPKlN6thrust23THRUST_200600_302600_NS17counting_iteratorIlNSB_11use_defaultESD_SD_EEPNS0_10empty_typeENS0_5tupleIJPlSF_EEENSH_IJSI_SG_EEENS0_18inequality_wrapperIN6hipcub16HIPCUB_304000_NS8EqualityEEESI_JSF_EEE10hipError_tPvRmT3_T4_T5_T6_T7_T9_mT8_P12ihipStream_tbDpT10_ENKUlT_T0_E_clISt17integral_constantIbLb1EES19_EEDaS14_S15_EUlS14_E_NS1_11comp_targetILNS1_3genE8ELNS1_11target_archE1030ELNS1_3gpuE2ELNS1_3repE0EEENS1_30default_config_static_selectorELNS0_4arch9wavefront6targetE0EEEvT1_
		.amdhsa_group_segment_fixed_size 0
		.amdhsa_private_segment_fixed_size 0
		.amdhsa_kernarg_size 128
		.amdhsa_user_sgpr_count 2
		.amdhsa_user_sgpr_dispatch_ptr 0
		.amdhsa_user_sgpr_queue_ptr 0
		.amdhsa_user_sgpr_kernarg_segment_ptr 1
		.amdhsa_user_sgpr_dispatch_id 0
		.amdhsa_user_sgpr_kernarg_preload_length 0
		.amdhsa_user_sgpr_kernarg_preload_offset 0
		.amdhsa_user_sgpr_private_segment_size 0
		.amdhsa_wavefront_size32 1
		.amdhsa_uses_dynamic_stack 0
		.amdhsa_enable_private_segment 0
		.amdhsa_system_sgpr_workgroup_id_x 1
		.amdhsa_system_sgpr_workgroup_id_y 0
		.amdhsa_system_sgpr_workgroup_id_z 0
		.amdhsa_system_sgpr_workgroup_info 0
		.amdhsa_system_vgpr_workitem_id 0
		.amdhsa_next_free_vgpr 1
		.amdhsa_next_free_sgpr 1
		.amdhsa_named_barrier_count 0
		.amdhsa_reserve_vcc 0
		.amdhsa_float_round_mode_32 0
		.amdhsa_float_round_mode_16_64 0
		.amdhsa_float_denorm_mode_32 3
		.amdhsa_float_denorm_mode_16_64 3
		.amdhsa_fp16_overflow 0
		.amdhsa_memory_ordered 1
		.amdhsa_forward_progress 1
		.amdhsa_inst_pref_size 0
		.amdhsa_round_robin_scheduling 0
		.amdhsa_exception_fp_ieee_invalid_op 0
		.amdhsa_exception_fp_denorm_src 0
		.amdhsa_exception_fp_ieee_div_zero 0
		.amdhsa_exception_fp_ieee_overflow 0
		.amdhsa_exception_fp_ieee_underflow 0
		.amdhsa_exception_fp_ieee_inexact 0
		.amdhsa_exception_int_div_zero 0
	.end_amdhsa_kernel
	.section	.text._ZN7rocprim17ROCPRIM_400000_NS6detail17trampoline_kernelINS0_14default_configENS1_25partition_config_selectorILNS1_17partition_subalgoE9EllbEEZZNS1_14partition_implILS5_9ELb0ES3_jPKlN6thrust23THRUST_200600_302600_NS17counting_iteratorIlNSB_11use_defaultESD_SD_EEPNS0_10empty_typeENS0_5tupleIJPlSF_EEENSH_IJSI_SG_EEENS0_18inequality_wrapperIN6hipcub16HIPCUB_304000_NS8EqualityEEESI_JSF_EEE10hipError_tPvRmT3_T4_T5_T6_T7_T9_mT8_P12ihipStream_tbDpT10_ENKUlT_T0_E_clISt17integral_constantIbLb1EES19_EEDaS14_S15_EUlS14_E_NS1_11comp_targetILNS1_3genE8ELNS1_11target_archE1030ELNS1_3gpuE2ELNS1_3repE0EEENS1_30default_config_static_selectorELNS0_4arch9wavefront6targetE0EEEvT1_,"axG",@progbits,_ZN7rocprim17ROCPRIM_400000_NS6detail17trampoline_kernelINS0_14default_configENS1_25partition_config_selectorILNS1_17partition_subalgoE9EllbEEZZNS1_14partition_implILS5_9ELb0ES3_jPKlN6thrust23THRUST_200600_302600_NS17counting_iteratorIlNSB_11use_defaultESD_SD_EEPNS0_10empty_typeENS0_5tupleIJPlSF_EEENSH_IJSI_SG_EEENS0_18inequality_wrapperIN6hipcub16HIPCUB_304000_NS8EqualityEEESI_JSF_EEE10hipError_tPvRmT3_T4_T5_T6_T7_T9_mT8_P12ihipStream_tbDpT10_ENKUlT_T0_E_clISt17integral_constantIbLb1EES19_EEDaS14_S15_EUlS14_E_NS1_11comp_targetILNS1_3genE8ELNS1_11target_archE1030ELNS1_3gpuE2ELNS1_3repE0EEENS1_30default_config_static_selectorELNS0_4arch9wavefront6targetE0EEEvT1_,comdat
.Lfunc_end59:
	.size	_ZN7rocprim17ROCPRIM_400000_NS6detail17trampoline_kernelINS0_14default_configENS1_25partition_config_selectorILNS1_17partition_subalgoE9EllbEEZZNS1_14partition_implILS5_9ELb0ES3_jPKlN6thrust23THRUST_200600_302600_NS17counting_iteratorIlNSB_11use_defaultESD_SD_EEPNS0_10empty_typeENS0_5tupleIJPlSF_EEENSH_IJSI_SG_EEENS0_18inequality_wrapperIN6hipcub16HIPCUB_304000_NS8EqualityEEESI_JSF_EEE10hipError_tPvRmT3_T4_T5_T6_T7_T9_mT8_P12ihipStream_tbDpT10_ENKUlT_T0_E_clISt17integral_constantIbLb1EES19_EEDaS14_S15_EUlS14_E_NS1_11comp_targetILNS1_3genE8ELNS1_11target_archE1030ELNS1_3gpuE2ELNS1_3repE0EEENS1_30default_config_static_selectorELNS0_4arch9wavefront6targetE0EEEvT1_, .Lfunc_end59-_ZN7rocprim17ROCPRIM_400000_NS6detail17trampoline_kernelINS0_14default_configENS1_25partition_config_selectorILNS1_17partition_subalgoE9EllbEEZZNS1_14partition_implILS5_9ELb0ES3_jPKlN6thrust23THRUST_200600_302600_NS17counting_iteratorIlNSB_11use_defaultESD_SD_EEPNS0_10empty_typeENS0_5tupleIJPlSF_EEENSH_IJSI_SG_EEENS0_18inequality_wrapperIN6hipcub16HIPCUB_304000_NS8EqualityEEESI_JSF_EEE10hipError_tPvRmT3_T4_T5_T6_T7_T9_mT8_P12ihipStream_tbDpT10_ENKUlT_T0_E_clISt17integral_constantIbLb1EES19_EEDaS14_S15_EUlS14_E_NS1_11comp_targetILNS1_3genE8ELNS1_11target_archE1030ELNS1_3gpuE2ELNS1_3repE0EEENS1_30default_config_static_selectorELNS0_4arch9wavefront6targetE0EEEvT1_
                                        ; -- End function
	.set _ZN7rocprim17ROCPRIM_400000_NS6detail17trampoline_kernelINS0_14default_configENS1_25partition_config_selectorILNS1_17partition_subalgoE9EllbEEZZNS1_14partition_implILS5_9ELb0ES3_jPKlN6thrust23THRUST_200600_302600_NS17counting_iteratorIlNSB_11use_defaultESD_SD_EEPNS0_10empty_typeENS0_5tupleIJPlSF_EEENSH_IJSI_SG_EEENS0_18inequality_wrapperIN6hipcub16HIPCUB_304000_NS8EqualityEEESI_JSF_EEE10hipError_tPvRmT3_T4_T5_T6_T7_T9_mT8_P12ihipStream_tbDpT10_ENKUlT_T0_E_clISt17integral_constantIbLb1EES19_EEDaS14_S15_EUlS14_E_NS1_11comp_targetILNS1_3genE8ELNS1_11target_archE1030ELNS1_3gpuE2ELNS1_3repE0EEENS1_30default_config_static_selectorELNS0_4arch9wavefront6targetE0EEEvT1_.num_vgpr, 0
	.set _ZN7rocprim17ROCPRIM_400000_NS6detail17trampoline_kernelINS0_14default_configENS1_25partition_config_selectorILNS1_17partition_subalgoE9EllbEEZZNS1_14partition_implILS5_9ELb0ES3_jPKlN6thrust23THRUST_200600_302600_NS17counting_iteratorIlNSB_11use_defaultESD_SD_EEPNS0_10empty_typeENS0_5tupleIJPlSF_EEENSH_IJSI_SG_EEENS0_18inequality_wrapperIN6hipcub16HIPCUB_304000_NS8EqualityEEESI_JSF_EEE10hipError_tPvRmT3_T4_T5_T6_T7_T9_mT8_P12ihipStream_tbDpT10_ENKUlT_T0_E_clISt17integral_constantIbLb1EES19_EEDaS14_S15_EUlS14_E_NS1_11comp_targetILNS1_3genE8ELNS1_11target_archE1030ELNS1_3gpuE2ELNS1_3repE0EEENS1_30default_config_static_selectorELNS0_4arch9wavefront6targetE0EEEvT1_.num_agpr, 0
	.set _ZN7rocprim17ROCPRIM_400000_NS6detail17trampoline_kernelINS0_14default_configENS1_25partition_config_selectorILNS1_17partition_subalgoE9EllbEEZZNS1_14partition_implILS5_9ELb0ES3_jPKlN6thrust23THRUST_200600_302600_NS17counting_iteratorIlNSB_11use_defaultESD_SD_EEPNS0_10empty_typeENS0_5tupleIJPlSF_EEENSH_IJSI_SG_EEENS0_18inequality_wrapperIN6hipcub16HIPCUB_304000_NS8EqualityEEESI_JSF_EEE10hipError_tPvRmT3_T4_T5_T6_T7_T9_mT8_P12ihipStream_tbDpT10_ENKUlT_T0_E_clISt17integral_constantIbLb1EES19_EEDaS14_S15_EUlS14_E_NS1_11comp_targetILNS1_3genE8ELNS1_11target_archE1030ELNS1_3gpuE2ELNS1_3repE0EEENS1_30default_config_static_selectorELNS0_4arch9wavefront6targetE0EEEvT1_.numbered_sgpr, 0
	.set _ZN7rocprim17ROCPRIM_400000_NS6detail17trampoline_kernelINS0_14default_configENS1_25partition_config_selectorILNS1_17partition_subalgoE9EllbEEZZNS1_14partition_implILS5_9ELb0ES3_jPKlN6thrust23THRUST_200600_302600_NS17counting_iteratorIlNSB_11use_defaultESD_SD_EEPNS0_10empty_typeENS0_5tupleIJPlSF_EEENSH_IJSI_SG_EEENS0_18inequality_wrapperIN6hipcub16HIPCUB_304000_NS8EqualityEEESI_JSF_EEE10hipError_tPvRmT3_T4_T5_T6_T7_T9_mT8_P12ihipStream_tbDpT10_ENKUlT_T0_E_clISt17integral_constantIbLb1EES19_EEDaS14_S15_EUlS14_E_NS1_11comp_targetILNS1_3genE8ELNS1_11target_archE1030ELNS1_3gpuE2ELNS1_3repE0EEENS1_30default_config_static_selectorELNS0_4arch9wavefront6targetE0EEEvT1_.num_named_barrier, 0
	.set _ZN7rocprim17ROCPRIM_400000_NS6detail17trampoline_kernelINS0_14default_configENS1_25partition_config_selectorILNS1_17partition_subalgoE9EllbEEZZNS1_14partition_implILS5_9ELb0ES3_jPKlN6thrust23THRUST_200600_302600_NS17counting_iteratorIlNSB_11use_defaultESD_SD_EEPNS0_10empty_typeENS0_5tupleIJPlSF_EEENSH_IJSI_SG_EEENS0_18inequality_wrapperIN6hipcub16HIPCUB_304000_NS8EqualityEEESI_JSF_EEE10hipError_tPvRmT3_T4_T5_T6_T7_T9_mT8_P12ihipStream_tbDpT10_ENKUlT_T0_E_clISt17integral_constantIbLb1EES19_EEDaS14_S15_EUlS14_E_NS1_11comp_targetILNS1_3genE8ELNS1_11target_archE1030ELNS1_3gpuE2ELNS1_3repE0EEENS1_30default_config_static_selectorELNS0_4arch9wavefront6targetE0EEEvT1_.private_seg_size, 0
	.set _ZN7rocprim17ROCPRIM_400000_NS6detail17trampoline_kernelINS0_14default_configENS1_25partition_config_selectorILNS1_17partition_subalgoE9EllbEEZZNS1_14partition_implILS5_9ELb0ES3_jPKlN6thrust23THRUST_200600_302600_NS17counting_iteratorIlNSB_11use_defaultESD_SD_EEPNS0_10empty_typeENS0_5tupleIJPlSF_EEENSH_IJSI_SG_EEENS0_18inequality_wrapperIN6hipcub16HIPCUB_304000_NS8EqualityEEESI_JSF_EEE10hipError_tPvRmT3_T4_T5_T6_T7_T9_mT8_P12ihipStream_tbDpT10_ENKUlT_T0_E_clISt17integral_constantIbLb1EES19_EEDaS14_S15_EUlS14_E_NS1_11comp_targetILNS1_3genE8ELNS1_11target_archE1030ELNS1_3gpuE2ELNS1_3repE0EEENS1_30default_config_static_selectorELNS0_4arch9wavefront6targetE0EEEvT1_.uses_vcc, 0
	.set _ZN7rocprim17ROCPRIM_400000_NS6detail17trampoline_kernelINS0_14default_configENS1_25partition_config_selectorILNS1_17partition_subalgoE9EllbEEZZNS1_14partition_implILS5_9ELb0ES3_jPKlN6thrust23THRUST_200600_302600_NS17counting_iteratorIlNSB_11use_defaultESD_SD_EEPNS0_10empty_typeENS0_5tupleIJPlSF_EEENSH_IJSI_SG_EEENS0_18inequality_wrapperIN6hipcub16HIPCUB_304000_NS8EqualityEEESI_JSF_EEE10hipError_tPvRmT3_T4_T5_T6_T7_T9_mT8_P12ihipStream_tbDpT10_ENKUlT_T0_E_clISt17integral_constantIbLb1EES19_EEDaS14_S15_EUlS14_E_NS1_11comp_targetILNS1_3genE8ELNS1_11target_archE1030ELNS1_3gpuE2ELNS1_3repE0EEENS1_30default_config_static_selectorELNS0_4arch9wavefront6targetE0EEEvT1_.uses_flat_scratch, 0
	.set _ZN7rocprim17ROCPRIM_400000_NS6detail17trampoline_kernelINS0_14default_configENS1_25partition_config_selectorILNS1_17partition_subalgoE9EllbEEZZNS1_14partition_implILS5_9ELb0ES3_jPKlN6thrust23THRUST_200600_302600_NS17counting_iteratorIlNSB_11use_defaultESD_SD_EEPNS0_10empty_typeENS0_5tupleIJPlSF_EEENSH_IJSI_SG_EEENS0_18inequality_wrapperIN6hipcub16HIPCUB_304000_NS8EqualityEEESI_JSF_EEE10hipError_tPvRmT3_T4_T5_T6_T7_T9_mT8_P12ihipStream_tbDpT10_ENKUlT_T0_E_clISt17integral_constantIbLb1EES19_EEDaS14_S15_EUlS14_E_NS1_11comp_targetILNS1_3genE8ELNS1_11target_archE1030ELNS1_3gpuE2ELNS1_3repE0EEENS1_30default_config_static_selectorELNS0_4arch9wavefront6targetE0EEEvT1_.has_dyn_sized_stack, 0
	.set _ZN7rocprim17ROCPRIM_400000_NS6detail17trampoline_kernelINS0_14default_configENS1_25partition_config_selectorILNS1_17partition_subalgoE9EllbEEZZNS1_14partition_implILS5_9ELb0ES3_jPKlN6thrust23THRUST_200600_302600_NS17counting_iteratorIlNSB_11use_defaultESD_SD_EEPNS0_10empty_typeENS0_5tupleIJPlSF_EEENSH_IJSI_SG_EEENS0_18inequality_wrapperIN6hipcub16HIPCUB_304000_NS8EqualityEEESI_JSF_EEE10hipError_tPvRmT3_T4_T5_T6_T7_T9_mT8_P12ihipStream_tbDpT10_ENKUlT_T0_E_clISt17integral_constantIbLb1EES19_EEDaS14_S15_EUlS14_E_NS1_11comp_targetILNS1_3genE8ELNS1_11target_archE1030ELNS1_3gpuE2ELNS1_3repE0EEENS1_30default_config_static_selectorELNS0_4arch9wavefront6targetE0EEEvT1_.has_recursion, 0
	.set _ZN7rocprim17ROCPRIM_400000_NS6detail17trampoline_kernelINS0_14default_configENS1_25partition_config_selectorILNS1_17partition_subalgoE9EllbEEZZNS1_14partition_implILS5_9ELb0ES3_jPKlN6thrust23THRUST_200600_302600_NS17counting_iteratorIlNSB_11use_defaultESD_SD_EEPNS0_10empty_typeENS0_5tupleIJPlSF_EEENSH_IJSI_SG_EEENS0_18inequality_wrapperIN6hipcub16HIPCUB_304000_NS8EqualityEEESI_JSF_EEE10hipError_tPvRmT3_T4_T5_T6_T7_T9_mT8_P12ihipStream_tbDpT10_ENKUlT_T0_E_clISt17integral_constantIbLb1EES19_EEDaS14_S15_EUlS14_E_NS1_11comp_targetILNS1_3genE8ELNS1_11target_archE1030ELNS1_3gpuE2ELNS1_3repE0EEENS1_30default_config_static_selectorELNS0_4arch9wavefront6targetE0EEEvT1_.has_indirect_call, 0
	.section	.AMDGPU.csdata,"",@progbits
; Kernel info:
; codeLenInByte = 0
; TotalNumSgprs: 0
; NumVgprs: 0
; ScratchSize: 0
; MemoryBound: 0
; FloatMode: 240
; IeeeMode: 1
; LDSByteSize: 0 bytes/workgroup (compile time only)
; SGPRBlocks: 0
; VGPRBlocks: 0
; NumSGPRsForWavesPerEU: 1
; NumVGPRsForWavesPerEU: 1
; NamedBarCnt: 0
; Occupancy: 16
; WaveLimiterHint : 0
; COMPUTE_PGM_RSRC2:SCRATCH_EN: 0
; COMPUTE_PGM_RSRC2:USER_SGPR: 2
; COMPUTE_PGM_RSRC2:TRAP_HANDLER: 0
; COMPUTE_PGM_RSRC2:TGID_X_EN: 1
; COMPUTE_PGM_RSRC2:TGID_Y_EN: 0
; COMPUTE_PGM_RSRC2:TGID_Z_EN: 0
; COMPUTE_PGM_RSRC2:TIDIG_COMP_CNT: 0
	.section	.text._ZN7rocprim17ROCPRIM_400000_NS6detail17trampoline_kernelINS0_14default_configENS1_25partition_config_selectorILNS1_17partition_subalgoE9EllbEEZZNS1_14partition_implILS5_9ELb0ES3_jPKlN6thrust23THRUST_200600_302600_NS17counting_iteratorIlNSB_11use_defaultESD_SD_EEPNS0_10empty_typeENS0_5tupleIJPlSF_EEENSH_IJSI_SG_EEENS0_18inequality_wrapperIN6hipcub16HIPCUB_304000_NS8EqualityEEESI_JSF_EEE10hipError_tPvRmT3_T4_T5_T6_T7_T9_mT8_P12ihipStream_tbDpT10_ENKUlT_T0_E_clISt17integral_constantIbLb1EES18_IbLb0EEEEDaS14_S15_EUlS14_E_NS1_11comp_targetILNS1_3genE0ELNS1_11target_archE4294967295ELNS1_3gpuE0ELNS1_3repE0EEENS1_30default_config_static_selectorELNS0_4arch9wavefront6targetE0EEEvT1_,"axG",@progbits,_ZN7rocprim17ROCPRIM_400000_NS6detail17trampoline_kernelINS0_14default_configENS1_25partition_config_selectorILNS1_17partition_subalgoE9EllbEEZZNS1_14partition_implILS5_9ELb0ES3_jPKlN6thrust23THRUST_200600_302600_NS17counting_iteratorIlNSB_11use_defaultESD_SD_EEPNS0_10empty_typeENS0_5tupleIJPlSF_EEENSH_IJSI_SG_EEENS0_18inequality_wrapperIN6hipcub16HIPCUB_304000_NS8EqualityEEESI_JSF_EEE10hipError_tPvRmT3_T4_T5_T6_T7_T9_mT8_P12ihipStream_tbDpT10_ENKUlT_T0_E_clISt17integral_constantIbLb1EES18_IbLb0EEEEDaS14_S15_EUlS14_E_NS1_11comp_targetILNS1_3genE0ELNS1_11target_archE4294967295ELNS1_3gpuE0ELNS1_3repE0EEENS1_30default_config_static_selectorELNS0_4arch9wavefront6targetE0EEEvT1_,comdat
	.protected	_ZN7rocprim17ROCPRIM_400000_NS6detail17trampoline_kernelINS0_14default_configENS1_25partition_config_selectorILNS1_17partition_subalgoE9EllbEEZZNS1_14partition_implILS5_9ELb0ES3_jPKlN6thrust23THRUST_200600_302600_NS17counting_iteratorIlNSB_11use_defaultESD_SD_EEPNS0_10empty_typeENS0_5tupleIJPlSF_EEENSH_IJSI_SG_EEENS0_18inequality_wrapperIN6hipcub16HIPCUB_304000_NS8EqualityEEESI_JSF_EEE10hipError_tPvRmT3_T4_T5_T6_T7_T9_mT8_P12ihipStream_tbDpT10_ENKUlT_T0_E_clISt17integral_constantIbLb1EES18_IbLb0EEEEDaS14_S15_EUlS14_E_NS1_11comp_targetILNS1_3genE0ELNS1_11target_archE4294967295ELNS1_3gpuE0ELNS1_3repE0EEENS1_30default_config_static_selectorELNS0_4arch9wavefront6targetE0EEEvT1_ ; -- Begin function _ZN7rocprim17ROCPRIM_400000_NS6detail17trampoline_kernelINS0_14default_configENS1_25partition_config_selectorILNS1_17partition_subalgoE9EllbEEZZNS1_14partition_implILS5_9ELb0ES3_jPKlN6thrust23THRUST_200600_302600_NS17counting_iteratorIlNSB_11use_defaultESD_SD_EEPNS0_10empty_typeENS0_5tupleIJPlSF_EEENSH_IJSI_SG_EEENS0_18inequality_wrapperIN6hipcub16HIPCUB_304000_NS8EqualityEEESI_JSF_EEE10hipError_tPvRmT3_T4_T5_T6_T7_T9_mT8_P12ihipStream_tbDpT10_ENKUlT_T0_E_clISt17integral_constantIbLb1EES18_IbLb0EEEEDaS14_S15_EUlS14_E_NS1_11comp_targetILNS1_3genE0ELNS1_11target_archE4294967295ELNS1_3gpuE0ELNS1_3repE0EEENS1_30default_config_static_selectorELNS0_4arch9wavefront6targetE0EEEvT1_
	.globl	_ZN7rocprim17ROCPRIM_400000_NS6detail17trampoline_kernelINS0_14default_configENS1_25partition_config_selectorILNS1_17partition_subalgoE9EllbEEZZNS1_14partition_implILS5_9ELb0ES3_jPKlN6thrust23THRUST_200600_302600_NS17counting_iteratorIlNSB_11use_defaultESD_SD_EEPNS0_10empty_typeENS0_5tupleIJPlSF_EEENSH_IJSI_SG_EEENS0_18inequality_wrapperIN6hipcub16HIPCUB_304000_NS8EqualityEEESI_JSF_EEE10hipError_tPvRmT3_T4_T5_T6_T7_T9_mT8_P12ihipStream_tbDpT10_ENKUlT_T0_E_clISt17integral_constantIbLb1EES18_IbLb0EEEEDaS14_S15_EUlS14_E_NS1_11comp_targetILNS1_3genE0ELNS1_11target_archE4294967295ELNS1_3gpuE0ELNS1_3repE0EEENS1_30default_config_static_selectorELNS0_4arch9wavefront6targetE0EEEvT1_
	.p2align	8
	.type	_ZN7rocprim17ROCPRIM_400000_NS6detail17trampoline_kernelINS0_14default_configENS1_25partition_config_selectorILNS1_17partition_subalgoE9EllbEEZZNS1_14partition_implILS5_9ELb0ES3_jPKlN6thrust23THRUST_200600_302600_NS17counting_iteratorIlNSB_11use_defaultESD_SD_EEPNS0_10empty_typeENS0_5tupleIJPlSF_EEENSH_IJSI_SG_EEENS0_18inequality_wrapperIN6hipcub16HIPCUB_304000_NS8EqualityEEESI_JSF_EEE10hipError_tPvRmT3_T4_T5_T6_T7_T9_mT8_P12ihipStream_tbDpT10_ENKUlT_T0_E_clISt17integral_constantIbLb1EES18_IbLb0EEEEDaS14_S15_EUlS14_E_NS1_11comp_targetILNS1_3genE0ELNS1_11target_archE4294967295ELNS1_3gpuE0ELNS1_3repE0EEENS1_30default_config_static_selectorELNS0_4arch9wavefront6targetE0EEEvT1_,@function
_ZN7rocprim17ROCPRIM_400000_NS6detail17trampoline_kernelINS0_14default_configENS1_25partition_config_selectorILNS1_17partition_subalgoE9EllbEEZZNS1_14partition_implILS5_9ELb0ES3_jPKlN6thrust23THRUST_200600_302600_NS17counting_iteratorIlNSB_11use_defaultESD_SD_EEPNS0_10empty_typeENS0_5tupleIJPlSF_EEENSH_IJSI_SG_EEENS0_18inequality_wrapperIN6hipcub16HIPCUB_304000_NS8EqualityEEESI_JSF_EEE10hipError_tPvRmT3_T4_T5_T6_T7_T9_mT8_P12ihipStream_tbDpT10_ENKUlT_T0_E_clISt17integral_constantIbLb1EES18_IbLb0EEEEDaS14_S15_EUlS14_E_NS1_11comp_targetILNS1_3genE0ELNS1_11target_archE4294967295ELNS1_3gpuE0ELNS1_3repE0EEENS1_30default_config_static_selectorELNS0_4arch9wavefront6targetE0EEEvT1_: ; @_ZN7rocprim17ROCPRIM_400000_NS6detail17trampoline_kernelINS0_14default_configENS1_25partition_config_selectorILNS1_17partition_subalgoE9EllbEEZZNS1_14partition_implILS5_9ELb0ES3_jPKlN6thrust23THRUST_200600_302600_NS17counting_iteratorIlNSB_11use_defaultESD_SD_EEPNS0_10empty_typeENS0_5tupleIJPlSF_EEENSH_IJSI_SG_EEENS0_18inequality_wrapperIN6hipcub16HIPCUB_304000_NS8EqualityEEESI_JSF_EEE10hipError_tPvRmT3_T4_T5_T6_T7_T9_mT8_P12ihipStream_tbDpT10_ENKUlT_T0_E_clISt17integral_constantIbLb1EES18_IbLb0EEEEDaS14_S15_EUlS14_E_NS1_11comp_targetILNS1_3genE0ELNS1_11target_archE4294967295ELNS1_3gpuE0ELNS1_3repE0EEENS1_30default_config_static_selectorELNS0_4arch9wavefront6targetE0EEEvT1_
; %bb.0:
	s_endpgm
	.section	.rodata,"a",@progbits
	.p2align	6, 0x0
	.amdhsa_kernel _ZN7rocprim17ROCPRIM_400000_NS6detail17trampoline_kernelINS0_14default_configENS1_25partition_config_selectorILNS1_17partition_subalgoE9EllbEEZZNS1_14partition_implILS5_9ELb0ES3_jPKlN6thrust23THRUST_200600_302600_NS17counting_iteratorIlNSB_11use_defaultESD_SD_EEPNS0_10empty_typeENS0_5tupleIJPlSF_EEENSH_IJSI_SG_EEENS0_18inequality_wrapperIN6hipcub16HIPCUB_304000_NS8EqualityEEESI_JSF_EEE10hipError_tPvRmT3_T4_T5_T6_T7_T9_mT8_P12ihipStream_tbDpT10_ENKUlT_T0_E_clISt17integral_constantIbLb1EES18_IbLb0EEEEDaS14_S15_EUlS14_E_NS1_11comp_targetILNS1_3genE0ELNS1_11target_archE4294967295ELNS1_3gpuE0ELNS1_3repE0EEENS1_30default_config_static_selectorELNS0_4arch9wavefront6targetE0EEEvT1_
		.amdhsa_group_segment_fixed_size 0
		.amdhsa_private_segment_fixed_size 0
		.amdhsa_kernarg_size 112
		.amdhsa_user_sgpr_count 2
		.amdhsa_user_sgpr_dispatch_ptr 0
		.amdhsa_user_sgpr_queue_ptr 0
		.amdhsa_user_sgpr_kernarg_segment_ptr 1
		.amdhsa_user_sgpr_dispatch_id 0
		.amdhsa_user_sgpr_kernarg_preload_length 0
		.amdhsa_user_sgpr_kernarg_preload_offset 0
		.amdhsa_user_sgpr_private_segment_size 0
		.amdhsa_wavefront_size32 1
		.amdhsa_uses_dynamic_stack 0
		.amdhsa_enable_private_segment 0
		.amdhsa_system_sgpr_workgroup_id_x 1
		.amdhsa_system_sgpr_workgroup_id_y 0
		.amdhsa_system_sgpr_workgroup_id_z 0
		.amdhsa_system_sgpr_workgroup_info 0
		.amdhsa_system_vgpr_workitem_id 0
		.amdhsa_next_free_vgpr 1
		.amdhsa_next_free_sgpr 1
		.amdhsa_named_barrier_count 0
		.amdhsa_reserve_vcc 0
		.amdhsa_float_round_mode_32 0
		.amdhsa_float_round_mode_16_64 0
		.amdhsa_float_denorm_mode_32 3
		.amdhsa_float_denorm_mode_16_64 3
		.amdhsa_fp16_overflow 0
		.amdhsa_memory_ordered 1
		.amdhsa_forward_progress 1
		.amdhsa_inst_pref_size 1
		.amdhsa_round_robin_scheduling 0
		.amdhsa_exception_fp_ieee_invalid_op 0
		.amdhsa_exception_fp_denorm_src 0
		.amdhsa_exception_fp_ieee_div_zero 0
		.amdhsa_exception_fp_ieee_overflow 0
		.amdhsa_exception_fp_ieee_underflow 0
		.amdhsa_exception_fp_ieee_inexact 0
		.amdhsa_exception_int_div_zero 0
	.end_amdhsa_kernel
	.section	.text._ZN7rocprim17ROCPRIM_400000_NS6detail17trampoline_kernelINS0_14default_configENS1_25partition_config_selectorILNS1_17partition_subalgoE9EllbEEZZNS1_14partition_implILS5_9ELb0ES3_jPKlN6thrust23THRUST_200600_302600_NS17counting_iteratorIlNSB_11use_defaultESD_SD_EEPNS0_10empty_typeENS0_5tupleIJPlSF_EEENSH_IJSI_SG_EEENS0_18inequality_wrapperIN6hipcub16HIPCUB_304000_NS8EqualityEEESI_JSF_EEE10hipError_tPvRmT3_T4_T5_T6_T7_T9_mT8_P12ihipStream_tbDpT10_ENKUlT_T0_E_clISt17integral_constantIbLb1EES18_IbLb0EEEEDaS14_S15_EUlS14_E_NS1_11comp_targetILNS1_3genE0ELNS1_11target_archE4294967295ELNS1_3gpuE0ELNS1_3repE0EEENS1_30default_config_static_selectorELNS0_4arch9wavefront6targetE0EEEvT1_,"axG",@progbits,_ZN7rocprim17ROCPRIM_400000_NS6detail17trampoline_kernelINS0_14default_configENS1_25partition_config_selectorILNS1_17partition_subalgoE9EllbEEZZNS1_14partition_implILS5_9ELb0ES3_jPKlN6thrust23THRUST_200600_302600_NS17counting_iteratorIlNSB_11use_defaultESD_SD_EEPNS0_10empty_typeENS0_5tupleIJPlSF_EEENSH_IJSI_SG_EEENS0_18inequality_wrapperIN6hipcub16HIPCUB_304000_NS8EqualityEEESI_JSF_EEE10hipError_tPvRmT3_T4_T5_T6_T7_T9_mT8_P12ihipStream_tbDpT10_ENKUlT_T0_E_clISt17integral_constantIbLb1EES18_IbLb0EEEEDaS14_S15_EUlS14_E_NS1_11comp_targetILNS1_3genE0ELNS1_11target_archE4294967295ELNS1_3gpuE0ELNS1_3repE0EEENS1_30default_config_static_selectorELNS0_4arch9wavefront6targetE0EEEvT1_,comdat
.Lfunc_end60:
	.size	_ZN7rocprim17ROCPRIM_400000_NS6detail17trampoline_kernelINS0_14default_configENS1_25partition_config_selectorILNS1_17partition_subalgoE9EllbEEZZNS1_14partition_implILS5_9ELb0ES3_jPKlN6thrust23THRUST_200600_302600_NS17counting_iteratorIlNSB_11use_defaultESD_SD_EEPNS0_10empty_typeENS0_5tupleIJPlSF_EEENSH_IJSI_SG_EEENS0_18inequality_wrapperIN6hipcub16HIPCUB_304000_NS8EqualityEEESI_JSF_EEE10hipError_tPvRmT3_T4_T5_T6_T7_T9_mT8_P12ihipStream_tbDpT10_ENKUlT_T0_E_clISt17integral_constantIbLb1EES18_IbLb0EEEEDaS14_S15_EUlS14_E_NS1_11comp_targetILNS1_3genE0ELNS1_11target_archE4294967295ELNS1_3gpuE0ELNS1_3repE0EEENS1_30default_config_static_selectorELNS0_4arch9wavefront6targetE0EEEvT1_, .Lfunc_end60-_ZN7rocprim17ROCPRIM_400000_NS6detail17trampoline_kernelINS0_14default_configENS1_25partition_config_selectorILNS1_17partition_subalgoE9EllbEEZZNS1_14partition_implILS5_9ELb0ES3_jPKlN6thrust23THRUST_200600_302600_NS17counting_iteratorIlNSB_11use_defaultESD_SD_EEPNS0_10empty_typeENS0_5tupleIJPlSF_EEENSH_IJSI_SG_EEENS0_18inequality_wrapperIN6hipcub16HIPCUB_304000_NS8EqualityEEESI_JSF_EEE10hipError_tPvRmT3_T4_T5_T6_T7_T9_mT8_P12ihipStream_tbDpT10_ENKUlT_T0_E_clISt17integral_constantIbLb1EES18_IbLb0EEEEDaS14_S15_EUlS14_E_NS1_11comp_targetILNS1_3genE0ELNS1_11target_archE4294967295ELNS1_3gpuE0ELNS1_3repE0EEENS1_30default_config_static_selectorELNS0_4arch9wavefront6targetE0EEEvT1_
                                        ; -- End function
	.set _ZN7rocprim17ROCPRIM_400000_NS6detail17trampoline_kernelINS0_14default_configENS1_25partition_config_selectorILNS1_17partition_subalgoE9EllbEEZZNS1_14partition_implILS5_9ELb0ES3_jPKlN6thrust23THRUST_200600_302600_NS17counting_iteratorIlNSB_11use_defaultESD_SD_EEPNS0_10empty_typeENS0_5tupleIJPlSF_EEENSH_IJSI_SG_EEENS0_18inequality_wrapperIN6hipcub16HIPCUB_304000_NS8EqualityEEESI_JSF_EEE10hipError_tPvRmT3_T4_T5_T6_T7_T9_mT8_P12ihipStream_tbDpT10_ENKUlT_T0_E_clISt17integral_constantIbLb1EES18_IbLb0EEEEDaS14_S15_EUlS14_E_NS1_11comp_targetILNS1_3genE0ELNS1_11target_archE4294967295ELNS1_3gpuE0ELNS1_3repE0EEENS1_30default_config_static_selectorELNS0_4arch9wavefront6targetE0EEEvT1_.num_vgpr, 0
	.set _ZN7rocprim17ROCPRIM_400000_NS6detail17trampoline_kernelINS0_14default_configENS1_25partition_config_selectorILNS1_17partition_subalgoE9EllbEEZZNS1_14partition_implILS5_9ELb0ES3_jPKlN6thrust23THRUST_200600_302600_NS17counting_iteratorIlNSB_11use_defaultESD_SD_EEPNS0_10empty_typeENS0_5tupleIJPlSF_EEENSH_IJSI_SG_EEENS0_18inequality_wrapperIN6hipcub16HIPCUB_304000_NS8EqualityEEESI_JSF_EEE10hipError_tPvRmT3_T4_T5_T6_T7_T9_mT8_P12ihipStream_tbDpT10_ENKUlT_T0_E_clISt17integral_constantIbLb1EES18_IbLb0EEEEDaS14_S15_EUlS14_E_NS1_11comp_targetILNS1_3genE0ELNS1_11target_archE4294967295ELNS1_3gpuE0ELNS1_3repE0EEENS1_30default_config_static_selectorELNS0_4arch9wavefront6targetE0EEEvT1_.num_agpr, 0
	.set _ZN7rocprim17ROCPRIM_400000_NS6detail17trampoline_kernelINS0_14default_configENS1_25partition_config_selectorILNS1_17partition_subalgoE9EllbEEZZNS1_14partition_implILS5_9ELb0ES3_jPKlN6thrust23THRUST_200600_302600_NS17counting_iteratorIlNSB_11use_defaultESD_SD_EEPNS0_10empty_typeENS0_5tupleIJPlSF_EEENSH_IJSI_SG_EEENS0_18inequality_wrapperIN6hipcub16HIPCUB_304000_NS8EqualityEEESI_JSF_EEE10hipError_tPvRmT3_T4_T5_T6_T7_T9_mT8_P12ihipStream_tbDpT10_ENKUlT_T0_E_clISt17integral_constantIbLb1EES18_IbLb0EEEEDaS14_S15_EUlS14_E_NS1_11comp_targetILNS1_3genE0ELNS1_11target_archE4294967295ELNS1_3gpuE0ELNS1_3repE0EEENS1_30default_config_static_selectorELNS0_4arch9wavefront6targetE0EEEvT1_.numbered_sgpr, 0
	.set _ZN7rocprim17ROCPRIM_400000_NS6detail17trampoline_kernelINS0_14default_configENS1_25partition_config_selectorILNS1_17partition_subalgoE9EllbEEZZNS1_14partition_implILS5_9ELb0ES3_jPKlN6thrust23THRUST_200600_302600_NS17counting_iteratorIlNSB_11use_defaultESD_SD_EEPNS0_10empty_typeENS0_5tupleIJPlSF_EEENSH_IJSI_SG_EEENS0_18inequality_wrapperIN6hipcub16HIPCUB_304000_NS8EqualityEEESI_JSF_EEE10hipError_tPvRmT3_T4_T5_T6_T7_T9_mT8_P12ihipStream_tbDpT10_ENKUlT_T0_E_clISt17integral_constantIbLb1EES18_IbLb0EEEEDaS14_S15_EUlS14_E_NS1_11comp_targetILNS1_3genE0ELNS1_11target_archE4294967295ELNS1_3gpuE0ELNS1_3repE0EEENS1_30default_config_static_selectorELNS0_4arch9wavefront6targetE0EEEvT1_.num_named_barrier, 0
	.set _ZN7rocprim17ROCPRIM_400000_NS6detail17trampoline_kernelINS0_14default_configENS1_25partition_config_selectorILNS1_17partition_subalgoE9EllbEEZZNS1_14partition_implILS5_9ELb0ES3_jPKlN6thrust23THRUST_200600_302600_NS17counting_iteratorIlNSB_11use_defaultESD_SD_EEPNS0_10empty_typeENS0_5tupleIJPlSF_EEENSH_IJSI_SG_EEENS0_18inequality_wrapperIN6hipcub16HIPCUB_304000_NS8EqualityEEESI_JSF_EEE10hipError_tPvRmT3_T4_T5_T6_T7_T9_mT8_P12ihipStream_tbDpT10_ENKUlT_T0_E_clISt17integral_constantIbLb1EES18_IbLb0EEEEDaS14_S15_EUlS14_E_NS1_11comp_targetILNS1_3genE0ELNS1_11target_archE4294967295ELNS1_3gpuE0ELNS1_3repE0EEENS1_30default_config_static_selectorELNS0_4arch9wavefront6targetE0EEEvT1_.private_seg_size, 0
	.set _ZN7rocprim17ROCPRIM_400000_NS6detail17trampoline_kernelINS0_14default_configENS1_25partition_config_selectorILNS1_17partition_subalgoE9EllbEEZZNS1_14partition_implILS5_9ELb0ES3_jPKlN6thrust23THRUST_200600_302600_NS17counting_iteratorIlNSB_11use_defaultESD_SD_EEPNS0_10empty_typeENS0_5tupleIJPlSF_EEENSH_IJSI_SG_EEENS0_18inequality_wrapperIN6hipcub16HIPCUB_304000_NS8EqualityEEESI_JSF_EEE10hipError_tPvRmT3_T4_T5_T6_T7_T9_mT8_P12ihipStream_tbDpT10_ENKUlT_T0_E_clISt17integral_constantIbLb1EES18_IbLb0EEEEDaS14_S15_EUlS14_E_NS1_11comp_targetILNS1_3genE0ELNS1_11target_archE4294967295ELNS1_3gpuE0ELNS1_3repE0EEENS1_30default_config_static_selectorELNS0_4arch9wavefront6targetE0EEEvT1_.uses_vcc, 0
	.set _ZN7rocprim17ROCPRIM_400000_NS6detail17trampoline_kernelINS0_14default_configENS1_25partition_config_selectorILNS1_17partition_subalgoE9EllbEEZZNS1_14partition_implILS5_9ELb0ES3_jPKlN6thrust23THRUST_200600_302600_NS17counting_iteratorIlNSB_11use_defaultESD_SD_EEPNS0_10empty_typeENS0_5tupleIJPlSF_EEENSH_IJSI_SG_EEENS0_18inequality_wrapperIN6hipcub16HIPCUB_304000_NS8EqualityEEESI_JSF_EEE10hipError_tPvRmT3_T4_T5_T6_T7_T9_mT8_P12ihipStream_tbDpT10_ENKUlT_T0_E_clISt17integral_constantIbLb1EES18_IbLb0EEEEDaS14_S15_EUlS14_E_NS1_11comp_targetILNS1_3genE0ELNS1_11target_archE4294967295ELNS1_3gpuE0ELNS1_3repE0EEENS1_30default_config_static_selectorELNS0_4arch9wavefront6targetE0EEEvT1_.uses_flat_scratch, 0
	.set _ZN7rocprim17ROCPRIM_400000_NS6detail17trampoline_kernelINS0_14default_configENS1_25partition_config_selectorILNS1_17partition_subalgoE9EllbEEZZNS1_14partition_implILS5_9ELb0ES3_jPKlN6thrust23THRUST_200600_302600_NS17counting_iteratorIlNSB_11use_defaultESD_SD_EEPNS0_10empty_typeENS0_5tupleIJPlSF_EEENSH_IJSI_SG_EEENS0_18inequality_wrapperIN6hipcub16HIPCUB_304000_NS8EqualityEEESI_JSF_EEE10hipError_tPvRmT3_T4_T5_T6_T7_T9_mT8_P12ihipStream_tbDpT10_ENKUlT_T0_E_clISt17integral_constantIbLb1EES18_IbLb0EEEEDaS14_S15_EUlS14_E_NS1_11comp_targetILNS1_3genE0ELNS1_11target_archE4294967295ELNS1_3gpuE0ELNS1_3repE0EEENS1_30default_config_static_selectorELNS0_4arch9wavefront6targetE0EEEvT1_.has_dyn_sized_stack, 0
	.set _ZN7rocprim17ROCPRIM_400000_NS6detail17trampoline_kernelINS0_14default_configENS1_25partition_config_selectorILNS1_17partition_subalgoE9EllbEEZZNS1_14partition_implILS5_9ELb0ES3_jPKlN6thrust23THRUST_200600_302600_NS17counting_iteratorIlNSB_11use_defaultESD_SD_EEPNS0_10empty_typeENS0_5tupleIJPlSF_EEENSH_IJSI_SG_EEENS0_18inequality_wrapperIN6hipcub16HIPCUB_304000_NS8EqualityEEESI_JSF_EEE10hipError_tPvRmT3_T4_T5_T6_T7_T9_mT8_P12ihipStream_tbDpT10_ENKUlT_T0_E_clISt17integral_constantIbLb1EES18_IbLb0EEEEDaS14_S15_EUlS14_E_NS1_11comp_targetILNS1_3genE0ELNS1_11target_archE4294967295ELNS1_3gpuE0ELNS1_3repE0EEENS1_30default_config_static_selectorELNS0_4arch9wavefront6targetE0EEEvT1_.has_recursion, 0
	.set _ZN7rocprim17ROCPRIM_400000_NS6detail17trampoline_kernelINS0_14default_configENS1_25partition_config_selectorILNS1_17partition_subalgoE9EllbEEZZNS1_14partition_implILS5_9ELb0ES3_jPKlN6thrust23THRUST_200600_302600_NS17counting_iteratorIlNSB_11use_defaultESD_SD_EEPNS0_10empty_typeENS0_5tupleIJPlSF_EEENSH_IJSI_SG_EEENS0_18inequality_wrapperIN6hipcub16HIPCUB_304000_NS8EqualityEEESI_JSF_EEE10hipError_tPvRmT3_T4_T5_T6_T7_T9_mT8_P12ihipStream_tbDpT10_ENKUlT_T0_E_clISt17integral_constantIbLb1EES18_IbLb0EEEEDaS14_S15_EUlS14_E_NS1_11comp_targetILNS1_3genE0ELNS1_11target_archE4294967295ELNS1_3gpuE0ELNS1_3repE0EEENS1_30default_config_static_selectorELNS0_4arch9wavefront6targetE0EEEvT1_.has_indirect_call, 0
	.section	.AMDGPU.csdata,"",@progbits
; Kernel info:
; codeLenInByte = 4
; TotalNumSgprs: 0
; NumVgprs: 0
; ScratchSize: 0
; MemoryBound: 0
; FloatMode: 240
; IeeeMode: 1
; LDSByteSize: 0 bytes/workgroup (compile time only)
; SGPRBlocks: 0
; VGPRBlocks: 0
; NumSGPRsForWavesPerEU: 1
; NumVGPRsForWavesPerEU: 1
; NamedBarCnt: 0
; Occupancy: 16
; WaveLimiterHint : 0
; COMPUTE_PGM_RSRC2:SCRATCH_EN: 0
; COMPUTE_PGM_RSRC2:USER_SGPR: 2
; COMPUTE_PGM_RSRC2:TRAP_HANDLER: 0
; COMPUTE_PGM_RSRC2:TGID_X_EN: 1
; COMPUTE_PGM_RSRC2:TGID_Y_EN: 0
; COMPUTE_PGM_RSRC2:TGID_Z_EN: 0
; COMPUTE_PGM_RSRC2:TIDIG_COMP_CNT: 0
	.section	.text._ZN7rocprim17ROCPRIM_400000_NS6detail17trampoline_kernelINS0_14default_configENS1_25partition_config_selectorILNS1_17partition_subalgoE9EllbEEZZNS1_14partition_implILS5_9ELb0ES3_jPKlN6thrust23THRUST_200600_302600_NS17counting_iteratorIlNSB_11use_defaultESD_SD_EEPNS0_10empty_typeENS0_5tupleIJPlSF_EEENSH_IJSI_SG_EEENS0_18inequality_wrapperIN6hipcub16HIPCUB_304000_NS8EqualityEEESI_JSF_EEE10hipError_tPvRmT3_T4_T5_T6_T7_T9_mT8_P12ihipStream_tbDpT10_ENKUlT_T0_E_clISt17integral_constantIbLb1EES18_IbLb0EEEEDaS14_S15_EUlS14_E_NS1_11comp_targetILNS1_3genE5ELNS1_11target_archE942ELNS1_3gpuE9ELNS1_3repE0EEENS1_30default_config_static_selectorELNS0_4arch9wavefront6targetE0EEEvT1_,"axG",@progbits,_ZN7rocprim17ROCPRIM_400000_NS6detail17trampoline_kernelINS0_14default_configENS1_25partition_config_selectorILNS1_17partition_subalgoE9EllbEEZZNS1_14partition_implILS5_9ELb0ES3_jPKlN6thrust23THRUST_200600_302600_NS17counting_iteratorIlNSB_11use_defaultESD_SD_EEPNS0_10empty_typeENS0_5tupleIJPlSF_EEENSH_IJSI_SG_EEENS0_18inequality_wrapperIN6hipcub16HIPCUB_304000_NS8EqualityEEESI_JSF_EEE10hipError_tPvRmT3_T4_T5_T6_T7_T9_mT8_P12ihipStream_tbDpT10_ENKUlT_T0_E_clISt17integral_constantIbLb1EES18_IbLb0EEEEDaS14_S15_EUlS14_E_NS1_11comp_targetILNS1_3genE5ELNS1_11target_archE942ELNS1_3gpuE9ELNS1_3repE0EEENS1_30default_config_static_selectorELNS0_4arch9wavefront6targetE0EEEvT1_,comdat
	.protected	_ZN7rocprim17ROCPRIM_400000_NS6detail17trampoline_kernelINS0_14default_configENS1_25partition_config_selectorILNS1_17partition_subalgoE9EllbEEZZNS1_14partition_implILS5_9ELb0ES3_jPKlN6thrust23THRUST_200600_302600_NS17counting_iteratorIlNSB_11use_defaultESD_SD_EEPNS0_10empty_typeENS0_5tupleIJPlSF_EEENSH_IJSI_SG_EEENS0_18inequality_wrapperIN6hipcub16HIPCUB_304000_NS8EqualityEEESI_JSF_EEE10hipError_tPvRmT3_T4_T5_T6_T7_T9_mT8_P12ihipStream_tbDpT10_ENKUlT_T0_E_clISt17integral_constantIbLb1EES18_IbLb0EEEEDaS14_S15_EUlS14_E_NS1_11comp_targetILNS1_3genE5ELNS1_11target_archE942ELNS1_3gpuE9ELNS1_3repE0EEENS1_30default_config_static_selectorELNS0_4arch9wavefront6targetE0EEEvT1_ ; -- Begin function _ZN7rocprim17ROCPRIM_400000_NS6detail17trampoline_kernelINS0_14default_configENS1_25partition_config_selectorILNS1_17partition_subalgoE9EllbEEZZNS1_14partition_implILS5_9ELb0ES3_jPKlN6thrust23THRUST_200600_302600_NS17counting_iteratorIlNSB_11use_defaultESD_SD_EEPNS0_10empty_typeENS0_5tupleIJPlSF_EEENSH_IJSI_SG_EEENS0_18inequality_wrapperIN6hipcub16HIPCUB_304000_NS8EqualityEEESI_JSF_EEE10hipError_tPvRmT3_T4_T5_T6_T7_T9_mT8_P12ihipStream_tbDpT10_ENKUlT_T0_E_clISt17integral_constantIbLb1EES18_IbLb0EEEEDaS14_S15_EUlS14_E_NS1_11comp_targetILNS1_3genE5ELNS1_11target_archE942ELNS1_3gpuE9ELNS1_3repE0EEENS1_30default_config_static_selectorELNS0_4arch9wavefront6targetE0EEEvT1_
	.globl	_ZN7rocprim17ROCPRIM_400000_NS6detail17trampoline_kernelINS0_14default_configENS1_25partition_config_selectorILNS1_17partition_subalgoE9EllbEEZZNS1_14partition_implILS5_9ELb0ES3_jPKlN6thrust23THRUST_200600_302600_NS17counting_iteratorIlNSB_11use_defaultESD_SD_EEPNS0_10empty_typeENS0_5tupleIJPlSF_EEENSH_IJSI_SG_EEENS0_18inequality_wrapperIN6hipcub16HIPCUB_304000_NS8EqualityEEESI_JSF_EEE10hipError_tPvRmT3_T4_T5_T6_T7_T9_mT8_P12ihipStream_tbDpT10_ENKUlT_T0_E_clISt17integral_constantIbLb1EES18_IbLb0EEEEDaS14_S15_EUlS14_E_NS1_11comp_targetILNS1_3genE5ELNS1_11target_archE942ELNS1_3gpuE9ELNS1_3repE0EEENS1_30default_config_static_selectorELNS0_4arch9wavefront6targetE0EEEvT1_
	.p2align	8
	.type	_ZN7rocprim17ROCPRIM_400000_NS6detail17trampoline_kernelINS0_14default_configENS1_25partition_config_selectorILNS1_17partition_subalgoE9EllbEEZZNS1_14partition_implILS5_9ELb0ES3_jPKlN6thrust23THRUST_200600_302600_NS17counting_iteratorIlNSB_11use_defaultESD_SD_EEPNS0_10empty_typeENS0_5tupleIJPlSF_EEENSH_IJSI_SG_EEENS0_18inequality_wrapperIN6hipcub16HIPCUB_304000_NS8EqualityEEESI_JSF_EEE10hipError_tPvRmT3_T4_T5_T6_T7_T9_mT8_P12ihipStream_tbDpT10_ENKUlT_T0_E_clISt17integral_constantIbLb1EES18_IbLb0EEEEDaS14_S15_EUlS14_E_NS1_11comp_targetILNS1_3genE5ELNS1_11target_archE942ELNS1_3gpuE9ELNS1_3repE0EEENS1_30default_config_static_selectorELNS0_4arch9wavefront6targetE0EEEvT1_,@function
_ZN7rocprim17ROCPRIM_400000_NS6detail17trampoline_kernelINS0_14default_configENS1_25partition_config_selectorILNS1_17partition_subalgoE9EllbEEZZNS1_14partition_implILS5_9ELb0ES3_jPKlN6thrust23THRUST_200600_302600_NS17counting_iteratorIlNSB_11use_defaultESD_SD_EEPNS0_10empty_typeENS0_5tupleIJPlSF_EEENSH_IJSI_SG_EEENS0_18inequality_wrapperIN6hipcub16HIPCUB_304000_NS8EqualityEEESI_JSF_EEE10hipError_tPvRmT3_T4_T5_T6_T7_T9_mT8_P12ihipStream_tbDpT10_ENKUlT_T0_E_clISt17integral_constantIbLb1EES18_IbLb0EEEEDaS14_S15_EUlS14_E_NS1_11comp_targetILNS1_3genE5ELNS1_11target_archE942ELNS1_3gpuE9ELNS1_3repE0EEENS1_30default_config_static_selectorELNS0_4arch9wavefront6targetE0EEEvT1_: ; @_ZN7rocprim17ROCPRIM_400000_NS6detail17trampoline_kernelINS0_14default_configENS1_25partition_config_selectorILNS1_17partition_subalgoE9EllbEEZZNS1_14partition_implILS5_9ELb0ES3_jPKlN6thrust23THRUST_200600_302600_NS17counting_iteratorIlNSB_11use_defaultESD_SD_EEPNS0_10empty_typeENS0_5tupleIJPlSF_EEENSH_IJSI_SG_EEENS0_18inequality_wrapperIN6hipcub16HIPCUB_304000_NS8EqualityEEESI_JSF_EEE10hipError_tPvRmT3_T4_T5_T6_T7_T9_mT8_P12ihipStream_tbDpT10_ENKUlT_T0_E_clISt17integral_constantIbLb1EES18_IbLb0EEEEDaS14_S15_EUlS14_E_NS1_11comp_targetILNS1_3genE5ELNS1_11target_archE942ELNS1_3gpuE9ELNS1_3repE0EEENS1_30default_config_static_selectorELNS0_4arch9wavefront6targetE0EEEvT1_
; %bb.0:
	.section	.rodata,"a",@progbits
	.p2align	6, 0x0
	.amdhsa_kernel _ZN7rocprim17ROCPRIM_400000_NS6detail17trampoline_kernelINS0_14default_configENS1_25partition_config_selectorILNS1_17partition_subalgoE9EllbEEZZNS1_14partition_implILS5_9ELb0ES3_jPKlN6thrust23THRUST_200600_302600_NS17counting_iteratorIlNSB_11use_defaultESD_SD_EEPNS0_10empty_typeENS0_5tupleIJPlSF_EEENSH_IJSI_SG_EEENS0_18inequality_wrapperIN6hipcub16HIPCUB_304000_NS8EqualityEEESI_JSF_EEE10hipError_tPvRmT3_T4_T5_T6_T7_T9_mT8_P12ihipStream_tbDpT10_ENKUlT_T0_E_clISt17integral_constantIbLb1EES18_IbLb0EEEEDaS14_S15_EUlS14_E_NS1_11comp_targetILNS1_3genE5ELNS1_11target_archE942ELNS1_3gpuE9ELNS1_3repE0EEENS1_30default_config_static_selectorELNS0_4arch9wavefront6targetE0EEEvT1_
		.amdhsa_group_segment_fixed_size 0
		.amdhsa_private_segment_fixed_size 0
		.amdhsa_kernarg_size 112
		.amdhsa_user_sgpr_count 2
		.amdhsa_user_sgpr_dispatch_ptr 0
		.amdhsa_user_sgpr_queue_ptr 0
		.amdhsa_user_sgpr_kernarg_segment_ptr 1
		.amdhsa_user_sgpr_dispatch_id 0
		.amdhsa_user_sgpr_kernarg_preload_length 0
		.amdhsa_user_sgpr_kernarg_preload_offset 0
		.amdhsa_user_sgpr_private_segment_size 0
		.amdhsa_wavefront_size32 1
		.amdhsa_uses_dynamic_stack 0
		.amdhsa_enable_private_segment 0
		.amdhsa_system_sgpr_workgroup_id_x 1
		.amdhsa_system_sgpr_workgroup_id_y 0
		.amdhsa_system_sgpr_workgroup_id_z 0
		.amdhsa_system_sgpr_workgroup_info 0
		.amdhsa_system_vgpr_workitem_id 0
		.amdhsa_next_free_vgpr 1
		.amdhsa_next_free_sgpr 1
		.amdhsa_named_barrier_count 0
		.amdhsa_reserve_vcc 0
		.amdhsa_float_round_mode_32 0
		.amdhsa_float_round_mode_16_64 0
		.amdhsa_float_denorm_mode_32 3
		.amdhsa_float_denorm_mode_16_64 3
		.amdhsa_fp16_overflow 0
		.amdhsa_memory_ordered 1
		.amdhsa_forward_progress 1
		.amdhsa_inst_pref_size 0
		.amdhsa_round_robin_scheduling 0
		.amdhsa_exception_fp_ieee_invalid_op 0
		.amdhsa_exception_fp_denorm_src 0
		.amdhsa_exception_fp_ieee_div_zero 0
		.amdhsa_exception_fp_ieee_overflow 0
		.amdhsa_exception_fp_ieee_underflow 0
		.amdhsa_exception_fp_ieee_inexact 0
		.amdhsa_exception_int_div_zero 0
	.end_amdhsa_kernel
	.section	.text._ZN7rocprim17ROCPRIM_400000_NS6detail17trampoline_kernelINS0_14default_configENS1_25partition_config_selectorILNS1_17partition_subalgoE9EllbEEZZNS1_14partition_implILS5_9ELb0ES3_jPKlN6thrust23THRUST_200600_302600_NS17counting_iteratorIlNSB_11use_defaultESD_SD_EEPNS0_10empty_typeENS0_5tupleIJPlSF_EEENSH_IJSI_SG_EEENS0_18inequality_wrapperIN6hipcub16HIPCUB_304000_NS8EqualityEEESI_JSF_EEE10hipError_tPvRmT3_T4_T5_T6_T7_T9_mT8_P12ihipStream_tbDpT10_ENKUlT_T0_E_clISt17integral_constantIbLb1EES18_IbLb0EEEEDaS14_S15_EUlS14_E_NS1_11comp_targetILNS1_3genE5ELNS1_11target_archE942ELNS1_3gpuE9ELNS1_3repE0EEENS1_30default_config_static_selectorELNS0_4arch9wavefront6targetE0EEEvT1_,"axG",@progbits,_ZN7rocprim17ROCPRIM_400000_NS6detail17trampoline_kernelINS0_14default_configENS1_25partition_config_selectorILNS1_17partition_subalgoE9EllbEEZZNS1_14partition_implILS5_9ELb0ES3_jPKlN6thrust23THRUST_200600_302600_NS17counting_iteratorIlNSB_11use_defaultESD_SD_EEPNS0_10empty_typeENS0_5tupleIJPlSF_EEENSH_IJSI_SG_EEENS0_18inequality_wrapperIN6hipcub16HIPCUB_304000_NS8EqualityEEESI_JSF_EEE10hipError_tPvRmT3_T4_T5_T6_T7_T9_mT8_P12ihipStream_tbDpT10_ENKUlT_T0_E_clISt17integral_constantIbLb1EES18_IbLb0EEEEDaS14_S15_EUlS14_E_NS1_11comp_targetILNS1_3genE5ELNS1_11target_archE942ELNS1_3gpuE9ELNS1_3repE0EEENS1_30default_config_static_selectorELNS0_4arch9wavefront6targetE0EEEvT1_,comdat
.Lfunc_end61:
	.size	_ZN7rocprim17ROCPRIM_400000_NS6detail17trampoline_kernelINS0_14default_configENS1_25partition_config_selectorILNS1_17partition_subalgoE9EllbEEZZNS1_14partition_implILS5_9ELb0ES3_jPKlN6thrust23THRUST_200600_302600_NS17counting_iteratorIlNSB_11use_defaultESD_SD_EEPNS0_10empty_typeENS0_5tupleIJPlSF_EEENSH_IJSI_SG_EEENS0_18inequality_wrapperIN6hipcub16HIPCUB_304000_NS8EqualityEEESI_JSF_EEE10hipError_tPvRmT3_T4_T5_T6_T7_T9_mT8_P12ihipStream_tbDpT10_ENKUlT_T0_E_clISt17integral_constantIbLb1EES18_IbLb0EEEEDaS14_S15_EUlS14_E_NS1_11comp_targetILNS1_3genE5ELNS1_11target_archE942ELNS1_3gpuE9ELNS1_3repE0EEENS1_30default_config_static_selectorELNS0_4arch9wavefront6targetE0EEEvT1_, .Lfunc_end61-_ZN7rocprim17ROCPRIM_400000_NS6detail17trampoline_kernelINS0_14default_configENS1_25partition_config_selectorILNS1_17partition_subalgoE9EllbEEZZNS1_14partition_implILS5_9ELb0ES3_jPKlN6thrust23THRUST_200600_302600_NS17counting_iteratorIlNSB_11use_defaultESD_SD_EEPNS0_10empty_typeENS0_5tupleIJPlSF_EEENSH_IJSI_SG_EEENS0_18inequality_wrapperIN6hipcub16HIPCUB_304000_NS8EqualityEEESI_JSF_EEE10hipError_tPvRmT3_T4_T5_T6_T7_T9_mT8_P12ihipStream_tbDpT10_ENKUlT_T0_E_clISt17integral_constantIbLb1EES18_IbLb0EEEEDaS14_S15_EUlS14_E_NS1_11comp_targetILNS1_3genE5ELNS1_11target_archE942ELNS1_3gpuE9ELNS1_3repE0EEENS1_30default_config_static_selectorELNS0_4arch9wavefront6targetE0EEEvT1_
                                        ; -- End function
	.set _ZN7rocprim17ROCPRIM_400000_NS6detail17trampoline_kernelINS0_14default_configENS1_25partition_config_selectorILNS1_17partition_subalgoE9EllbEEZZNS1_14partition_implILS5_9ELb0ES3_jPKlN6thrust23THRUST_200600_302600_NS17counting_iteratorIlNSB_11use_defaultESD_SD_EEPNS0_10empty_typeENS0_5tupleIJPlSF_EEENSH_IJSI_SG_EEENS0_18inequality_wrapperIN6hipcub16HIPCUB_304000_NS8EqualityEEESI_JSF_EEE10hipError_tPvRmT3_T4_T5_T6_T7_T9_mT8_P12ihipStream_tbDpT10_ENKUlT_T0_E_clISt17integral_constantIbLb1EES18_IbLb0EEEEDaS14_S15_EUlS14_E_NS1_11comp_targetILNS1_3genE5ELNS1_11target_archE942ELNS1_3gpuE9ELNS1_3repE0EEENS1_30default_config_static_selectorELNS0_4arch9wavefront6targetE0EEEvT1_.num_vgpr, 0
	.set _ZN7rocprim17ROCPRIM_400000_NS6detail17trampoline_kernelINS0_14default_configENS1_25partition_config_selectorILNS1_17partition_subalgoE9EllbEEZZNS1_14partition_implILS5_9ELb0ES3_jPKlN6thrust23THRUST_200600_302600_NS17counting_iteratorIlNSB_11use_defaultESD_SD_EEPNS0_10empty_typeENS0_5tupleIJPlSF_EEENSH_IJSI_SG_EEENS0_18inequality_wrapperIN6hipcub16HIPCUB_304000_NS8EqualityEEESI_JSF_EEE10hipError_tPvRmT3_T4_T5_T6_T7_T9_mT8_P12ihipStream_tbDpT10_ENKUlT_T0_E_clISt17integral_constantIbLb1EES18_IbLb0EEEEDaS14_S15_EUlS14_E_NS1_11comp_targetILNS1_3genE5ELNS1_11target_archE942ELNS1_3gpuE9ELNS1_3repE0EEENS1_30default_config_static_selectorELNS0_4arch9wavefront6targetE0EEEvT1_.num_agpr, 0
	.set _ZN7rocprim17ROCPRIM_400000_NS6detail17trampoline_kernelINS0_14default_configENS1_25partition_config_selectorILNS1_17partition_subalgoE9EllbEEZZNS1_14partition_implILS5_9ELb0ES3_jPKlN6thrust23THRUST_200600_302600_NS17counting_iteratorIlNSB_11use_defaultESD_SD_EEPNS0_10empty_typeENS0_5tupleIJPlSF_EEENSH_IJSI_SG_EEENS0_18inequality_wrapperIN6hipcub16HIPCUB_304000_NS8EqualityEEESI_JSF_EEE10hipError_tPvRmT3_T4_T5_T6_T7_T9_mT8_P12ihipStream_tbDpT10_ENKUlT_T0_E_clISt17integral_constantIbLb1EES18_IbLb0EEEEDaS14_S15_EUlS14_E_NS1_11comp_targetILNS1_3genE5ELNS1_11target_archE942ELNS1_3gpuE9ELNS1_3repE0EEENS1_30default_config_static_selectorELNS0_4arch9wavefront6targetE0EEEvT1_.numbered_sgpr, 0
	.set _ZN7rocprim17ROCPRIM_400000_NS6detail17trampoline_kernelINS0_14default_configENS1_25partition_config_selectorILNS1_17partition_subalgoE9EllbEEZZNS1_14partition_implILS5_9ELb0ES3_jPKlN6thrust23THRUST_200600_302600_NS17counting_iteratorIlNSB_11use_defaultESD_SD_EEPNS0_10empty_typeENS0_5tupleIJPlSF_EEENSH_IJSI_SG_EEENS0_18inequality_wrapperIN6hipcub16HIPCUB_304000_NS8EqualityEEESI_JSF_EEE10hipError_tPvRmT3_T4_T5_T6_T7_T9_mT8_P12ihipStream_tbDpT10_ENKUlT_T0_E_clISt17integral_constantIbLb1EES18_IbLb0EEEEDaS14_S15_EUlS14_E_NS1_11comp_targetILNS1_3genE5ELNS1_11target_archE942ELNS1_3gpuE9ELNS1_3repE0EEENS1_30default_config_static_selectorELNS0_4arch9wavefront6targetE0EEEvT1_.num_named_barrier, 0
	.set _ZN7rocprim17ROCPRIM_400000_NS6detail17trampoline_kernelINS0_14default_configENS1_25partition_config_selectorILNS1_17partition_subalgoE9EllbEEZZNS1_14partition_implILS5_9ELb0ES3_jPKlN6thrust23THRUST_200600_302600_NS17counting_iteratorIlNSB_11use_defaultESD_SD_EEPNS0_10empty_typeENS0_5tupleIJPlSF_EEENSH_IJSI_SG_EEENS0_18inequality_wrapperIN6hipcub16HIPCUB_304000_NS8EqualityEEESI_JSF_EEE10hipError_tPvRmT3_T4_T5_T6_T7_T9_mT8_P12ihipStream_tbDpT10_ENKUlT_T0_E_clISt17integral_constantIbLb1EES18_IbLb0EEEEDaS14_S15_EUlS14_E_NS1_11comp_targetILNS1_3genE5ELNS1_11target_archE942ELNS1_3gpuE9ELNS1_3repE0EEENS1_30default_config_static_selectorELNS0_4arch9wavefront6targetE0EEEvT1_.private_seg_size, 0
	.set _ZN7rocprim17ROCPRIM_400000_NS6detail17trampoline_kernelINS0_14default_configENS1_25partition_config_selectorILNS1_17partition_subalgoE9EllbEEZZNS1_14partition_implILS5_9ELb0ES3_jPKlN6thrust23THRUST_200600_302600_NS17counting_iteratorIlNSB_11use_defaultESD_SD_EEPNS0_10empty_typeENS0_5tupleIJPlSF_EEENSH_IJSI_SG_EEENS0_18inequality_wrapperIN6hipcub16HIPCUB_304000_NS8EqualityEEESI_JSF_EEE10hipError_tPvRmT3_T4_T5_T6_T7_T9_mT8_P12ihipStream_tbDpT10_ENKUlT_T0_E_clISt17integral_constantIbLb1EES18_IbLb0EEEEDaS14_S15_EUlS14_E_NS1_11comp_targetILNS1_3genE5ELNS1_11target_archE942ELNS1_3gpuE9ELNS1_3repE0EEENS1_30default_config_static_selectorELNS0_4arch9wavefront6targetE0EEEvT1_.uses_vcc, 0
	.set _ZN7rocprim17ROCPRIM_400000_NS6detail17trampoline_kernelINS0_14default_configENS1_25partition_config_selectorILNS1_17partition_subalgoE9EllbEEZZNS1_14partition_implILS5_9ELb0ES3_jPKlN6thrust23THRUST_200600_302600_NS17counting_iteratorIlNSB_11use_defaultESD_SD_EEPNS0_10empty_typeENS0_5tupleIJPlSF_EEENSH_IJSI_SG_EEENS0_18inequality_wrapperIN6hipcub16HIPCUB_304000_NS8EqualityEEESI_JSF_EEE10hipError_tPvRmT3_T4_T5_T6_T7_T9_mT8_P12ihipStream_tbDpT10_ENKUlT_T0_E_clISt17integral_constantIbLb1EES18_IbLb0EEEEDaS14_S15_EUlS14_E_NS1_11comp_targetILNS1_3genE5ELNS1_11target_archE942ELNS1_3gpuE9ELNS1_3repE0EEENS1_30default_config_static_selectorELNS0_4arch9wavefront6targetE0EEEvT1_.uses_flat_scratch, 0
	.set _ZN7rocprim17ROCPRIM_400000_NS6detail17trampoline_kernelINS0_14default_configENS1_25partition_config_selectorILNS1_17partition_subalgoE9EllbEEZZNS1_14partition_implILS5_9ELb0ES3_jPKlN6thrust23THRUST_200600_302600_NS17counting_iteratorIlNSB_11use_defaultESD_SD_EEPNS0_10empty_typeENS0_5tupleIJPlSF_EEENSH_IJSI_SG_EEENS0_18inequality_wrapperIN6hipcub16HIPCUB_304000_NS8EqualityEEESI_JSF_EEE10hipError_tPvRmT3_T4_T5_T6_T7_T9_mT8_P12ihipStream_tbDpT10_ENKUlT_T0_E_clISt17integral_constantIbLb1EES18_IbLb0EEEEDaS14_S15_EUlS14_E_NS1_11comp_targetILNS1_3genE5ELNS1_11target_archE942ELNS1_3gpuE9ELNS1_3repE0EEENS1_30default_config_static_selectorELNS0_4arch9wavefront6targetE0EEEvT1_.has_dyn_sized_stack, 0
	.set _ZN7rocprim17ROCPRIM_400000_NS6detail17trampoline_kernelINS0_14default_configENS1_25partition_config_selectorILNS1_17partition_subalgoE9EllbEEZZNS1_14partition_implILS5_9ELb0ES3_jPKlN6thrust23THRUST_200600_302600_NS17counting_iteratorIlNSB_11use_defaultESD_SD_EEPNS0_10empty_typeENS0_5tupleIJPlSF_EEENSH_IJSI_SG_EEENS0_18inequality_wrapperIN6hipcub16HIPCUB_304000_NS8EqualityEEESI_JSF_EEE10hipError_tPvRmT3_T4_T5_T6_T7_T9_mT8_P12ihipStream_tbDpT10_ENKUlT_T0_E_clISt17integral_constantIbLb1EES18_IbLb0EEEEDaS14_S15_EUlS14_E_NS1_11comp_targetILNS1_3genE5ELNS1_11target_archE942ELNS1_3gpuE9ELNS1_3repE0EEENS1_30default_config_static_selectorELNS0_4arch9wavefront6targetE0EEEvT1_.has_recursion, 0
	.set _ZN7rocprim17ROCPRIM_400000_NS6detail17trampoline_kernelINS0_14default_configENS1_25partition_config_selectorILNS1_17partition_subalgoE9EllbEEZZNS1_14partition_implILS5_9ELb0ES3_jPKlN6thrust23THRUST_200600_302600_NS17counting_iteratorIlNSB_11use_defaultESD_SD_EEPNS0_10empty_typeENS0_5tupleIJPlSF_EEENSH_IJSI_SG_EEENS0_18inequality_wrapperIN6hipcub16HIPCUB_304000_NS8EqualityEEESI_JSF_EEE10hipError_tPvRmT3_T4_T5_T6_T7_T9_mT8_P12ihipStream_tbDpT10_ENKUlT_T0_E_clISt17integral_constantIbLb1EES18_IbLb0EEEEDaS14_S15_EUlS14_E_NS1_11comp_targetILNS1_3genE5ELNS1_11target_archE942ELNS1_3gpuE9ELNS1_3repE0EEENS1_30default_config_static_selectorELNS0_4arch9wavefront6targetE0EEEvT1_.has_indirect_call, 0
	.section	.AMDGPU.csdata,"",@progbits
; Kernel info:
; codeLenInByte = 0
; TotalNumSgprs: 0
; NumVgprs: 0
; ScratchSize: 0
; MemoryBound: 0
; FloatMode: 240
; IeeeMode: 1
; LDSByteSize: 0 bytes/workgroup (compile time only)
; SGPRBlocks: 0
; VGPRBlocks: 0
; NumSGPRsForWavesPerEU: 1
; NumVGPRsForWavesPerEU: 1
; NamedBarCnt: 0
; Occupancy: 16
; WaveLimiterHint : 0
; COMPUTE_PGM_RSRC2:SCRATCH_EN: 0
; COMPUTE_PGM_RSRC2:USER_SGPR: 2
; COMPUTE_PGM_RSRC2:TRAP_HANDLER: 0
; COMPUTE_PGM_RSRC2:TGID_X_EN: 1
; COMPUTE_PGM_RSRC2:TGID_Y_EN: 0
; COMPUTE_PGM_RSRC2:TGID_Z_EN: 0
; COMPUTE_PGM_RSRC2:TIDIG_COMP_CNT: 0
	.section	.text._ZN7rocprim17ROCPRIM_400000_NS6detail17trampoline_kernelINS0_14default_configENS1_25partition_config_selectorILNS1_17partition_subalgoE9EllbEEZZNS1_14partition_implILS5_9ELb0ES3_jPKlN6thrust23THRUST_200600_302600_NS17counting_iteratorIlNSB_11use_defaultESD_SD_EEPNS0_10empty_typeENS0_5tupleIJPlSF_EEENSH_IJSI_SG_EEENS0_18inequality_wrapperIN6hipcub16HIPCUB_304000_NS8EqualityEEESI_JSF_EEE10hipError_tPvRmT3_T4_T5_T6_T7_T9_mT8_P12ihipStream_tbDpT10_ENKUlT_T0_E_clISt17integral_constantIbLb1EES18_IbLb0EEEEDaS14_S15_EUlS14_E_NS1_11comp_targetILNS1_3genE4ELNS1_11target_archE910ELNS1_3gpuE8ELNS1_3repE0EEENS1_30default_config_static_selectorELNS0_4arch9wavefront6targetE0EEEvT1_,"axG",@progbits,_ZN7rocprim17ROCPRIM_400000_NS6detail17trampoline_kernelINS0_14default_configENS1_25partition_config_selectorILNS1_17partition_subalgoE9EllbEEZZNS1_14partition_implILS5_9ELb0ES3_jPKlN6thrust23THRUST_200600_302600_NS17counting_iteratorIlNSB_11use_defaultESD_SD_EEPNS0_10empty_typeENS0_5tupleIJPlSF_EEENSH_IJSI_SG_EEENS0_18inequality_wrapperIN6hipcub16HIPCUB_304000_NS8EqualityEEESI_JSF_EEE10hipError_tPvRmT3_T4_T5_T6_T7_T9_mT8_P12ihipStream_tbDpT10_ENKUlT_T0_E_clISt17integral_constantIbLb1EES18_IbLb0EEEEDaS14_S15_EUlS14_E_NS1_11comp_targetILNS1_3genE4ELNS1_11target_archE910ELNS1_3gpuE8ELNS1_3repE0EEENS1_30default_config_static_selectorELNS0_4arch9wavefront6targetE0EEEvT1_,comdat
	.protected	_ZN7rocprim17ROCPRIM_400000_NS6detail17trampoline_kernelINS0_14default_configENS1_25partition_config_selectorILNS1_17partition_subalgoE9EllbEEZZNS1_14partition_implILS5_9ELb0ES3_jPKlN6thrust23THRUST_200600_302600_NS17counting_iteratorIlNSB_11use_defaultESD_SD_EEPNS0_10empty_typeENS0_5tupleIJPlSF_EEENSH_IJSI_SG_EEENS0_18inequality_wrapperIN6hipcub16HIPCUB_304000_NS8EqualityEEESI_JSF_EEE10hipError_tPvRmT3_T4_T5_T6_T7_T9_mT8_P12ihipStream_tbDpT10_ENKUlT_T0_E_clISt17integral_constantIbLb1EES18_IbLb0EEEEDaS14_S15_EUlS14_E_NS1_11comp_targetILNS1_3genE4ELNS1_11target_archE910ELNS1_3gpuE8ELNS1_3repE0EEENS1_30default_config_static_selectorELNS0_4arch9wavefront6targetE0EEEvT1_ ; -- Begin function _ZN7rocprim17ROCPRIM_400000_NS6detail17trampoline_kernelINS0_14default_configENS1_25partition_config_selectorILNS1_17partition_subalgoE9EllbEEZZNS1_14partition_implILS5_9ELb0ES3_jPKlN6thrust23THRUST_200600_302600_NS17counting_iteratorIlNSB_11use_defaultESD_SD_EEPNS0_10empty_typeENS0_5tupleIJPlSF_EEENSH_IJSI_SG_EEENS0_18inequality_wrapperIN6hipcub16HIPCUB_304000_NS8EqualityEEESI_JSF_EEE10hipError_tPvRmT3_T4_T5_T6_T7_T9_mT8_P12ihipStream_tbDpT10_ENKUlT_T0_E_clISt17integral_constantIbLb1EES18_IbLb0EEEEDaS14_S15_EUlS14_E_NS1_11comp_targetILNS1_3genE4ELNS1_11target_archE910ELNS1_3gpuE8ELNS1_3repE0EEENS1_30default_config_static_selectorELNS0_4arch9wavefront6targetE0EEEvT1_
	.globl	_ZN7rocprim17ROCPRIM_400000_NS6detail17trampoline_kernelINS0_14default_configENS1_25partition_config_selectorILNS1_17partition_subalgoE9EllbEEZZNS1_14partition_implILS5_9ELb0ES3_jPKlN6thrust23THRUST_200600_302600_NS17counting_iteratorIlNSB_11use_defaultESD_SD_EEPNS0_10empty_typeENS0_5tupleIJPlSF_EEENSH_IJSI_SG_EEENS0_18inequality_wrapperIN6hipcub16HIPCUB_304000_NS8EqualityEEESI_JSF_EEE10hipError_tPvRmT3_T4_T5_T6_T7_T9_mT8_P12ihipStream_tbDpT10_ENKUlT_T0_E_clISt17integral_constantIbLb1EES18_IbLb0EEEEDaS14_S15_EUlS14_E_NS1_11comp_targetILNS1_3genE4ELNS1_11target_archE910ELNS1_3gpuE8ELNS1_3repE0EEENS1_30default_config_static_selectorELNS0_4arch9wavefront6targetE0EEEvT1_
	.p2align	8
	.type	_ZN7rocprim17ROCPRIM_400000_NS6detail17trampoline_kernelINS0_14default_configENS1_25partition_config_selectorILNS1_17partition_subalgoE9EllbEEZZNS1_14partition_implILS5_9ELb0ES3_jPKlN6thrust23THRUST_200600_302600_NS17counting_iteratorIlNSB_11use_defaultESD_SD_EEPNS0_10empty_typeENS0_5tupleIJPlSF_EEENSH_IJSI_SG_EEENS0_18inequality_wrapperIN6hipcub16HIPCUB_304000_NS8EqualityEEESI_JSF_EEE10hipError_tPvRmT3_T4_T5_T6_T7_T9_mT8_P12ihipStream_tbDpT10_ENKUlT_T0_E_clISt17integral_constantIbLb1EES18_IbLb0EEEEDaS14_S15_EUlS14_E_NS1_11comp_targetILNS1_3genE4ELNS1_11target_archE910ELNS1_3gpuE8ELNS1_3repE0EEENS1_30default_config_static_selectorELNS0_4arch9wavefront6targetE0EEEvT1_,@function
_ZN7rocprim17ROCPRIM_400000_NS6detail17trampoline_kernelINS0_14default_configENS1_25partition_config_selectorILNS1_17partition_subalgoE9EllbEEZZNS1_14partition_implILS5_9ELb0ES3_jPKlN6thrust23THRUST_200600_302600_NS17counting_iteratorIlNSB_11use_defaultESD_SD_EEPNS0_10empty_typeENS0_5tupleIJPlSF_EEENSH_IJSI_SG_EEENS0_18inequality_wrapperIN6hipcub16HIPCUB_304000_NS8EqualityEEESI_JSF_EEE10hipError_tPvRmT3_T4_T5_T6_T7_T9_mT8_P12ihipStream_tbDpT10_ENKUlT_T0_E_clISt17integral_constantIbLb1EES18_IbLb0EEEEDaS14_S15_EUlS14_E_NS1_11comp_targetILNS1_3genE4ELNS1_11target_archE910ELNS1_3gpuE8ELNS1_3repE0EEENS1_30default_config_static_selectorELNS0_4arch9wavefront6targetE0EEEvT1_: ; @_ZN7rocprim17ROCPRIM_400000_NS6detail17trampoline_kernelINS0_14default_configENS1_25partition_config_selectorILNS1_17partition_subalgoE9EllbEEZZNS1_14partition_implILS5_9ELb0ES3_jPKlN6thrust23THRUST_200600_302600_NS17counting_iteratorIlNSB_11use_defaultESD_SD_EEPNS0_10empty_typeENS0_5tupleIJPlSF_EEENSH_IJSI_SG_EEENS0_18inequality_wrapperIN6hipcub16HIPCUB_304000_NS8EqualityEEESI_JSF_EEE10hipError_tPvRmT3_T4_T5_T6_T7_T9_mT8_P12ihipStream_tbDpT10_ENKUlT_T0_E_clISt17integral_constantIbLb1EES18_IbLb0EEEEDaS14_S15_EUlS14_E_NS1_11comp_targetILNS1_3genE4ELNS1_11target_archE910ELNS1_3gpuE8ELNS1_3repE0EEENS1_30default_config_static_selectorELNS0_4arch9wavefront6targetE0EEEvT1_
; %bb.0:
	.section	.rodata,"a",@progbits
	.p2align	6, 0x0
	.amdhsa_kernel _ZN7rocprim17ROCPRIM_400000_NS6detail17trampoline_kernelINS0_14default_configENS1_25partition_config_selectorILNS1_17partition_subalgoE9EllbEEZZNS1_14partition_implILS5_9ELb0ES3_jPKlN6thrust23THRUST_200600_302600_NS17counting_iteratorIlNSB_11use_defaultESD_SD_EEPNS0_10empty_typeENS0_5tupleIJPlSF_EEENSH_IJSI_SG_EEENS0_18inequality_wrapperIN6hipcub16HIPCUB_304000_NS8EqualityEEESI_JSF_EEE10hipError_tPvRmT3_T4_T5_T6_T7_T9_mT8_P12ihipStream_tbDpT10_ENKUlT_T0_E_clISt17integral_constantIbLb1EES18_IbLb0EEEEDaS14_S15_EUlS14_E_NS1_11comp_targetILNS1_3genE4ELNS1_11target_archE910ELNS1_3gpuE8ELNS1_3repE0EEENS1_30default_config_static_selectorELNS0_4arch9wavefront6targetE0EEEvT1_
		.amdhsa_group_segment_fixed_size 0
		.amdhsa_private_segment_fixed_size 0
		.amdhsa_kernarg_size 112
		.amdhsa_user_sgpr_count 2
		.amdhsa_user_sgpr_dispatch_ptr 0
		.amdhsa_user_sgpr_queue_ptr 0
		.amdhsa_user_sgpr_kernarg_segment_ptr 1
		.amdhsa_user_sgpr_dispatch_id 0
		.amdhsa_user_sgpr_kernarg_preload_length 0
		.amdhsa_user_sgpr_kernarg_preload_offset 0
		.amdhsa_user_sgpr_private_segment_size 0
		.amdhsa_wavefront_size32 1
		.amdhsa_uses_dynamic_stack 0
		.amdhsa_enable_private_segment 0
		.amdhsa_system_sgpr_workgroup_id_x 1
		.amdhsa_system_sgpr_workgroup_id_y 0
		.amdhsa_system_sgpr_workgroup_id_z 0
		.amdhsa_system_sgpr_workgroup_info 0
		.amdhsa_system_vgpr_workitem_id 0
		.amdhsa_next_free_vgpr 1
		.amdhsa_next_free_sgpr 1
		.amdhsa_named_barrier_count 0
		.amdhsa_reserve_vcc 0
		.amdhsa_float_round_mode_32 0
		.amdhsa_float_round_mode_16_64 0
		.amdhsa_float_denorm_mode_32 3
		.amdhsa_float_denorm_mode_16_64 3
		.amdhsa_fp16_overflow 0
		.amdhsa_memory_ordered 1
		.amdhsa_forward_progress 1
		.amdhsa_inst_pref_size 0
		.amdhsa_round_robin_scheduling 0
		.amdhsa_exception_fp_ieee_invalid_op 0
		.amdhsa_exception_fp_denorm_src 0
		.amdhsa_exception_fp_ieee_div_zero 0
		.amdhsa_exception_fp_ieee_overflow 0
		.amdhsa_exception_fp_ieee_underflow 0
		.amdhsa_exception_fp_ieee_inexact 0
		.amdhsa_exception_int_div_zero 0
	.end_amdhsa_kernel
	.section	.text._ZN7rocprim17ROCPRIM_400000_NS6detail17trampoline_kernelINS0_14default_configENS1_25partition_config_selectorILNS1_17partition_subalgoE9EllbEEZZNS1_14partition_implILS5_9ELb0ES3_jPKlN6thrust23THRUST_200600_302600_NS17counting_iteratorIlNSB_11use_defaultESD_SD_EEPNS0_10empty_typeENS0_5tupleIJPlSF_EEENSH_IJSI_SG_EEENS0_18inequality_wrapperIN6hipcub16HIPCUB_304000_NS8EqualityEEESI_JSF_EEE10hipError_tPvRmT3_T4_T5_T6_T7_T9_mT8_P12ihipStream_tbDpT10_ENKUlT_T0_E_clISt17integral_constantIbLb1EES18_IbLb0EEEEDaS14_S15_EUlS14_E_NS1_11comp_targetILNS1_3genE4ELNS1_11target_archE910ELNS1_3gpuE8ELNS1_3repE0EEENS1_30default_config_static_selectorELNS0_4arch9wavefront6targetE0EEEvT1_,"axG",@progbits,_ZN7rocprim17ROCPRIM_400000_NS6detail17trampoline_kernelINS0_14default_configENS1_25partition_config_selectorILNS1_17partition_subalgoE9EllbEEZZNS1_14partition_implILS5_9ELb0ES3_jPKlN6thrust23THRUST_200600_302600_NS17counting_iteratorIlNSB_11use_defaultESD_SD_EEPNS0_10empty_typeENS0_5tupleIJPlSF_EEENSH_IJSI_SG_EEENS0_18inequality_wrapperIN6hipcub16HIPCUB_304000_NS8EqualityEEESI_JSF_EEE10hipError_tPvRmT3_T4_T5_T6_T7_T9_mT8_P12ihipStream_tbDpT10_ENKUlT_T0_E_clISt17integral_constantIbLb1EES18_IbLb0EEEEDaS14_S15_EUlS14_E_NS1_11comp_targetILNS1_3genE4ELNS1_11target_archE910ELNS1_3gpuE8ELNS1_3repE0EEENS1_30default_config_static_selectorELNS0_4arch9wavefront6targetE0EEEvT1_,comdat
.Lfunc_end62:
	.size	_ZN7rocprim17ROCPRIM_400000_NS6detail17trampoline_kernelINS0_14default_configENS1_25partition_config_selectorILNS1_17partition_subalgoE9EllbEEZZNS1_14partition_implILS5_9ELb0ES3_jPKlN6thrust23THRUST_200600_302600_NS17counting_iteratorIlNSB_11use_defaultESD_SD_EEPNS0_10empty_typeENS0_5tupleIJPlSF_EEENSH_IJSI_SG_EEENS0_18inequality_wrapperIN6hipcub16HIPCUB_304000_NS8EqualityEEESI_JSF_EEE10hipError_tPvRmT3_T4_T5_T6_T7_T9_mT8_P12ihipStream_tbDpT10_ENKUlT_T0_E_clISt17integral_constantIbLb1EES18_IbLb0EEEEDaS14_S15_EUlS14_E_NS1_11comp_targetILNS1_3genE4ELNS1_11target_archE910ELNS1_3gpuE8ELNS1_3repE0EEENS1_30default_config_static_selectorELNS0_4arch9wavefront6targetE0EEEvT1_, .Lfunc_end62-_ZN7rocprim17ROCPRIM_400000_NS6detail17trampoline_kernelINS0_14default_configENS1_25partition_config_selectorILNS1_17partition_subalgoE9EllbEEZZNS1_14partition_implILS5_9ELb0ES3_jPKlN6thrust23THRUST_200600_302600_NS17counting_iteratorIlNSB_11use_defaultESD_SD_EEPNS0_10empty_typeENS0_5tupleIJPlSF_EEENSH_IJSI_SG_EEENS0_18inequality_wrapperIN6hipcub16HIPCUB_304000_NS8EqualityEEESI_JSF_EEE10hipError_tPvRmT3_T4_T5_T6_T7_T9_mT8_P12ihipStream_tbDpT10_ENKUlT_T0_E_clISt17integral_constantIbLb1EES18_IbLb0EEEEDaS14_S15_EUlS14_E_NS1_11comp_targetILNS1_3genE4ELNS1_11target_archE910ELNS1_3gpuE8ELNS1_3repE0EEENS1_30default_config_static_selectorELNS0_4arch9wavefront6targetE0EEEvT1_
                                        ; -- End function
	.set _ZN7rocprim17ROCPRIM_400000_NS6detail17trampoline_kernelINS0_14default_configENS1_25partition_config_selectorILNS1_17partition_subalgoE9EllbEEZZNS1_14partition_implILS5_9ELb0ES3_jPKlN6thrust23THRUST_200600_302600_NS17counting_iteratorIlNSB_11use_defaultESD_SD_EEPNS0_10empty_typeENS0_5tupleIJPlSF_EEENSH_IJSI_SG_EEENS0_18inequality_wrapperIN6hipcub16HIPCUB_304000_NS8EqualityEEESI_JSF_EEE10hipError_tPvRmT3_T4_T5_T6_T7_T9_mT8_P12ihipStream_tbDpT10_ENKUlT_T0_E_clISt17integral_constantIbLb1EES18_IbLb0EEEEDaS14_S15_EUlS14_E_NS1_11comp_targetILNS1_3genE4ELNS1_11target_archE910ELNS1_3gpuE8ELNS1_3repE0EEENS1_30default_config_static_selectorELNS0_4arch9wavefront6targetE0EEEvT1_.num_vgpr, 0
	.set _ZN7rocprim17ROCPRIM_400000_NS6detail17trampoline_kernelINS0_14default_configENS1_25partition_config_selectorILNS1_17partition_subalgoE9EllbEEZZNS1_14partition_implILS5_9ELb0ES3_jPKlN6thrust23THRUST_200600_302600_NS17counting_iteratorIlNSB_11use_defaultESD_SD_EEPNS0_10empty_typeENS0_5tupleIJPlSF_EEENSH_IJSI_SG_EEENS0_18inequality_wrapperIN6hipcub16HIPCUB_304000_NS8EqualityEEESI_JSF_EEE10hipError_tPvRmT3_T4_T5_T6_T7_T9_mT8_P12ihipStream_tbDpT10_ENKUlT_T0_E_clISt17integral_constantIbLb1EES18_IbLb0EEEEDaS14_S15_EUlS14_E_NS1_11comp_targetILNS1_3genE4ELNS1_11target_archE910ELNS1_3gpuE8ELNS1_3repE0EEENS1_30default_config_static_selectorELNS0_4arch9wavefront6targetE0EEEvT1_.num_agpr, 0
	.set _ZN7rocprim17ROCPRIM_400000_NS6detail17trampoline_kernelINS0_14default_configENS1_25partition_config_selectorILNS1_17partition_subalgoE9EllbEEZZNS1_14partition_implILS5_9ELb0ES3_jPKlN6thrust23THRUST_200600_302600_NS17counting_iteratorIlNSB_11use_defaultESD_SD_EEPNS0_10empty_typeENS0_5tupleIJPlSF_EEENSH_IJSI_SG_EEENS0_18inequality_wrapperIN6hipcub16HIPCUB_304000_NS8EqualityEEESI_JSF_EEE10hipError_tPvRmT3_T4_T5_T6_T7_T9_mT8_P12ihipStream_tbDpT10_ENKUlT_T0_E_clISt17integral_constantIbLb1EES18_IbLb0EEEEDaS14_S15_EUlS14_E_NS1_11comp_targetILNS1_3genE4ELNS1_11target_archE910ELNS1_3gpuE8ELNS1_3repE0EEENS1_30default_config_static_selectorELNS0_4arch9wavefront6targetE0EEEvT1_.numbered_sgpr, 0
	.set _ZN7rocprim17ROCPRIM_400000_NS6detail17trampoline_kernelINS0_14default_configENS1_25partition_config_selectorILNS1_17partition_subalgoE9EllbEEZZNS1_14partition_implILS5_9ELb0ES3_jPKlN6thrust23THRUST_200600_302600_NS17counting_iteratorIlNSB_11use_defaultESD_SD_EEPNS0_10empty_typeENS0_5tupleIJPlSF_EEENSH_IJSI_SG_EEENS0_18inequality_wrapperIN6hipcub16HIPCUB_304000_NS8EqualityEEESI_JSF_EEE10hipError_tPvRmT3_T4_T5_T6_T7_T9_mT8_P12ihipStream_tbDpT10_ENKUlT_T0_E_clISt17integral_constantIbLb1EES18_IbLb0EEEEDaS14_S15_EUlS14_E_NS1_11comp_targetILNS1_3genE4ELNS1_11target_archE910ELNS1_3gpuE8ELNS1_3repE0EEENS1_30default_config_static_selectorELNS0_4arch9wavefront6targetE0EEEvT1_.num_named_barrier, 0
	.set _ZN7rocprim17ROCPRIM_400000_NS6detail17trampoline_kernelINS0_14default_configENS1_25partition_config_selectorILNS1_17partition_subalgoE9EllbEEZZNS1_14partition_implILS5_9ELb0ES3_jPKlN6thrust23THRUST_200600_302600_NS17counting_iteratorIlNSB_11use_defaultESD_SD_EEPNS0_10empty_typeENS0_5tupleIJPlSF_EEENSH_IJSI_SG_EEENS0_18inequality_wrapperIN6hipcub16HIPCUB_304000_NS8EqualityEEESI_JSF_EEE10hipError_tPvRmT3_T4_T5_T6_T7_T9_mT8_P12ihipStream_tbDpT10_ENKUlT_T0_E_clISt17integral_constantIbLb1EES18_IbLb0EEEEDaS14_S15_EUlS14_E_NS1_11comp_targetILNS1_3genE4ELNS1_11target_archE910ELNS1_3gpuE8ELNS1_3repE0EEENS1_30default_config_static_selectorELNS0_4arch9wavefront6targetE0EEEvT1_.private_seg_size, 0
	.set _ZN7rocprim17ROCPRIM_400000_NS6detail17trampoline_kernelINS0_14default_configENS1_25partition_config_selectorILNS1_17partition_subalgoE9EllbEEZZNS1_14partition_implILS5_9ELb0ES3_jPKlN6thrust23THRUST_200600_302600_NS17counting_iteratorIlNSB_11use_defaultESD_SD_EEPNS0_10empty_typeENS0_5tupleIJPlSF_EEENSH_IJSI_SG_EEENS0_18inequality_wrapperIN6hipcub16HIPCUB_304000_NS8EqualityEEESI_JSF_EEE10hipError_tPvRmT3_T4_T5_T6_T7_T9_mT8_P12ihipStream_tbDpT10_ENKUlT_T0_E_clISt17integral_constantIbLb1EES18_IbLb0EEEEDaS14_S15_EUlS14_E_NS1_11comp_targetILNS1_3genE4ELNS1_11target_archE910ELNS1_3gpuE8ELNS1_3repE0EEENS1_30default_config_static_selectorELNS0_4arch9wavefront6targetE0EEEvT1_.uses_vcc, 0
	.set _ZN7rocprim17ROCPRIM_400000_NS6detail17trampoline_kernelINS0_14default_configENS1_25partition_config_selectorILNS1_17partition_subalgoE9EllbEEZZNS1_14partition_implILS5_9ELb0ES3_jPKlN6thrust23THRUST_200600_302600_NS17counting_iteratorIlNSB_11use_defaultESD_SD_EEPNS0_10empty_typeENS0_5tupleIJPlSF_EEENSH_IJSI_SG_EEENS0_18inequality_wrapperIN6hipcub16HIPCUB_304000_NS8EqualityEEESI_JSF_EEE10hipError_tPvRmT3_T4_T5_T6_T7_T9_mT8_P12ihipStream_tbDpT10_ENKUlT_T0_E_clISt17integral_constantIbLb1EES18_IbLb0EEEEDaS14_S15_EUlS14_E_NS1_11comp_targetILNS1_3genE4ELNS1_11target_archE910ELNS1_3gpuE8ELNS1_3repE0EEENS1_30default_config_static_selectorELNS0_4arch9wavefront6targetE0EEEvT1_.uses_flat_scratch, 0
	.set _ZN7rocprim17ROCPRIM_400000_NS6detail17trampoline_kernelINS0_14default_configENS1_25partition_config_selectorILNS1_17partition_subalgoE9EllbEEZZNS1_14partition_implILS5_9ELb0ES3_jPKlN6thrust23THRUST_200600_302600_NS17counting_iteratorIlNSB_11use_defaultESD_SD_EEPNS0_10empty_typeENS0_5tupleIJPlSF_EEENSH_IJSI_SG_EEENS0_18inequality_wrapperIN6hipcub16HIPCUB_304000_NS8EqualityEEESI_JSF_EEE10hipError_tPvRmT3_T4_T5_T6_T7_T9_mT8_P12ihipStream_tbDpT10_ENKUlT_T0_E_clISt17integral_constantIbLb1EES18_IbLb0EEEEDaS14_S15_EUlS14_E_NS1_11comp_targetILNS1_3genE4ELNS1_11target_archE910ELNS1_3gpuE8ELNS1_3repE0EEENS1_30default_config_static_selectorELNS0_4arch9wavefront6targetE0EEEvT1_.has_dyn_sized_stack, 0
	.set _ZN7rocprim17ROCPRIM_400000_NS6detail17trampoline_kernelINS0_14default_configENS1_25partition_config_selectorILNS1_17partition_subalgoE9EllbEEZZNS1_14partition_implILS5_9ELb0ES3_jPKlN6thrust23THRUST_200600_302600_NS17counting_iteratorIlNSB_11use_defaultESD_SD_EEPNS0_10empty_typeENS0_5tupleIJPlSF_EEENSH_IJSI_SG_EEENS0_18inequality_wrapperIN6hipcub16HIPCUB_304000_NS8EqualityEEESI_JSF_EEE10hipError_tPvRmT3_T4_T5_T6_T7_T9_mT8_P12ihipStream_tbDpT10_ENKUlT_T0_E_clISt17integral_constantIbLb1EES18_IbLb0EEEEDaS14_S15_EUlS14_E_NS1_11comp_targetILNS1_3genE4ELNS1_11target_archE910ELNS1_3gpuE8ELNS1_3repE0EEENS1_30default_config_static_selectorELNS0_4arch9wavefront6targetE0EEEvT1_.has_recursion, 0
	.set _ZN7rocprim17ROCPRIM_400000_NS6detail17trampoline_kernelINS0_14default_configENS1_25partition_config_selectorILNS1_17partition_subalgoE9EllbEEZZNS1_14partition_implILS5_9ELb0ES3_jPKlN6thrust23THRUST_200600_302600_NS17counting_iteratorIlNSB_11use_defaultESD_SD_EEPNS0_10empty_typeENS0_5tupleIJPlSF_EEENSH_IJSI_SG_EEENS0_18inequality_wrapperIN6hipcub16HIPCUB_304000_NS8EqualityEEESI_JSF_EEE10hipError_tPvRmT3_T4_T5_T6_T7_T9_mT8_P12ihipStream_tbDpT10_ENKUlT_T0_E_clISt17integral_constantIbLb1EES18_IbLb0EEEEDaS14_S15_EUlS14_E_NS1_11comp_targetILNS1_3genE4ELNS1_11target_archE910ELNS1_3gpuE8ELNS1_3repE0EEENS1_30default_config_static_selectorELNS0_4arch9wavefront6targetE0EEEvT1_.has_indirect_call, 0
	.section	.AMDGPU.csdata,"",@progbits
; Kernel info:
; codeLenInByte = 0
; TotalNumSgprs: 0
; NumVgprs: 0
; ScratchSize: 0
; MemoryBound: 0
; FloatMode: 240
; IeeeMode: 1
; LDSByteSize: 0 bytes/workgroup (compile time only)
; SGPRBlocks: 0
; VGPRBlocks: 0
; NumSGPRsForWavesPerEU: 1
; NumVGPRsForWavesPerEU: 1
; NamedBarCnt: 0
; Occupancy: 16
; WaveLimiterHint : 0
; COMPUTE_PGM_RSRC2:SCRATCH_EN: 0
; COMPUTE_PGM_RSRC2:USER_SGPR: 2
; COMPUTE_PGM_RSRC2:TRAP_HANDLER: 0
; COMPUTE_PGM_RSRC2:TGID_X_EN: 1
; COMPUTE_PGM_RSRC2:TGID_Y_EN: 0
; COMPUTE_PGM_RSRC2:TGID_Z_EN: 0
; COMPUTE_PGM_RSRC2:TIDIG_COMP_CNT: 0
	.section	.text._ZN7rocprim17ROCPRIM_400000_NS6detail17trampoline_kernelINS0_14default_configENS1_25partition_config_selectorILNS1_17partition_subalgoE9EllbEEZZNS1_14partition_implILS5_9ELb0ES3_jPKlN6thrust23THRUST_200600_302600_NS17counting_iteratorIlNSB_11use_defaultESD_SD_EEPNS0_10empty_typeENS0_5tupleIJPlSF_EEENSH_IJSI_SG_EEENS0_18inequality_wrapperIN6hipcub16HIPCUB_304000_NS8EqualityEEESI_JSF_EEE10hipError_tPvRmT3_T4_T5_T6_T7_T9_mT8_P12ihipStream_tbDpT10_ENKUlT_T0_E_clISt17integral_constantIbLb1EES18_IbLb0EEEEDaS14_S15_EUlS14_E_NS1_11comp_targetILNS1_3genE3ELNS1_11target_archE908ELNS1_3gpuE7ELNS1_3repE0EEENS1_30default_config_static_selectorELNS0_4arch9wavefront6targetE0EEEvT1_,"axG",@progbits,_ZN7rocprim17ROCPRIM_400000_NS6detail17trampoline_kernelINS0_14default_configENS1_25partition_config_selectorILNS1_17partition_subalgoE9EllbEEZZNS1_14partition_implILS5_9ELb0ES3_jPKlN6thrust23THRUST_200600_302600_NS17counting_iteratorIlNSB_11use_defaultESD_SD_EEPNS0_10empty_typeENS0_5tupleIJPlSF_EEENSH_IJSI_SG_EEENS0_18inequality_wrapperIN6hipcub16HIPCUB_304000_NS8EqualityEEESI_JSF_EEE10hipError_tPvRmT3_T4_T5_T6_T7_T9_mT8_P12ihipStream_tbDpT10_ENKUlT_T0_E_clISt17integral_constantIbLb1EES18_IbLb0EEEEDaS14_S15_EUlS14_E_NS1_11comp_targetILNS1_3genE3ELNS1_11target_archE908ELNS1_3gpuE7ELNS1_3repE0EEENS1_30default_config_static_selectorELNS0_4arch9wavefront6targetE0EEEvT1_,comdat
	.protected	_ZN7rocprim17ROCPRIM_400000_NS6detail17trampoline_kernelINS0_14default_configENS1_25partition_config_selectorILNS1_17partition_subalgoE9EllbEEZZNS1_14partition_implILS5_9ELb0ES3_jPKlN6thrust23THRUST_200600_302600_NS17counting_iteratorIlNSB_11use_defaultESD_SD_EEPNS0_10empty_typeENS0_5tupleIJPlSF_EEENSH_IJSI_SG_EEENS0_18inequality_wrapperIN6hipcub16HIPCUB_304000_NS8EqualityEEESI_JSF_EEE10hipError_tPvRmT3_T4_T5_T6_T7_T9_mT8_P12ihipStream_tbDpT10_ENKUlT_T0_E_clISt17integral_constantIbLb1EES18_IbLb0EEEEDaS14_S15_EUlS14_E_NS1_11comp_targetILNS1_3genE3ELNS1_11target_archE908ELNS1_3gpuE7ELNS1_3repE0EEENS1_30default_config_static_selectorELNS0_4arch9wavefront6targetE0EEEvT1_ ; -- Begin function _ZN7rocprim17ROCPRIM_400000_NS6detail17trampoline_kernelINS0_14default_configENS1_25partition_config_selectorILNS1_17partition_subalgoE9EllbEEZZNS1_14partition_implILS5_9ELb0ES3_jPKlN6thrust23THRUST_200600_302600_NS17counting_iteratorIlNSB_11use_defaultESD_SD_EEPNS0_10empty_typeENS0_5tupleIJPlSF_EEENSH_IJSI_SG_EEENS0_18inequality_wrapperIN6hipcub16HIPCUB_304000_NS8EqualityEEESI_JSF_EEE10hipError_tPvRmT3_T4_T5_T6_T7_T9_mT8_P12ihipStream_tbDpT10_ENKUlT_T0_E_clISt17integral_constantIbLb1EES18_IbLb0EEEEDaS14_S15_EUlS14_E_NS1_11comp_targetILNS1_3genE3ELNS1_11target_archE908ELNS1_3gpuE7ELNS1_3repE0EEENS1_30default_config_static_selectorELNS0_4arch9wavefront6targetE0EEEvT1_
	.globl	_ZN7rocprim17ROCPRIM_400000_NS6detail17trampoline_kernelINS0_14default_configENS1_25partition_config_selectorILNS1_17partition_subalgoE9EllbEEZZNS1_14partition_implILS5_9ELb0ES3_jPKlN6thrust23THRUST_200600_302600_NS17counting_iteratorIlNSB_11use_defaultESD_SD_EEPNS0_10empty_typeENS0_5tupleIJPlSF_EEENSH_IJSI_SG_EEENS0_18inequality_wrapperIN6hipcub16HIPCUB_304000_NS8EqualityEEESI_JSF_EEE10hipError_tPvRmT3_T4_T5_T6_T7_T9_mT8_P12ihipStream_tbDpT10_ENKUlT_T0_E_clISt17integral_constantIbLb1EES18_IbLb0EEEEDaS14_S15_EUlS14_E_NS1_11comp_targetILNS1_3genE3ELNS1_11target_archE908ELNS1_3gpuE7ELNS1_3repE0EEENS1_30default_config_static_selectorELNS0_4arch9wavefront6targetE0EEEvT1_
	.p2align	8
	.type	_ZN7rocprim17ROCPRIM_400000_NS6detail17trampoline_kernelINS0_14default_configENS1_25partition_config_selectorILNS1_17partition_subalgoE9EllbEEZZNS1_14partition_implILS5_9ELb0ES3_jPKlN6thrust23THRUST_200600_302600_NS17counting_iteratorIlNSB_11use_defaultESD_SD_EEPNS0_10empty_typeENS0_5tupleIJPlSF_EEENSH_IJSI_SG_EEENS0_18inequality_wrapperIN6hipcub16HIPCUB_304000_NS8EqualityEEESI_JSF_EEE10hipError_tPvRmT3_T4_T5_T6_T7_T9_mT8_P12ihipStream_tbDpT10_ENKUlT_T0_E_clISt17integral_constantIbLb1EES18_IbLb0EEEEDaS14_S15_EUlS14_E_NS1_11comp_targetILNS1_3genE3ELNS1_11target_archE908ELNS1_3gpuE7ELNS1_3repE0EEENS1_30default_config_static_selectorELNS0_4arch9wavefront6targetE0EEEvT1_,@function
_ZN7rocprim17ROCPRIM_400000_NS6detail17trampoline_kernelINS0_14default_configENS1_25partition_config_selectorILNS1_17partition_subalgoE9EllbEEZZNS1_14partition_implILS5_9ELb0ES3_jPKlN6thrust23THRUST_200600_302600_NS17counting_iteratorIlNSB_11use_defaultESD_SD_EEPNS0_10empty_typeENS0_5tupleIJPlSF_EEENSH_IJSI_SG_EEENS0_18inequality_wrapperIN6hipcub16HIPCUB_304000_NS8EqualityEEESI_JSF_EEE10hipError_tPvRmT3_T4_T5_T6_T7_T9_mT8_P12ihipStream_tbDpT10_ENKUlT_T0_E_clISt17integral_constantIbLb1EES18_IbLb0EEEEDaS14_S15_EUlS14_E_NS1_11comp_targetILNS1_3genE3ELNS1_11target_archE908ELNS1_3gpuE7ELNS1_3repE0EEENS1_30default_config_static_selectorELNS0_4arch9wavefront6targetE0EEEvT1_: ; @_ZN7rocprim17ROCPRIM_400000_NS6detail17trampoline_kernelINS0_14default_configENS1_25partition_config_selectorILNS1_17partition_subalgoE9EllbEEZZNS1_14partition_implILS5_9ELb0ES3_jPKlN6thrust23THRUST_200600_302600_NS17counting_iteratorIlNSB_11use_defaultESD_SD_EEPNS0_10empty_typeENS0_5tupleIJPlSF_EEENSH_IJSI_SG_EEENS0_18inequality_wrapperIN6hipcub16HIPCUB_304000_NS8EqualityEEESI_JSF_EEE10hipError_tPvRmT3_T4_T5_T6_T7_T9_mT8_P12ihipStream_tbDpT10_ENKUlT_T0_E_clISt17integral_constantIbLb1EES18_IbLb0EEEEDaS14_S15_EUlS14_E_NS1_11comp_targetILNS1_3genE3ELNS1_11target_archE908ELNS1_3gpuE7ELNS1_3repE0EEENS1_30default_config_static_selectorELNS0_4arch9wavefront6targetE0EEEvT1_
; %bb.0:
	.section	.rodata,"a",@progbits
	.p2align	6, 0x0
	.amdhsa_kernel _ZN7rocprim17ROCPRIM_400000_NS6detail17trampoline_kernelINS0_14default_configENS1_25partition_config_selectorILNS1_17partition_subalgoE9EllbEEZZNS1_14partition_implILS5_9ELb0ES3_jPKlN6thrust23THRUST_200600_302600_NS17counting_iteratorIlNSB_11use_defaultESD_SD_EEPNS0_10empty_typeENS0_5tupleIJPlSF_EEENSH_IJSI_SG_EEENS0_18inequality_wrapperIN6hipcub16HIPCUB_304000_NS8EqualityEEESI_JSF_EEE10hipError_tPvRmT3_T4_T5_T6_T7_T9_mT8_P12ihipStream_tbDpT10_ENKUlT_T0_E_clISt17integral_constantIbLb1EES18_IbLb0EEEEDaS14_S15_EUlS14_E_NS1_11comp_targetILNS1_3genE3ELNS1_11target_archE908ELNS1_3gpuE7ELNS1_3repE0EEENS1_30default_config_static_selectorELNS0_4arch9wavefront6targetE0EEEvT1_
		.amdhsa_group_segment_fixed_size 0
		.amdhsa_private_segment_fixed_size 0
		.amdhsa_kernarg_size 112
		.amdhsa_user_sgpr_count 2
		.amdhsa_user_sgpr_dispatch_ptr 0
		.amdhsa_user_sgpr_queue_ptr 0
		.amdhsa_user_sgpr_kernarg_segment_ptr 1
		.amdhsa_user_sgpr_dispatch_id 0
		.amdhsa_user_sgpr_kernarg_preload_length 0
		.amdhsa_user_sgpr_kernarg_preload_offset 0
		.amdhsa_user_sgpr_private_segment_size 0
		.amdhsa_wavefront_size32 1
		.amdhsa_uses_dynamic_stack 0
		.amdhsa_enable_private_segment 0
		.amdhsa_system_sgpr_workgroup_id_x 1
		.amdhsa_system_sgpr_workgroup_id_y 0
		.amdhsa_system_sgpr_workgroup_id_z 0
		.amdhsa_system_sgpr_workgroup_info 0
		.amdhsa_system_vgpr_workitem_id 0
		.amdhsa_next_free_vgpr 1
		.amdhsa_next_free_sgpr 1
		.amdhsa_named_barrier_count 0
		.amdhsa_reserve_vcc 0
		.amdhsa_float_round_mode_32 0
		.amdhsa_float_round_mode_16_64 0
		.amdhsa_float_denorm_mode_32 3
		.amdhsa_float_denorm_mode_16_64 3
		.amdhsa_fp16_overflow 0
		.amdhsa_memory_ordered 1
		.amdhsa_forward_progress 1
		.amdhsa_inst_pref_size 0
		.amdhsa_round_robin_scheduling 0
		.amdhsa_exception_fp_ieee_invalid_op 0
		.amdhsa_exception_fp_denorm_src 0
		.amdhsa_exception_fp_ieee_div_zero 0
		.amdhsa_exception_fp_ieee_overflow 0
		.amdhsa_exception_fp_ieee_underflow 0
		.amdhsa_exception_fp_ieee_inexact 0
		.amdhsa_exception_int_div_zero 0
	.end_amdhsa_kernel
	.section	.text._ZN7rocprim17ROCPRIM_400000_NS6detail17trampoline_kernelINS0_14default_configENS1_25partition_config_selectorILNS1_17partition_subalgoE9EllbEEZZNS1_14partition_implILS5_9ELb0ES3_jPKlN6thrust23THRUST_200600_302600_NS17counting_iteratorIlNSB_11use_defaultESD_SD_EEPNS0_10empty_typeENS0_5tupleIJPlSF_EEENSH_IJSI_SG_EEENS0_18inequality_wrapperIN6hipcub16HIPCUB_304000_NS8EqualityEEESI_JSF_EEE10hipError_tPvRmT3_T4_T5_T6_T7_T9_mT8_P12ihipStream_tbDpT10_ENKUlT_T0_E_clISt17integral_constantIbLb1EES18_IbLb0EEEEDaS14_S15_EUlS14_E_NS1_11comp_targetILNS1_3genE3ELNS1_11target_archE908ELNS1_3gpuE7ELNS1_3repE0EEENS1_30default_config_static_selectorELNS0_4arch9wavefront6targetE0EEEvT1_,"axG",@progbits,_ZN7rocprim17ROCPRIM_400000_NS6detail17trampoline_kernelINS0_14default_configENS1_25partition_config_selectorILNS1_17partition_subalgoE9EllbEEZZNS1_14partition_implILS5_9ELb0ES3_jPKlN6thrust23THRUST_200600_302600_NS17counting_iteratorIlNSB_11use_defaultESD_SD_EEPNS0_10empty_typeENS0_5tupleIJPlSF_EEENSH_IJSI_SG_EEENS0_18inequality_wrapperIN6hipcub16HIPCUB_304000_NS8EqualityEEESI_JSF_EEE10hipError_tPvRmT3_T4_T5_T6_T7_T9_mT8_P12ihipStream_tbDpT10_ENKUlT_T0_E_clISt17integral_constantIbLb1EES18_IbLb0EEEEDaS14_S15_EUlS14_E_NS1_11comp_targetILNS1_3genE3ELNS1_11target_archE908ELNS1_3gpuE7ELNS1_3repE0EEENS1_30default_config_static_selectorELNS0_4arch9wavefront6targetE0EEEvT1_,comdat
.Lfunc_end63:
	.size	_ZN7rocprim17ROCPRIM_400000_NS6detail17trampoline_kernelINS0_14default_configENS1_25partition_config_selectorILNS1_17partition_subalgoE9EllbEEZZNS1_14partition_implILS5_9ELb0ES3_jPKlN6thrust23THRUST_200600_302600_NS17counting_iteratorIlNSB_11use_defaultESD_SD_EEPNS0_10empty_typeENS0_5tupleIJPlSF_EEENSH_IJSI_SG_EEENS0_18inequality_wrapperIN6hipcub16HIPCUB_304000_NS8EqualityEEESI_JSF_EEE10hipError_tPvRmT3_T4_T5_T6_T7_T9_mT8_P12ihipStream_tbDpT10_ENKUlT_T0_E_clISt17integral_constantIbLb1EES18_IbLb0EEEEDaS14_S15_EUlS14_E_NS1_11comp_targetILNS1_3genE3ELNS1_11target_archE908ELNS1_3gpuE7ELNS1_3repE0EEENS1_30default_config_static_selectorELNS0_4arch9wavefront6targetE0EEEvT1_, .Lfunc_end63-_ZN7rocprim17ROCPRIM_400000_NS6detail17trampoline_kernelINS0_14default_configENS1_25partition_config_selectorILNS1_17partition_subalgoE9EllbEEZZNS1_14partition_implILS5_9ELb0ES3_jPKlN6thrust23THRUST_200600_302600_NS17counting_iteratorIlNSB_11use_defaultESD_SD_EEPNS0_10empty_typeENS0_5tupleIJPlSF_EEENSH_IJSI_SG_EEENS0_18inequality_wrapperIN6hipcub16HIPCUB_304000_NS8EqualityEEESI_JSF_EEE10hipError_tPvRmT3_T4_T5_T6_T7_T9_mT8_P12ihipStream_tbDpT10_ENKUlT_T0_E_clISt17integral_constantIbLb1EES18_IbLb0EEEEDaS14_S15_EUlS14_E_NS1_11comp_targetILNS1_3genE3ELNS1_11target_archE908ELNS1_3gpuE7ELNS1_3repE0EEENS1_30default_config_static_selectorELNS0_4arch9wavefront6targetE0EEEvT1_
                                        ; -- End function
	.set _ZN7rocprim17ROCPRIM_400000_NS6detail17trampoline_kernelINS0_14default_configENS1_25partition_config_selectorILNS1_17partition_subalgoE9EllbEEZZNS1_14partition_implILS5_9ELb0ES3_jPKlN6thrust23THRUST_200600_302600_NS17counting_iteratorIlNSB_11use_defaultESD_SD_EEPNS0_10empty_typeENS0_5tupleIJPlSF_EEENSH_IJSI_SG_EEENS0_18inequality_wrapperIN6hipcub16HIPCUB_304000_NS8EqualityEEESI_JSF_EEE10hipError_tPvRmT3_T4_T5_T6_T7_T9_mT8_P12ihipStream_tbDpT10_ENKUlT_T0_E_clISt17integral_constantIbLb1EES18_IbLb0EEEEDaS14_S15_EUlS14_E_NS1_11comp_targetILNS1_3genE3ELNS1_11target_archE908ELNS1_3gpuE7ELNS1_3repE0EEENS1_30default_config_static_selectorELNS0_4arch9wavefront6targetE0EEEvT1_.num_vgpr, 0
	.set _ZN7rocprim17ROCPRIM_400000_NS6detail17trampoline_kernelINS0_14default_configENS1_25partition_config_selectorILNS1_17partition_subalgoE9EllbEEZZNS1_14partition_implILS5_9ELb0ES3_jPKlN6thrust23THRUST_200600_302600_NS17counting_iteratorIlNSB_11use_defaultESD_SD_EEPNS0_10empty_typeENS0_5tupleIJPlSF_EEENSH_IJSI_SG_EEENS0_18inequality_wrapperIN6hipcub16HIPCUB_304000_NS8EqualityEEESI_JSF_EEE10hipError_tPvRmT3_T4_T5_T6_T7_T9_mT8_P12ihipStream_tbDpT10_ENKUlT_T0_E_clISt17integral_constantIbLb1EES18_IbLb0EEEEDaS14_S15_EUlS14_E_NS1_11comp_targetILNS1_3genE3ELNS1_11target_archE908ELNS1_3gpuE7ELNS1_3repE0EEENS1_30default_config_static_selectorELNS0_4arch9wavefront6targetE0EEEvT1_.num_agpr, 0
	.set _ZN7rocprim17ROCPRIM_400000_NS6detail17trampoline_kernelINS0_14default_configENS1_25partition_config_selectorILNS1_17partition_subalgoE9EllbEEZZNS1_14partition_implILS5_9ELb0ES3_jPKlN6thrust23THRUST_200600_302600_NS17counting_iteratorIlNSB_11use_defaultESD_SD_EEPNS0_10empty_typeENS0_5tupleIJPlSF_EEENSH_IJSI_SG_EEENS0_18inequality_wrapperIN6hipcub16HIPCUB_304000_NS8EqualityEEESI_JSF_EEE10hipError_tPvRmT3_T4_T5_T6_T7_T9_mT8_P12ihipStream_tbDpT10_ENKUlT_T0_E_clISt17integral_constantIbLb1EES18_IbLb0EEEEDaS14_S15_EUlS14_E_NS1_11comp_targetILNS1_3genE3ELNS1_11target_archE908ELNS1_3gpuE7ELNS1_3repE0EEENS1_30default_config_static_selectorELNS0_4arch9wavefront6targetE0EEEvT1_.numbered_sgpr, 0
	.set _ZN7rocprim17ROCPRIM_400000_NS6detail17trampoline_kernelINS0_14default_configENS1_25partition_config_selectorILNS1_17partition_subalgoE9EllbEEZZNS1_14partition_implILS5_9ELb0ES3_jPKlN6thrust23THRUST_200600_302600_NS17counting_iteratorIlNSB_11use_defaultESD_SD_EEPNS0_10empty_typeENS0_5tupleIJPlSF_EEENSH_IJSI_SG_EEENS0_18inequality_wrapperIN6hipcub16HIPCUB_304000_NS8EqualityEEESI_JSF_EEE10hipError_tPvRmT3_T4_T5_T6_T7_T9_mT8_P12ihipStream_tbDpT10_ENKUlT_T0_E_clISt17integral_constantIbLb1EES18_IbLb0EEEEDaS14_S15_EUlS14_E_NS1_11comp_targetILNS1_3genE3ELNS1_11target_archE908ELNS1_3gpuE7ELNS1_3repE0EEENS1_30default_config_static_selectorELNS0_4arch9wavefront6targetE0EEEvT1_.num_named_barrier, 0
	.set _ZN7rocprim17ROCPRIM_400000_NS6detail17trampoline_kernelINS0_14default_configENS1_25partition_config_selectorILNS1_17partition_subalgoE9EllbEEZZNS1_14partition_implILS5_9ELb0ES3_jPKlN6thrust23THRUST_200600_302600_NS17counting_iteratorIlNSB_11use_defaultESD_SD_EEPNS0_10empty_typeENS0_5tupleIJPlSF_EEENSH_IJSI_SG_EEENS0_18inequality_wrapperIN6hipcub16HIPCUB_304000_NS8EqualityEEESI_JSF_EEE10hipError_tPvRmT3_T4_T5_T6_T7_T9_mT8_P12ihipStream_tbDpT10_ENKUlT_T0_E_clISt17integral_constantIbLb1EES18_IbLb0EEEEDaS14_S15_EUlS14_E_NS1_11comp_targetILNS1_3genE3ELNS1_11target_archE908ELNS1_3gpuE7ELNS1_3repE0EEENS1_30default_config_static_selectorELNS0_4arch9wavefront6targetE0EEEvT1_.private_seg_size, 0
	.set _ZN7rocprim17ROCPRIM_400000_NS6detail17trampoline_kernelINS0_14default_configENS1_25partition_config_selectorILNS1_17partition_subalgoE9EllbEEZZNS1_14partition_implILS5_9ELb0ES3_jPKlN6thrust23THRUST_200600_302600_NS17counting_iteratorIlNSB_11use_defaultESD_SD_EEPNS0_10empty_typeENS0_5tupleIJPlSF_EEENSH_IJSI_SG_EEENS0_18inequality_wrapperIN6hipcub16HIPCUB_304000_NS8EqualityEEESI_JSF_EEE10hipError_tPvRmT3_T4_T5_T6_T7_T9_mT8_P12ihipStream_tbDpT10_ENKUlT_T0_E_clISt17integral_constantIbLb1EES18_IbLb0EEEEDaS14_S15_EUlS14_E_NS1_11comp_targetILNS1_3genE3ELNS1_11target_archE908ELNS1_3gpuE7ELNS1_3repE0EEENS1_30default_config_static_selectorELNS0_4arch9wavefront6targetE0EEEvT1_.uses_vcc, 0
	.set _ZN7rocprim17ROCPRIM_400000_NS6detail17trampoline_kernelINS0_14default_configENS1_25partition_config_selectorILNS1_17partition_subalgoE9EllbEEZZNS1_14partition_implILS5_9ELb0ES3_jPKlN6thrust23THRUST_200600_302600_NS17counting_iteratorIlNSB_11use_defaultESD_SD_EEPNS0_10empty_typeENS0_5tupleIJPlSF_EEENSH_IJSI_SG_EEENS0_18inequality_wrapperIN6hipcub16HIPCUB_304000_NS8EqualityEEESI_JSF_EEE10hipError_tPvRmT3_T4_T5_T6_T7_T9_mT8_P12ihipStream_tbDpT10_ENKUlT_T0_E_clISt17integral_constantIbLb1EES18_IbLb0EEEEDaS14_S15_EUlS14_E_NS1_11comp_targetILNS1_3genE3ELNS1_11target_archE908ELNS1_3gpuE7ELNS1_3repE0EEENS1_30default_config_static_selectorELNS0_4arch9wavefront6targetE0EEEvT1_.uses_flat_scratch, 0
	.set _ZN7rocprim17ROCPRIM_400000_NS6detail17trampoline_kernelINS0_14default_configENS1_25partition_config_selectorILNS1_17partition_subalgoE9EllbEEZZNS1_14partition_implILS5_9ELb0ES3_jPKlN6thrust23THRUST_200600_302600_NS17counting_iteratorIlNSB_11use_defaultESD_SD_EEPNS0_10empty_typeENS0_5tupleIJPlSF_EEENSH_IJSI_SG_EEENS0_18inequality_wrapperIN6hipcub16HIPCUB_304000_NS8EqualityEEESI_JSF_EEE10hipError_tPvRmT3_T4_T5_T6_T7_T9_mT8_P12ihipStream_tbDpT10_ENKUlT_T0_E_clISt17integral_constantIbLb1EES18_IbLb0EEEEDaS14_S15_EUlS14_E_NS1_11comp_targetILNS1_3genE3ELNS1_11target_archE908ELNS1_3gpuE7ELNS1_3repE0EEENS1_30default_config_static_selectorELNS0_4arch9wavefront6targetE0EEEvT1_.has_dyn_sized_stack, 0
	.set _ZN7rocprim17ROCPRIM_400000_NS6detail17trampoline_kernelINS0_14default_configENS1_25partition_config_selectorILNS1_17partition_subalgoE9EllbEEZZNS1_14partition_implILS5_9ELb0ES3_jPKlN6thrust23THRUST_200600_302600_NS17counting_iteratorIlNSB_11use_defaultESD_SD_EEPNS0_10empty_typeENS0_5tupleIJPlSF_EEENSH_IJSI_SG_EEENS0_18inequality_wrapperIN6hipcub16HIPCUB_304000_NS8EqualityEEESI_JSF_EEE10hipError_tPvRmT3_T4_T5_T6_T7_T9_mT8_P12ihipStream_tbDpT10_ENKUlT_T0_E_clISt17integral_constantIbLb1EES18_IbLb0EEEEDaS14_S15_EUlS14_E_NS1_11comp_targetILNS1_3genE3ELNS1_11target_archE908ELNS1_3gpuE7ELNS1_3repE0EEENS1_30default_config_static_selectorELNS0_4arch9wavefront6targetE0EEEvT1_.has_recursion, 0
	.set _ZN7rocprim17ROCPRIM_400000_NS6detail17trampoline_kernelINS0_14default_configENS1_25partition_config_selectorILNS1_17partition_subalgoE9EllbEEZZNS1_14partition_implILS5_9ELb0ES3_jPKlN6thrust23THRUST_200600_302600_NS17counting_iteratorIlNSB_11use_defaultESD_SD_EEPNS0_10empty_typeENS0_5tupleIJPlSF_EEENSH_IJSI_SG_EEENS0_18inequality_wrapperIN6hipcub16HIPCUB_304000_NS8EqualityEEESI_JSF_EEE10hipError_tPvRmT3_T4_T5_T6_T7_T9_mT8_P12ihipStream_tbDpT10_ENKUlT_T0_E_clISt17integral_constantIbLb1EES18_IbLb0EEEEDaS14_S15_EUlS14_E_NS1_11comp_targetILNS1_3genE3ELNS1_11target_archE908ELNS1_3gpuE7ELNS1_3repE0EEENS1_30default_config_static_selectorELNS0_4arch9wavefront6targetE0EEEvT1_.has_indirect_call, 0
	.section	.AMDGPU.csdata,"",@progbits
; Kernel info:
; codeLenInByte = 0
; TotalNumSgprs: 0
; NumVgprs: 0
; ScratchSize: 0
; MemoryBound: 0
; FloatMode: 240
; IeeeMode: 1
; LDSByteSize: 0 bytes/workgroup (compile time only)
; SGPRBlocks: 0
; VGPRBlocks: 0
; NumSGPRsForWavesPerEU: 1
; NumVGPRsForWavesPerEU: 1
; NamedBarCnt: 0
; Occupancy: 16
; WaveLimiterHint : 0
; COMPUTE_PGM_RSRC2:SCRATCH_EN: 0
; COMPUTE_PGM_RSRC2:USER_SGPR: 2
; COMPUTE_PGM_RSRC2:TRAP_HANDLER: 0
; COMPUTE_PGM_RSRC2:TGID_X_EN: 1
; COMPUTE_PGM_RSRC2:TGID_Y_EN: 0
; COMPUTE_PGM_RSRC2:TGID_Z_EN: 0
; COMPUTE_PGM_RSRC2:TIDIG_COMP_CNT: 0
	.section	.text._ZN7rocprim17ROCPRIM_400000_NS6detail17trampoline_kernelINS0_14default_configENS1_25partition_config_selectorILNS1_17partition_subalgoE9EllbEEZZNS1_14partition_implILS5_9ELb0ES3_jPKlN6thrust23THRUST_200600_302600_NS17counting_iteratorIlNSB_11use_defaultESD_SD_EEPNS0_10empty_typeENS0_5tupleIJPlSF_EEENSH_IJSI_SG_EEENS0_18inequality_wrapperIN6hipcub16HIPCUB_304000_NS8EqualityEEESI_JSF_EEE10hipError_tPvRmT3_T4_T5_T6_T7_T9_mT8_P12ihipStream_tbDpT10_ENKUlT_T0_E_clISt17integral_constantIbLb1EES18_IbLb0EEEEDaS14_S15_EUlS14_E_NS1_11comp_targetILNS1_3genE2ELNS1_11target_archE906ELNS1_3gpuE6ELNS1_3repE0EEENS1_30default_config_static_selectorELNS0_4arch9wavefront6targetE0EEEvT1_,"axG",@progbits,_ZN7rocprim17ROCPRIM_400000_NS6detail17trampoline_kernelINS0_14default_configENS1_25partition_config_selectorILNS1_17partition_subalgoE9EllbEEZZNS1_14partition_implILS5_9ELb0ES3_jPKlN6thrust23THRUST_200600_302600_NS17counting_iteratorIlNSB_11use_defaultESD_SD_EEPNS0_10empty_typeENS0_5tupleIJPlSF_EEENSH_IJSI_SG_EEENS0_18inequality_wrapperIN6hipcub16HIPCUB_304000_NS8EqualityEEESI_JSF_EEE10hipError_tPvRmT3_T4_T5_T6_T7_T9_mT8_P12ihipStream_tbDpT10_ENKUlT_T0_E_clISt17integral_constantIbLb1EES18_IbLb0EEEEDaS14_S15_EUlS14_E_NS1_11comp_targetILNS1_3genE2ELNS1_11target_archE906ELNS1_3gpuE6ELNS1_3repE0EEENS1_30default_config_static_selectorELNS0_4arch9wavefront6targetE0EEEvT1_,comdat
	.protected	_ZN7rocprim17ROCPRIM_400000_NS6detail17trampoline_kernelINS0_14default_configENS1_25partition_config_selectorILNS1_17partition_subalgoE9EllbEEZZNS1_14partition_implILS5_9ELb0ES3_jPKlN6thrust23THRUST_200600_302600_NS17counting_iteratorIlNSB_11use_defaultESD_SD_EEPNS0_10empty_typeENS0_5tupleIJPlSF_EEENSH_IJSI_SG_EEENS0_18inequality_wrapperIN6hipcub16HIPCUB_304000_NS8EqualityEEESI_JSF_EEE10hipError_tPvRmT3_T4_T5_T6_T7_T9_mT8_P12ihipStream_tbDpT10_ENKUlT_T0_E_clISt17integral_constantIbLb1EES18_IbLb0EEEEDaS14_S15_EUlS14_E_NS1_11comp_targetILNS1_3genE2ELNS1_11target_archE906ELNS1_3gpuE6ELNS1_3repE0EEENS1_30default_config_static_selectorELNS0_4arch9wavefront6targetE0EEEvT1_ ; -- Begin function _ZN7rocprim17ROCPRIM_400000_NS6detail17trampoline_kernelINS0_14default_configENS1_25partition_config_selectorILNS1_17partition_subalgoE9EllbEEZZNS1_14partition_implILS5_9ELb0ES3_jPKlN6thrust23THRUST_200600_302600_NS17counting_iteratorIlNSB_11use_defaultESD_SD_EEPNS0_10empty_typeENS0_5tupleIJPlSF_EEENSH_IJSI_SG_EEENS0_18inequality_wrapperIN6hipcub16HIPCUB_304000_NS8EqualityEEESI_JSF_EEE10hipError_tPvRmT3_T4_T5_T6_T7_T9_mT8_P12ihipStream_tbDpT10_ENKUlT_T0_E_clISt17integral_constantIbLb1EES18_IbLb0EEEEDaS14_S15_EUlS14_E_NS1_11comp_targetILNS1_3genE2ELNS1_11target_archE906ELNS1_3gpuE6ELNS1_3repE0EEENS1_30default_config_static_selectorELNS0_4arch9wavefront6targetE0EEEvT1_
	.globl	_ZN7rocprim17ROCPRIM_400000_NS6detail17trampoline_kernelINS0_14default_configENS1_25partition_config_selectorILNS1_17partition_subalgoE9EllbEEZZNS1_14partition_implILS5_9ELb0ES3_jPKlN6thrust23THRUST_200600_302600_NS17counting_iteratorIlNSB_11use_defaultESD_SD_EEPNS0_10empty_typeENS0_5tupleIJPlSF_EEENSH_IJSI_SG_EEENS0_18inequality_wrapperIN6hipcub16HIPCUB_304000_NS8EqualityEEESI_JSF_EEE10hipError_tPvRmT3_T4_T5_T6_T7_T9_mT8_P12ihipStream_tbDpT10_ENKUlT_T0_E_clISt17integral_constantIbLb1EES18_IbLb0EEEEDaS14_S15_EUlS14_E_NS1_11comp_targetILNS1_3genE2ELNS1_11target_archE906ELNS1_3gpuE6ELNS1_3repE0EEENS1_30default_config_static_selectorELNS0_4arch9wavefront6targetE0EEEvT1_
	.p2align	8
	.type	_ZN7rocprim17ROCPRIM_400000_NS6detail17trampoline_kernelINS0_14default_configENS1_25partition_config_selectorILNS1_17partition_subalgoE9EllbEEZZNS1_14partition_implILS5_9ELb0ES3_jPKlN6thrust23THRUST_200600_302600_NS17counting_iteratorIlNSB_11use_defaultESD_SD_EEPNS0_10empty_typeENS0_5tupleIJPlSF_EEENSH_IJSI_SG_EEENS0_18inequality_wrapperIN6hipcub16HIPCUB_304000_NS8EqualityEEESI_JSF_EEE10hipError_tPvRmT3_T4_T5_T6_T7_T9_mT8_P12ihipStream_tbDpT10_ENKUlT_T0_E_clISt17integral_constantIbLb1EES18_IbLb0EEEEDaS14_S15_EUlS14_E_NS1_11comp_targetILNS1_3genE2ELNS1_11target_archE906ELNS1_3gpuE6ELNS1_3repE0EEENS1_30default_config_static_selectorELNS0_4arch9wavefront6targetE0EEEvT1_,@function
_ZN7rocprim17ROCPRIM_400000_NS6detail17trampoline_kernelINS0_14default_configENS1_25partition_config_selectorILNS1_17partition_subalgoE9EllbEEZZNS1_14partition_implILS5_9ELb0ES3_jPKlN6thrust23THRUST_200600_302600_NS17counting_iteratorIlNSB_11use_defaultESD_SD_EEPNS0_10empty_typeENS0_5tupleIJPlSF_EEENSH_IJSI_SG_EEENS0_18inequality_wrapperIN6hipcub16HIPCUB_304000_NS8EqualityEEESI_JSF_EEE10hipError_tPvRmT3_T4_T5_T6_T7_T9_mT8_P12ihipStream_tbDpT10_ENKUlT_T0_E_clISt17integral_constantIbLb1EES18_IbLb0EEEEDaS14_S15_EUlS14_E_NS1_11comp_targetILNS1_3genE2ELNS1_11target_archE906ELNS1_3gpuE6ELNS1_3repE0EEENS1_30default_config_static_selectorELNS0_4arch9wavefront6targetE0EEEvT1_: ; @_ZN7rocprim17ROCPRIM_400000_NS6detail17trampoline_kernelINS0_14default_configENS1_25partition_config_selectorILNS1_17partition_subalgoE9EllbEEZZNS1_14partition_implILS5_9ELb0ES3_jPKlN6thrust23THRUST_200600_302600_NS17counting_iteratorIlNSB_11use_defaultESD_SD_EEPNS0_10empty_typeENS0_5tupleIJPlSF_EEENSH_IJSI_SG_EEENS0_18inequality_wrapperIN6hipcub16HIPCUB_304000_NS8EqualityEEESI_JSF_EEE10hipError_tPvRmT3_T4_T5_T6_T7_T9_mT8_P12ihipStream_tbDpT10_ENKUlT_T0_E_clISt17integral_constantIbLb1EES18_IbLb0EEEEDaS14_S15_EUlS14_E_NS1_11comp_targetILNS1_3genE2ELNS1_11target_archE906ELNS1_3gpuE6ELNS1_3repE0EEENS1_30default_config_static_selectorELNS0_4arch9wavefront6targetE0EEEvT1_
; %bb.0:
	.section	.rodata,"a",@progbits
	.p2align	6, 0x0
	.amdhsa_kernel _ZN7rocprim17ROCPRIM_400000_NS6detail17trampoline_kernelINS0_14default_configENS1_25partition_config_selectorILNS1_17partition_subalgoE9EllbEEZZNS1_14partition_implILS5_9ELb0ES3_jPKlN6thrust23THRUST_200600_302600_NS17counting_iteratorIlNSB_11use_defaultESD_SD_EEPNS0_10empty_typeENS0_5tupleIJPlSF_EEENSH_IJSI_SG_EEENS0_18inequality_wrapperIN6hipcub16HIPCUB_304000_NS8EqualityEEESI_JSF_EEE10hipError_tPvRmT3_T4_T5_T6_T7_T9_mT8_P12ihipStream_tbDpT10_ENKUlT_T0_E_clISt17integral_constantIbLb1EES18_IbLb0EEEEDaS14_S15_EUlS14_E_NS1_11comp_targetILNS1_3genE2ELNS1_11target_archE906ELNS1_3gpuE6ELNS1_3repE0EEENS1_30default_config_static_selectorELNS0_4arch9wavefront6targetE0EEEvT1_
		.amdhsa_group_segment_fixed_size 0
		.amdhsa_private_segment_fixed_size 0
		.amdhsa_kernarg_size 112
		.amdhsa_user_sgpr_count 2
		.amdhsa_user_sgpr_dispatch_ptr 0
		.amdhsa_user_sgpr_queue_ptr 0
		.amdhsa_user_sgpr_kernarg_segment_ptr 1
		.amdhsa_user_sgpr_dispatch_id 0
		.amdhsa_user_sgpr_kernarg_preload_length 0
		.amdhsa_user_sgpr_kernarg_preload_offset 0
		.amdhsa_user_sgpr_private_segment_size 0
		.amdhsa_wavefront_size32 1
		.amdhsa_uses_dynamic_stack 0
		.amdhsa_enable_private_segment 0
		.amdhsa_system_sgpr_workgroup_id_x 1
		.amdhsa_system_sgpr_workgroup_id_y 0
		.amdhsa_system_sgpr_workgroup_id_z 0
		.amdhsa_system_sgpr_workgroup_info 0
		.amdhsa_system_vgpr_workitem_id 0
		.amdhsa_next_free_vgpr 1
		.amdhsa_next_free_sgpr 1
		.amdhsa_named_barrier_count 0
		.amdhsa_reserve_vcc 0
		.amdhsa_float_round_mode_32 0
		.amdhsa_float_round_mode_16_64 0
		.amdhsa_float_denorm_mode_32 3
		.amdhsa_float_denorm_mode_16_64 3
		.amdhsa_fp16_overflow 0
		.amdhsa_memory_ordered 1
		.amdhsa_forward_progress 1
		.amdhsa_inst_pref_size 0
		.amdhsa_round_robin_scheduling 0
		.amdhsa_exception_fp_ieee_invalid_op 0
		.amdhsa_exception_fp_denorm_src 0
		.amdhsa_exception_fp_ieee_div_zero 0
		.amdhsa_exception_fp_ieee_overflow 0
		.amdhsa_exception_fp_ieee_underflow 0
		.amdhsa_exception_fp_ieee_inexact 0
		.amdhsa_exception_int_div_zero 0
	.end_amdhsa_kernel
	.section	.text._ZN7rocprim17ROCPRIM_400000_NS6detail17trampoline_kernelINS0_14default_configENS1_25partition_config_selectorILNS1_17partition_subalgoE9EllbEEZZNS1_14partition_implILS5_9ELb0ES3_jPKlN6thrust23THRUST_200600_302600_NS17counting_iteratorIlNSB_11use_defaultESD_SD_EEPNS0_10empty_typeENS0_5tupleIJPlSF_EEENSH_IJSI_SG_EEENS0_18inequality_wrapperIN6hipcub16HIPCUB_304000_NS8EqualityEEESI_JSF_EEE10hipError_tPvRmT3_T4_T5_T6_T7_T9_mT8_P12ihipStream_tbDpT10_ENKUlT_T0_E_clISt17integral_constantIbLb1EES18_IbLb0EEEEDaS14_S15_EUlS14_E_NS1_11comp_targetILNS1_3genE2ELNS1_11target_archE906ELNS1_3gpuE6ELNS1_3repE0EEENS1_30default_config_static_selectorELNS0_4arch9wavefront6targetE0EEEvT1_,"axG",@progbits,_ZN7rocprim17ROCPRIM_400000_NS6detail17trampoline_kernelINS0_14default_configENS1_25partition_config_selectorILNS1_17partition_subalgoE9EllbEEZZNS1_14partition_implILS5_9ELb0ES3_jPKlN6thrust23THRUST_200600_302600_NS17counting_iteratorIlNSB_11use_defaultESD_SD_EEPNS0_10empty_typeENS0_5tupleIJPlSF_EEENSH_IJSI_SG_EEENS0_18inequality_wrapperIN6hipcub16HIPCUB_304000_NS8EqualityEEESI_JSF_EEE10hipError_tPvRmT3_T4_T5_T6_T7_T9_mT8_P12ihipStream_tbDpT10_ENKUlT_T0_E_clISt17integral_constantIbLb1EES18_IbLb0EEEEDaS14_S15_EUlS14_E_NS1_11comp_targetILNS1_3genE2ELNS1_11target_archE906ELNS1_3gpuE6ELNS1_3repE0EEENS1_30default_config_static_selectorELNS0_4arch9wavefront6targetE0EEEvT1_,comdat
.Lfunc_end64:
	.size	_ZN7rocprim17ROCPRIM_400000_NS6detail17trampoline_kernelINS0_14default_configENS1_25partition_config_selectorILNS1_17partition_subalgoE9EllbEEZZNS1_14partition_implILS5_9ELb0ES3_jPKlN6thrust23THRUST_200600_302600_NS17counting_iteratorIlNSB_11use_defaultESD_SD_EEPNS0_10empty_typeENS0_5tupleIJPlSF_EEENSH_IJSI_SG_EEENS0_18inequality_wrapperIN6hipcub16HIPCUB_304000_NS8EqualityEEESI_JSF_EEE10hipError_tPvRmT3_T4_T5_T6_T7_T9_mT8_P12ihipStream_tbDpT10_ENKUlT_T0_E_clISt17integral_constantIbLb1EES18_IbLb0EEEEDaS14_S15_EUlS14_E_NS1_11comp_targetILNS1_3genE2ELNS1_11target_archE906ELNS1_3gpuE6ELNS1_3repE0EEENS1_30default_config_static_selectorELNS0_4arch9wavefront6targetE0EEEvT1_, .Lfunc_end64-_ZN7rocprim17ROCPRIM_400000_NS6detail17trampoline_kernelINS0_14default_configENS1_25partition_config_selectorILNS1_17partition_subalgoE9EllbEEZZNS1_14partition_implILS5_9ELb0ES3_jPKlN6thrust23THRUST_200600_302600_NS17counting_iteratorIlNSB_11use_defaultESD_SD_EEPNS0_10empty_typeENS0_5tupleIJPlSF_EEENSH_IJSI_SG_EEENS0_18inequality_wrapperIN6hipcub16HIPCUB_304000_NS8EqualityEEESI_JSF_EEE10hipError_tPvRmT3_T4_T5_T6_T7_T9_mT8_P12ihipStream_tbDpT10_ENKUlT_T0_E_clISt17integral_constantIbLb1EES18_IbLb0EEEEDaS14_S15_EUlS14_E_NS1_11comp_targetILNS1_3genE2ELNS1_11target_archE906ELNS1_3gpuE6ELNS1_3repE0EEENS1_30default_config_static_selectorELNS0_4arch9wavefront6targetE0EEEvT1_
                                        ; -- End function
	.set _ZN7rocprim17ROCPRIM_400000_NS6detail17trampoline_kernelINS0_14default_configENS1_25partition_config_selectorILNS1_17partition_subalgoE9EllbEEZZNS1_14partition_implILS5_9ELb0ES3_jPKlN6thrust23THRUST_200600_302600_NS17counting_iteratorIlNSB_11use_defaultESD_SD_EEPNS0_10empty_typeENS0_5tupleIJPlSF_EEENSH_IJSI_SG_EEENS0_18inequality_wrapperIN6hipcub16HIPCUB_304000_NS8EqualityEEESI_JSF_EEE10hipError_tPvRmT3_T4_T5_T6_T7_T9_mT8_P12ihipStream_tbDpT10_ENKUlT_T0_E_clISt17integral_constantIbLb1EES18_IbLb0EEEEDaS14_S15_EUlS14_E_NS1_11comp_targetILNS1_3genE2ELNS1_11target_archE906ELNS1_3gpuE6ELNS1_3repE0EEENS1_30default_config_static_selectorELNS0_4arch9wavefront6targetE0EEEvT1_.num_vgpr, 0
	.set _ZN7rocprim17ROCPRIM_400000_NS6detail17trampoline_kernelINS0_14default_configENS1_25partition_config_selectorILNS1_17partition_subalgoE9EllbEEZZNS1_14partition_implILS5_9ELb0ES3_jPKlN6thrust23THRUST_200600_302600_NS17counting_iteratorIlNSB_11use_defaultESD_SD_EEPNS0_10empty_typeENS0_5tupleIJPlSF_EEENSH_IJSI_SG_EEENS0_18inequality_wrapperIN6hipcub16HIPCUB_304000_NS8EqualityEEESI_JSF_EEE10hipError_tPvRmT3_T4_T5_T6_T7_T9_mT8_P12ihipStream_tbDpT10_ENKUlT_T0_E_clISt17integral_constantIbLb1EES18_IbLb0EEEEDaS14_S15_EUlS14_E_NS1_11comp_targetILNS1_3genE2ELNS1_11target_archE906ELNS1_3gpuE6ELNS1_3repE0EEENS1_30default_config_static_selectorELNS0_4arch9wavefront6targetE0EEEvT1_.num_agpr, 0
	.set _ZN7rocprim17ROCPRIM_400000_NS6detail17trampoline_kernelINS0_14default_configENS1_25partition_config_selectorILNS1_17partition_subalgoE9EllbEEZZNS1_14partition_implILS5_9ELb0ES3_jPKlN6thrust23THRUST_200600_302600_NS17counting_iteratorIlNSB_11use_defaultESD_SD_EEPNS0_10empty_typeENS0_5tupleIJPlSF_EEENSH_IJSI_SG_EEENS0_18inequality_wrapperIN6hipcub16HIPCUB_304000_NS8EqualityEEESI_JSF_EEE10hipError_tPvRmT3_T4_T5_T6_T7_T9_mT8_P12ihipStream_tbDpT10_ENKUlT_T0_E_clISt17integral_constantIbLb1EES18_IbLb0EEEEDaS14_S15_EUlS14_E_NS1_11comp_targetILNS1_3genE2ELNS1_11target_archE906ELNS1_3gpuE6ELNS1_3repE0EEENS1_30default_config_static_selectorELNS0_4arch9wavefront6targetE0EEEvT1_.numbered_sgpr, 0
	.set _ZN7rocprim17ROCPRIM_400000_NS6detail17trampoline_kernelINS0_14default_configENS1_25partition_config_selectorILNS1_17partition_subalgoE9EllbEEZZNS1_14partition_implILS5_9ELb0ES3_jPKlN6thrust23THRUST_200600_302600_NS17counting_iteratorIlNSB_11use_defaultESD_SD_EEPNS0_10empty_typeENS0_5tupleIJPlSF_EEENSH_IJSI_SG_EEENS0_18inequality_wrapperIN6hipcub16HIPCUB_304000_NS8EqualityEEESI_JSF_EEE10hipError_tPvRmT3_T4_T5_T6_T7_T9_mT8_P12ihipStream_tbDpT10_ENKUlT_T0_E_clISt17integral_constantIbLb1EES18_IbLb0EEEEDaS14_S15_EUlS14_E_NS1_11comp_targetILNS1_3genE2ELNS1_11target_archE906ELNS1_3gpuE6ELNS1_3repE0EEENS1_30default_config_static_selectorELNS0_4arch9wavefront6targetE0EEEvT1_.num_named_barrier, 0
	.set _ZN7rocprim17ROCPRIM_400000_NS6detail17trampoline_kernelINS0_14default_configENS1_25partition_config_selectorILNS1_17partition_subalgoE9EllbEEZZNS1_14partition_implILS5_9ELb0ES3_jPKlN6thrust23THRUST_200600_302600_NS17counting_iteratorIlNSB_11use_defaultESD_SD_EEPNS0_10empty_typeENS0_5tupleIJPlSF_EEENSH_IJSI_SG_EEENS0_18inequality_wrapperIN6hipcub16HIPCUB_304000_NS8EqualityEEESI_JSF_EEE10hipError_tPvRmT3_T4_T5_T6_T7_T9_mT8_P12ihipStream_tbDpT10_ENKUlT_T0_E_clISt17integral_constantIbLb1EES18_IbLb0EEEEDaS14_S15_EUlS14_E_NS1_11comp_targetILNS1_3genE2ELNS1_11target_archE906ELNS1_3gpuE6ELNS1_3repE0EEENS1_30default_config_static_selectorELNS0_4arch9wavefront6targetE0EEEvT1_.private_seg_size, 0
	.set _ZN7rocprim17ROCPRIM_400000_NS6detail17trampoline_kernelINS0_14default_configENS1_25partition_config_selectorILNS1_17partition_subalgoE9EllbEEZZNS1_14partition_implILS5_9ELb0ES3_jPKlN6thrust23THRUST_200600_302600_NS17counting_iteratorIlNSB_11use_defaultESD_SD_EEPNS0_10empty_typeENS0_5tupleIJPlSF_EEENSH_IJSI_SG_EEENS0_18inequality_wrapperIN6hipcub16HIPCUB_304000_NS8EqualityEEESI_JSF_EEE10hipError_tPvRmT3_T4_T5_T6_T7_T9_mT8_P12ihipStream_tbDpT10_ENKUlT_T0_E_clISt17integral_constantIbLb1EES18_IbLb0EEEEDaS14_S15_EUlS14_E_NS1_11comp_targetILNS1_3genE2ELNS1_11target_archE906ELNS1_3gpuE6ELNS1_3repE0EEENS1_30default_config_static_selectorELNS0_4arch9wavefront6targetE0EEEvT1_.uses_vcc, 0
	.set _ZN7rocprim17ROCPRIM_400000_NS6detail17trampoline_kernelINS0_14default_configENS1_25partition_config_selectorILNS1_17partition_subalgoE9EllbEEZZNS1_14partition_implILS5_9ELb0ES3_jPKlN6thrust23THRUST_200600_302600_NS17counting_iteratorIlNSB_11use_defaultESD_SD_EEPNS0_10empty_typeENS0_5tupleIJPlSF_EEENSH_IJSI_SG_EEENS0_18inequality_wrapperIN6hipcub16HIPCUB_304000_NS8EqualityEEESI_JSF_EEE10hipError_tPvRmT3_T4_T5_T6_T7_T9_mT8_P12ihipStream_tbDpT10_ENKUlT_T0_E_clISt17integral_constantIbLb1EES18_IbLb0EEEEDaS14_S15_EUlS14_E_NS1_11comp_targetILNS1_3genE2ELNS1_11target_archE906ELNS1_3gpuE6ELNS1_3repE0EEENS1_30default_config_static_selectorELNS0_4arch9wavefront6targetE0EEEvT1_.uses_flat_scratch, 0
	.set _ZN7rocprim17ROCPRIM_400000_NS6detail17trampoline_kernelINS0_14default_configENS1_25partition_config_selectorILNS1_17partition_subalgoE9EllbEEZZNS1_14partition_implILS5_9ELb0ES3_jPKlN6thrust23THRUST_200600_302600_NS17counting_iteratorIlNSB_11use_defaultESD_SD_EEPNS0_10empty_typeENS0_5tupleIJPlSF_EEENSH_IJSI_SG_EEENS0_18inequality_wrapperIN6hipcub16HIPCUB_304000_NS8EqualityEEESI_JSF_EEE10hipError_tPvRmT3_T4_T5_T6_T7_T9_mT8_P12ihipStream_tbDpT10_ENKUlT_T0_E_clISt17integral_constantIbLb1EES18_IbLb0EEEEDaS14_S15_EUlS14_E_NS1_11comp_targetILNS1_3genE2ELNS1_11target_archE906ELNS1_3gpuE6ELNS1_3repE0EEENS1_30default_config_static_selectorELNS0_4arch9wavefront6targetE0EEEvT1_.has_dyn_sized_stack, 0
	.set _ZN7rocprim17ROCPRIM_400000_NS6detail17trampoline_kernelINS0_14default_configENS1_25partition_config_selectorILNS1_17partition_subalgoE9EllbEEZZNS1_14partition_implILS5_9ELb0ES3_jPKlN6thrust23THRUST_200600_302600_NS17counting_iteratorIlNSB_11use_defaultESD_SD_EEPNS0_10empty_typeENS0_5tupleIJPlSF_EEENSH_IJSI_SG_EEENS0_18inequality_wrapperIN6hipcub16HIPCUB_304000_NS8EqualityEEESI_JSF_EEE10hipError_tPvRmT3_T4_T5_T6_T7_T9_mT8_P12ihipStream_tbDpT10_ENKUlT_T0_E_clISt17integral_constantIbLb1EES18_IbLb0EEEEDaS14_S15_EUlS14_E_NS1_11comp_targetILNS1_3genE2ELNS1_11target_archE906ELNS1_3gpuE6ELNS1_3repE0EEENS1_30default_config_static_selectorELNS0_4arch9wavefront6targetE0EEEvT1_.has_recursion, 0
	.set _ZN7rocprim17ROCPRIM_400000_NS6detail17trampoline_kernelINS0_14default_configENS1_25partition_config_selectorILNS1_17partition_subalgoE9EllbEEZZNS1_14partition_implILS5_9ELb0ES3_jPKlN6thrust23THRUST_200600_302600_NS17counting_iteratorIlNSB_11use_defaultESD_SD_EEPNS0_10empty_typeENS0_5tupleIJPlSF_EEENSH_IJSI_SG_EEENS0_18inequality_wrapperIN6hipcub16HIPCUB_304000_NS8EqualityEEESI_JSF_EEE10hipError_tPvRmT3_T4_T5_T6_T7_T9_mT8_P12ihipStream_tbDpT10_ENKUlT_T0_E_clISt17integral_constantIbLb1EES18_IbLb0EEEEDaS14_S15_EUlS14_E_NS1_11comp_targetILNS1_3genE2ELNS1_11target_archE906ELNS1_3gpuE6ELNS1_3repE0EEENS1_30default_config_static_selectorELNS0_4arch9wavefront6targetE0EEEvT1_.has_indirect_call, 0
	.section	.AMDGPU.csdata,"",@progbits
; Kernel info:
; codeLenInByte = 0
; TotalNumSgprs: 0
; NumVgprs: 0
; ScratchSize: 0
; MemoryBound: 0
; FloatMode: 240
; IeeeMode: 1
; LDSByteSize: 0 bytes/workgroup (compile time only)
; SGPRBlocks: 0
; VGPRBlocks: 0
; NumSGPRsForWavesPerEU: 1
; NumVGPRsForWavesPerEU: 1
; NamedBarCnt: 0
; Occupancy: 16
; WaveLimiterHint : 0
; COMPUTE_PGM_RSRC2:SCRATCH_EN: 0
; COMPUTE_PGM_RSRC2:USER_SGPR: 2
; COMPUTE_PGM_RSRC2:TRAP_HANDLER: 0
; COMPUTE_PGM_RSRC2:TGID_X_EN: 1
; COMPUTE_PGM_RSRC2:TGID_Y_EN: 0
; COMPUTE_PGM_RSRC2:TGID_Z_EN: 0
; COMPUTE_PGM_RSRC2:TIDIG_COMP_CNT: 0
	.section	.text._ZN7rocprim17ROCPRIM_400000_NS6detail17trampoline_kernelINS0_14default_configENS1_25partition_config_selectorILNS1_17partition_subalgoE9EllbEEZZNS1_14partition_implILS5_9ELb0ES3_jPKlN6thrust23THRUST_200600_302600_NS17counting_iteratorIlNSB_11use_defaultESD_SD_EEPNS0_10empty_typeENS0_5tupleIJPlSF_EEENSH_IJSI_SG_EEENS0_18inequality_wrapperIN6hipcub16HIPCUB_304000_NS8EqualityEEESI_JSF_EEE10hipError_tPvRmT3_T4_T5_T6_T7_T9_mT8_P12ihipStream_tbDpT10_ENKUlT_T0_E_clISt17integral_constantIbLb1EES18_IbLb0EEEEDaS14_S15_EUlS14_E_NS1_11comp_targetILNS1_3genE10ELNS1_11target_archE1200ELNS1_3gpuE4ELNS1_3repE0EEENS1_30default_config_static_selectorELNS0_4arch9wavefront6targetE0EEEvT1_,"axG",@progbits,_ZN7rocprim17ROCPRIM_400000_NS6detail17trampoline_kernelINS0_14default_configENS1_25partition_config_selectorILNS1_17partition_subalgoE9EllbEEZZNS1_14partition_implILS5_9ELb0ES3_jPKlN6thrust23THRUST_200600_302600_NS17counting_iteratorIlNSB_11use_defaultESD_SD_EEPNS0_10empty_typeENS0_5tupleIJPlSF_EEENSH_IJSI_SG_EEENS0_18inequality_wrapperIN6hipcub16HIPCUB_304000_NS8EqualityEEESI_JSF_EEE10hipError_tPvRmT3_T4_T5_T6_T7_T9_mT8_P12ihipStream_tbDpT10_ENKUlT_T0_E_clISt17integral_constantIbLb1EES18_IbLb0EEEEDaS14_S15_EUlS14_E_NS1_11comp_targetILNS1_3genE10ELNS1_11target_archE1200ELNS1_3gpuE4ELNS1_3repE0EEENS1_30default_config_static_selectorELNS0_4arch9wavefront6targetE0EEEvT1_,comdat
	.protected	_ZN7rocprim17ROCPRIM_400000_NS6detail17trampoline_kernelINS0_14default_configENS1_25partition_config_selectorILNS1_17partition_subalgoE9EllbEEZZNS1_14partition_implILS5_9ELb0ES3_jPKlN6thrust23THRUST_200600_302600_NS17counting_iteratorIlNSB_11use_defaultESD_SD_EEPNS0_10empty_typeENS0_5tupleIJPlSF_EEENSH_IJSI_SG_EEENS0_18inequality_wrapperIN6hipcub16HIPCUB_304000_NS8EqualityEEESI_JSF_EEE10hipError_tPvRmT3_T4_T5_T6_T7_T9_mT8_P12ihipStream_tbDpT10_ENKUlT_T0_E_clISt17integral_constantIbLb1EES18_IbLb0EEEEDaS14_S15_EUlS14_E_NS1_11comp_targetILNS1_3genE10ELNS1_11target_archE1200ELNS1_3gpuE4ELNS1_3repE0EEENS1_30default_config_static_selectorELNS0_4arch9wavefront6targetE0EEEvT1_ ; -- Begin function _ZN7rocprim17ROCPRIM_400000_NS6detail17trampoline_kernelINS0_14default_configENS1_25partition_config_selectorILNS1_17partition_subalgoE9EllbEEZZNS1_14partition_implILS5_9ELb0ES3_jPKlN6thrust23THRUST_200600_302600_NS17counting_iteratorIlNSB_11use_defaultESD_SD_EEPNS0_10empty_typeENS0_5tupleIJPlSF_EEENSH_IJSI_SG_EEENS0_18inequality_wrapperIN6hipcub16HIPCUB_304000_NS8EqualityEEESI_JSF_EEE10hipError_tPvRmT3_T4_T5_T6_T7_T9_mT8_P12ihipStream_tbDpT10_ENKUlT_T0_E_clISt17integral_constantIbLb1EES18_IbLb0EEEEDaS14_S15_EUlS14_E_NS1_11comp_targetILNS1_3genE10ELNS1_11target_archE1200ELNS1_3gpuE4ELNS1_3repE0EEENS1_30default_config_static_selectorELNS0_4arch9wavefront6targetE0EEEvT1_
	.globl	_ZN7rocprim17ROCPRIM_400000_NS6detail17trampoline_kernelINS0_14default_configENS1_25partition_config_selectorILNS1_17partition_subalgoE9EllbEEZZNS1_14partition_implILS5_9ELb0ES3_jPKlN6thrust23THRUST_200600_302600_NS17counting_iteratorIlNSB_11use_defaultESD_SD_EEPNS0_10empty_typeENS0_5tupleIJPlSF_EEENSH_IJSI_SG_EEENS0_18inequality_wrapperIN6hipcub16HIPCUB_304000_NS8EqualityEEESI_JSF_EEE10hipError_tPvRmT3_T4_T5_T6_T7_T9_mT8_P12ihipStream_tbDpT10_ENKUlT_T0_E_clISt17integral_constantIbLb1EES18_IbLb0EEEEDaS14_S15_EUlS14_E_NS1_11comp_targetILNS1_3genE10ELNS1_11target_archE1200ELNS1_3gpuE4ELNS1_3repE0EEENS1_30default_config_static_selectorELNS0_4arch9wavefront6targetE0EEEvT1_
	.p2align	8
	.type	_ZN7rocprim17ROCPRIM_400000_NS6detail17trampoline_kernelINS0_14default_configENS1_25partition_config_selectorILNS1_17partition_subalgoE9EllbEEZZNS1_14partition_implILS5_9ELb0ES3_jPKlN6thrust23THRUST_200600_302600_NS17counting_iteratorIlNSB_11use_defaultESD_SD_EEPNS0_10empty_typeENS0_5tupleIJPlSF_EEENSH_IJSI_SG_EEENS0_18inequality_wrapperIN6hipcub16HIPCUB_304000_NS8EqualityEEESI_JSF_EEE10hipError_tPvRmT3_T4_T5_T6_T7_T9_mT8_P12ihipStream_tbDpT10_ENKUlT_T0_E_clISt17integral_constantIbLb1EES18_IbLb0EEEEDaS14_S15_EUlS14_E_NS1_11comp_targetILNS1_3genE10ELNS1_11target_archE1200ELNS1_3gpuE4ELNS1_3repE0EEENS1_30default_config_static_selectorELNS0_4arch9wavefront6targetE0EEEvT1_,@function
_ZN7rocprim17ROCPRIM_400000_NS6detail17trampoline_kernelINS0_14default_configENS1_25partition_config_selectorILNS1_17partition_subalgoE9EllbEEZZNS1_14partition_implILS5_9ELb0ES3_jPKlN6thrust23THRUST_200600_302600_NS17counting_iteratorIlNSB_11use_defaultESD_SD_EEPNS0_10empty_typeENS0_5tupleIJPlSF_EEENSH_IJSI_SG_EEENS0_18inequality_wrapperIN6hipcub16HIPCUB_304000_NS8EqualityEEESI_JSF_EEE10hipError_tPvRmT3_T4_T5_T6_T7_T9_mT8_P12ihipStream_tbDpT10_ENKUlT_T0_E_clISt17integral_constantIbLb1EES18_IbLb0EEEEDaS14_S15_EUlS14_E_NS1_11comp_targetILNS1_3genE10ELNS1_11target_archE1200ELNS1_3gpuE4ELNS1_3repE0EEENS1_30default_config_static_selectorELNS0_4arch9wavefront6targetE0EEEvT1_: ; @_ZN7rocprim17ROCPRIM_400000_NS6detail17trampoline_kernelINS0_14default_configENS1_25partition_config_selectorILNS1_17partition_subalgoE9EllbEEZZNS1_14partition_implILS5_9ELb0ES3_jPKlN6thrust23THRUST_200600_302600_NS17counting_iteratorIlNSB_11use_defaultESD_SD_EEPNS0_10empty_typeENS0_5tupleIJPlSF_EEENSH_IJSI_SG_EEENS0_18inequality_wrapperIN6hipcub16HIPCUB_304000_NS8EqualityEEESI_JSF_EEE10hipError_tPvRmT3_T4_T5_T6_T7_T9_mT8_P12ihipStream_tbDpT10_ENKUlT_T0_E_clISt17integral_constantIbLb1EES18_IbLb0EEEEDaS14_S15_EUlS14_E_NS1_11comp_targetILNS1_3genE10ELNS1_11target_archE1200ELNS1_3gpuE4ELNS1_3repE0EEENS1_30default_config_static_selectorELNS0_4arch9wavefront6targetE0EEEvT1_
; %bb.0:
	.section	.rodata,"a",@progbits
	.p2align	6, 0x0
	.amdhsa_kernel _ZN7rocprim17ROCPRIM_400000_NS6detail17trampoline_kernelINS0_14default_configENS1_25partition_config_selectorILNS1_17partition_subalgoE9EllbEEZZNS1_14partition_implILS5_9ELb0ES3_jPKlN6thrust23THRUST_200600_302600_NS17counting_iteratorIlNSB_11use_defaultESD_SD_EEPNS0_10empty_typeENS0_5tupleIJPlSF_EEENSH_IJSI_SG_EEENS0_18inequality_wrapperIN6hipcub16HIPCUB_304000_NS8EqualityEEESI_JSF_EEE10hipError_tPvRmT3_T4_T5_T6_T7_T9_mT8_P12ihipStream_tbDpT10_ENKUlT_T0_E_clISt17integral_constantIbLb1EES18_IbLb0EEEEDaS14_S15_EUlS14_E_NS1_11comp_targetILNS1_3genE10ELNS1_11target_archE1200ELNS1_3gpuE4ELNS1_3repE0EEENS1_30default_config_static_selectorELNS0_4arch9wavefront6targetE0EEEvT1_
		.amdhsa_group_segment_fixed_size 0
		.amdhsa_private_segment_fixed_size 0
		.amdhsa_kernarg_size 112
		.amdhsa_user_sgpr_count 2
		.amdhsa_user_sgpr_dispatch_ptr 0
		.amdhsa_user_sgpr_queue_ptr 0
		.amdhsa_user_sgpr_kernarg_segment_ptr 1
		.amdhsa_user_sgpr_dispatch_id 0
		.amdhsa_user_sgpr_kernarg_preload_length 0
		.amdhsa_user_sgpr_kernarg_preload_offset 0
		.amdhsa_user_sgpr_private_segment_size 0
		.amdhsa_wavefront_size32 1
		.amdhsa_uses_dynamic_stack 0
		.amdhsa_enable_private_segment 0
		.amdhsa_system_sgpr_workgroup_id_x 1
		.amdhsa_system_sgpr_workgroup_id_y 0
		.amdhsa_system_sgpr_workgroup_id_z 0
		.amdhsa_system_sgpr_workgroup_info 0
		.amdhsa_system_vgpr_workitem_id 0
		.amdhsa_next_free_vgpr 1
		.amdhsa_next_free_sgpr 1
		.amdhsa_named_barrier_count 0
		.amdhsa_reserve_vcc 0
		.amdhsa_float_round_mode_32 0
		.amdhsa_float_round_mode_16_64 0
		.amdhsa_float_denorm_mode_32 3
		.amdhsa_float_denorm_mode_16_64 3
		.amdhsa_fp16_overflow 0
		.amdhsa_memory_ordered 1
		.amdhsa_forward_progress 1
		.amdhsa_inst_pref_size 0
		.amdhsa_round_robin_scheduling 0
		.amdhsa_exception_fp_ieee_invalid_op 0
		.amdhsa_exception_fp_denorm_src 0
		.amdhsa_exception_fp_ieee_div_zero 0
		.amdhsa_exception_fp_ieee_overflow 0
		.amdhsa_exception_fp_ieee_underflow 0
		.amdhsa_exception_fp_ieee_inexact 0
		.amdhsa_exception_int_div_zero 0
	.end_amdhsa_kernel
	.section	.text._ZN7rocprim17ROCPRIM_400000_NS6detail17trampoline_kernelINS0_14default_configENS1_25partition_config_selectorILNS1_17partition_subalgoE9EllbEEZZNS1_14partition_implILS5_9ELb0ES3_jPKlN6thrust23THRUST_200600_302600_NS17counting_iteratorIlNSB_11use_defaultESD_SD_EEPNS0_10empty_typeENS0_5tupleIJPlSF_EEENSH_IJSI_SG_EEENS0_18inequality_wrapperIN6hipcub16HIPCUB_304000_NS8EqualityEEESI_JSF_EEE10hipError_tPvRmT3_T4_T5_T6_T7_T9_mT8_P12ihipStream_tbDpT10_ENKUlT_T0_E_clISt17integral_constantIbLb1EES18_IbLb0EEEEDaS14_S15_EUlS14_E_NS1_11comp_targetILNS1_3genE10ELNS1_11target_archE1200ELNS1_3gpuE4ELNS1_3repE0EEENS1_30default_config_static_selectorELNS0_4arch9wavefront6targetE0EEEvT1_,"axG",@progbits,_ZN7rocprim17ROCPRIM_400000_NS6detail17trampoline_kernelINS0_14default_configENS1_25partition_config_selectorILNS1_17partition_subalgoE9EllbEEZZNS1_14partition_implILS5_9ELb0ES3_jPKlN6thrust23THRUST_200600_302600_NS17counting_iteratorIlNSB_11use_defaultESD_SD_EEPNS0_10empty_typeENS0_5tupleIJPlSF_EEENSH_IJSI_SG_EEENS0_18inequality_wrapperIN6hipcub16HIPCUB_304000_NS8EqualityEEESI_JSF_EEE10hipError_tPvRmT3_T4_T5_T6_T7_T9_mT8_P12ihipStream_tbDpT10_ENKUlT_T0_E_clISt17integral_constantIbLb1EES18_IbLb0EEEEDaS14_S15_EUlS14_E_NS1_11comp_targetILNS1_3genE10ELNS1_11target_archE1200ELNS1_3gpuE4ELNS1_3repE0EEENS1_30default_config_static_selectorELNS0_4arch9wavefront6targetE0EEEvT1_,comdat
.Lfunc_end65:
	.size	_ZN7rocprim17ROCPRIM_400000_NS6detail17trampoline_kernelINS0_14default_configENS1_25partition_config_selectorILNS1_17partition_subalgoE9EllbEEZZNS1_14partition_implILS5_9ELb0ES3_jPKlN6thrust23THRUST_200600_302600_NS17counting_iteratorIlNSB_11use_defaultESD_SD_EEPNS0_10empty_typeENS0_5tupleIJPlSF_EEENSH_IJSI_SG_EEENS0_18inequality_wrapperIN6hipcub16HIPCUB_304000_NS8EqualityEEESI_JSF_EEE10hipError_tPvRmT3_T4_T5_T6_T7_T9_mT8_P12ihipStream_tbDpT10_ENKUlT_T0_E_clISt17integral_constantIbLb1EES18_IbLb0EEEEDaS14_S15_EUlS14_E_NS1_11comp_targetILNS1_3genE10ELNS1_11target_archE1200ELNS1_3gpuE4ELNS1_3repE0EEENS1_30default_config_static_selectorELNS0_4arch9wavefront6targetE0EEEvT1_, .Lfunc_end65-_ZN7rocprim17ROCPRIM_400000_NS6detail17trampoline_kernelINS0_14default_configENS1_25partition_config_selectorILNS1_17partition_subalgoE9EllbEEZZNS1_14partition_implILS5_9ELb0ES3_jPKlN6thrust23THRUST_200600_302600_NS17counting_iteratorIlNSB_11use_defaultESD_SD_EEPNS0_10empty_typeENS0_5tupleIJPlSF_EEENSH_IJSI_SG_EEENS0_18inequality_wrapperIN6hipcub16HIPCUB_304000_NS8EqualityEEESI_JSF_EEE10hipError_tPvRmT3_T4_T5_T6_T7_T9_mT8_P12ihipStream_tbDpT10_ENKUlT_T0_E_clISt17integral_constantIbLb1EES18_IbLb0EEEEDaS14_S15_EUlS14_E_NS1_11comp_targetILNS1_3genE10ELNS1_11target_archE1200ELNS1_3gpuE4ELNS1_3repE0EEENS1_30default_config_static_selectorELNS0_4arch9wavefront6targetE0EEEvT1_
                                        ; -- End function
	.set _ZN7rocprim17ROCPRIM_400000_NS6detail17trampoline_kernelINS0_14default_configENS1_25partition_config_selectorILNS1_17partition_subalgoE9EllbEEZZNS1_14partition_implILS5_9ELb0ES3_jPKlN6thrust23THRUST_200600_302600_NS17counting_iteratorIlNSB_11use_defaultESD_SD_EEPNS0_10empty_typeENS0_5tupleIJPlSF_EEENSH_IJSI_SG_EEENS0_18inequality_wrapperIN6hipcub16HIPCUB_304000_NS8EqualityEEESI_JSF_EEE10hipError_tPvRmT3_T4_T5_T6_T7_T9_mT8_P12ihipStream_tbDpT10_ENKUlT_T0_E_clISt17integral_constantIbLb1EES18_IbLb0EEEEDaS14_S15_EUlS14_E_NS1_11comp_targetILNS1_3genE10ELNS1_11target_archE1200ELNS1_3gpuE4ELNS1_3repE0EEENS1_30default_config_static_selectorELNS0_4arch9wavefront6targetE0EEEvT1_.num_vgpr, 0
	.set _ZN7rocprim17ROCPRIM_400000_NS6detail17trampoline_kernelINS0_14default_configENS1_25partition_config_selectorILNS1_17partition_subalgoE9EllbEEZZNS1_14partition_implILS5_9ELb0ES3_jPKlN6thrust23THRUST_200600_302600_NS17counting_iteratorIlNSB_11use_defaultESD_SD_EEPNS0_10empty_typeENS0_5tupleIJPlSF_EEENSH_IJSI_SG_EEENS0_18inequality_wrapperIN6hipcub16HIPCUB_304000_NS8EqualityEEESI_JSF_EEE10hipError_tPvRmT3_T4_T5_T6_T7_T9_mT8_P12ihipStream_tbDpT10_ENKUlT_T0_E_clISt17integral_constantIbLb1EES18_IbLb0EEEEDaS14_S15_EUlS14_E_NS1_11comp_targetILNS1_3genE10ELNS1_11target_archE1200ELNS1_3gpuE4ELNS1_3repE0EEENS1_30default_config_static_selectorELNS0_4arch9wavefront6targetE0EEEvT1_.num_agpr, 0
	.set _ZN7rocprim17ROCPRIM_400000_NS6detail17trampoline_kernelINS0_14default_configENS1_25partition_config_selectorILNS1_17partition_subalgoE9EllbEEZZNS1_14partition_implILS5_9ELb0ES3_jPKlN6thrust23THRUST_200600_302600_NS17counting_iteratorIlNSB_11use_defaultESD_SD_EEPNS0_10empty_typeENS0_5tupleIJPlSF_EEENSH_IJSI_SG_EEENS0_18inequality_wrapperIN6hipcub16HIPCUB_304000_NS8EqualityEEESI_JSF_EEE10hipError_tPvRmT3_T4_T5_T6_T7_T9_mT8_P12ihipStream_tbDpT10_ENKUlT_T0_E_clISt17integral_constantIbLb1EES18_IbLb0EEEEDaS14_S15_EUlS14_E_NS1_11comp_targetILNS1_3genE10ELNS1_11target_archE1200ELNS1_3gpuE4ELNS1_3repE0EEENS1_30default_config_static_selectorELNS0_4arch9wavefront6targetE0EEEvT1_.numbered_sgpr, 0
	.set _ZN7rocprim17ROCPRIM_400000_NS6detail17trampoline_kernelINS0_14default_configENS1_25partition_config_selectorILNS1_17partition_subalgoE9EllbEEZZNS1_14partition_implILS5_9ELb0ES3_jPKlN6thrust23THRUST_200600_302600_NS17counting_iteratorIlNSB_11use_defaultESD_SD_EEPNS0_10empty_typeENS0_5tupleIJPlSF_EEENSH_IJSI_SG_EEENS0_18inequality_wrapperIN6hipcub16HIPCUB_304000_NS8EqualityEEESI_JSF_EEE10hipError_tPvRmT3_T4_T5_T6_T7_T9_mT8_P12ihipStream_tbDpT10_ENKUlT_T0_E_clISt17integral_constantIbLb1EES18_IbLb0EEEEDaS14_S15_EUlS14_E_NS1_11comp_targetILNS1_3genE10ELNS1_11target_archE1200ELNS1_3gpuE4ELNS1_3repE0EEENS1_30default_config_static_selectorELNS0_4arch9wavefront6targetE0EEEvT1_.num_named_barrier, 0
	.set _ZN7rocprim17ROCPRIM_400000_NS6detail17trampoline_kernelINS0_14default_configENS1_25partition_config_selectorILNS1_17partition_subalgoE9EllbEEZZNS1_14partition_implILS5_9ELb0ES3_jPKlN6thrust23THRUST_200600_302600_NS17counting_iteratorIlNSB_11use_defaultESD_SD_EEPNS0_10empty_typeENS0_5tupleIJPlSF_EEENSH_IJSI_SG_EEENS0_18inequality_wrapperIN6hipcub16HIPCUB_304000_NS8EqualityEEESI_JSF_EEE10hipError_tPvRmT3_T4_T5_T6_T7_T9_mT8_P12ihipStream_tbDpT10_ENKUlT_T0_E_clISt17integral_constantIbLb1EES18_IbLb0EEEEDaS14_S15_EUlS14_E_NS1_11comp_targetILNS1_3genE10ELNS1_11target_archE1200ELNS1_3gpuE4ELNS1_3repE0EEENS1_30default_config_static_selectorELNS0_4arch9wavefront6targetE0EEEvT1_.private_seg_size, 0
	.set _ZN7rocprim17ROCPRIM_400000_NS6detail17trampoline_kernelINS0_14default_configENS1_25partition_config_selectorILNS1_17partition_subalgoE9EllbEEZZNS1_14partition_implILS5_9ELb0ES3_jPKlN6thrust23THRUST_200600_302600_NS17counting_iteratorIlNSB_11use_defaultESD_SD_EEPNS0_10empty_typeENS0_5tupleIJPlSF_EEENSH_IJSI_SG_EEENS0_18inequality_wrapperIN6hipcub16HIPCUB_304000_NS8EqualityEEESI_JSF_EEE10hipError_tPvRmT3_T4_T5_T6_T7_T9_mT8_P12ihipStream_tbDpT10_ENKUlT_T0_E_clISt17integral_constantIbLb1EES18_IbLb0EEEEDaS14_S15_EUlS14_E_NS1_11comp_targetILNS1_3genE10ELNS1_11target_archE1200ELNS1_3gpuE4ELNS1_3repE0EEENS1_30default_config_static_selectorELNS0_4arch9wavefront6targetE0EEEvT1_.uses_vcc, 0
	.set _ZN7rocprim17ROCPRIM_400000_NS6detail17trampoline_kernelINS0_14default_configENS1_25partition_config_selectorILNS1_17partition_subalgoE9EllbEEZZNS1_14partition_implILS5_9ELb0ES3_jPKlN6thrust23THRUST_200600_302600_NS17counting_iteratorIlNSB_11use_defaultESD_SD_EEPNS0_10empty_typeENS0_5tupleIJPlSF_EEENSH_IJSI_SG_EEENS0_18inequality_wrapperIN6hipcub16HIPCUB_304000_NS8EqualityEEESI_JSF_EEE10hipError_tPvRmT3_T4_T5_T6_T7_T9_mT8_P12ihipStream_tbDpT10_ENKUlT_T0_E_clISt17integral_constantIbLb1EES18_IbLb0EEEEDaS14_S15_EUlS14_E_NS1_11comp_targetILNS1_3genE10ELNS1_11target_archE1200ELNS1_3gpuE4ELNS1_3repE0EEENS1_30default_config_static_selectorELNS0_4arch9wavefront6targetE0EEEvT1_.uses_flat_scratch, 0
	.set _ZN7rocprim17ROCPRIM_400000_NS6detail17trampoline_kernelINS0_14default_configENS1_25partition_config_selectorILNS1_17partition_subalgoE9EllbEEZZNS1_14partition_implILS5_9ELb0ES3_jPKlN6thrust23THRUST_200600_302600_NS17counting_iteratorIlNSB_11use_defaultESD_SD_EEPNS0_10empty_typeENS0_5tupleIJPlSF_EEENSH_IJSI_SG_EEENS0_18inequality_wrapperIN6hipcub16HIPCUB_304000_NS8EqualityEEESI_JSF_EEE10hipError_tPvRmT3_T4_T5_T6_T7_T9_mT8_P12ihipStream_tbDpT10_ENKUlT_T0_E_clISt17integral_constantIbLb1EES18_IbLb0EEEEDaS14_S15_EUlS14_E_NS1_11comp_targetILNS1_3genE10ELNS1_11target_archE1200ELNS1_3gpuE4ELNS1_3repE0EEENS1_30default_config_static_selectorELNS0_4arch9wavefront6targetE0EEEvT1_.has_dyn_sized_stack, 0
	.set _ZN7rocprim17ROCPRIM_400000_NS6detail17trampoline_kernelINS0_14default_configENS1_25partition_config_selectorILNS1_17partition_subalgoE9EllbEEZZNS1_14partition_implILS5_9ELb0ES3_jPKlN6thrust23THRUST_200600_302600_NS17counting_iteratorIlNSB_11use_defaultESD_SD_EEPNS0_10empty_typeENS0_5tupleIJPlSF_EEENSH_IJSI_SG_EEENS0_18inequality_wrapperIN6hipcub16HIPCUB_304000_NS8EqualityEEESI_JSF_EEE10hipError_tPvRmT3_T4_T5_T6_T7_T9_mT8_P12ihipStream_tbDpT10_ENKUlT_T0_E_clISt17integral_constantIbLb1EES18_IbLb0EEEEDaS14_S15_EUlS14_E_NS1_11comp_targetILNS1_3genE10ELNS1_11target_archE1200ELNS1_3gpuE4ELNS1_3repE0EEENS1_30default_config_static_selectorELNS0_4arch9wavefront6targetE0EEEvT1_.has_recursion, 0
	.set _ZN7rocprim17ROCPRIM_400000_NS6detail17trampoline_kernelINS0_14default_configENS1_25partition_config_selectorILNS1_17partition_subalgoE9EllbEEZZNS1_14partition_implILS5_9ELb0ES3_jPKlN6thrust23THRUST_200600_302600_NS17counting_iteratorIlNSB_11use_defaultESD_SD_EEPNS0_10empty_typeENS0_5tupleIJPlSF_EEENSH_IJSI_SG_EEENS0_18inequality_wrapperIN6hipcub16HIPCUB_304000_NS8EqualityEEESI_JSF_EEE10hipError_tPvRmT3_T4_T5_T6_T7_T9_mT8_P12ihipStream_tbDpT10_ENKUlT_T0_E_clISt17integral_constantIbLb1EES18_IbLb0EEEEDaS14_S15_EUlS14_E_NS1_11comp_targetILNS1_3genE10ELNS1_11target_archE1200ELNS1_3gpuE4ELNS1_3repE0EEENS1_30default_config_static_selectorELNS0_4arch9wavefront6targetE0EEEvT1_.has_indirect_call, 0
	.section	.AMDGPU.csdata,"",@progbits
; Kernel info:
; codeLenInByte = 0
; TotalNumSgprs: 0
; NumVgprs: 0
; ScratchSize: 0
; MemoryBound: 0
; FloatMode: 240
; IeeeMode: 1
; LDSByteSize: 0 bytes/workgroup (compile time only)
; SGPRBlocks: 0
; VGPRBlocks: 0
; NumSGPRsForWavesPerEU: 1
; NumVGPRsForWavesPerEU: 1
; NamedBarCnt: 0
; Occupancy: 16
; WaveLimiterHint : 0
; COMPUTE_PGM_RSRC2:SCRATCH_EN: 0
; COMPUTE_PGM_RSRC2:USER_SGPR: 2
; COMPUTE_PGM_RSRC2:TRAP_HANDLER: 0
; COMPUTE_PGM_RSRC2:TGID_X_EN: 1
; COMPUTE_PGM_RSRC2:TGID_Y_EN: 0
; COMPUTE_PGM_RSRC2:TGID_Z_EN: 0
; COMPUTE_PGM_RSRC2:TIDIG_COMP_CNT: 0
	.section	.text._ZN7rocprim17ROCPRIM_400000_NS6detail17trampoline_kernelINS0_14default_configENS1_25partition_config_selectorILNS1_17partition_subalgoE9EllbEEZZNS1_14partition_implILS5_9ELb0ES3_jPKlN6thrust23THRUST_200600_302600_NS17counting_iteratorIlNSB_11use_defaultESD_SD_EEPNS0_10empty_typeENS0_5tupleIJPlSF_EEENSH_IJSI_SG_EEENS0_18inequality_wrapperIN6hipcub16HIPCUB_304000_NS8EqualityEEESI_JSF_EEE10hipError_tPvRmT3_T4_T5_T6_T7_T9_mT8_P12ihipStream_tbDpT10_ENKUlT_T0_E_clISt17integral_constantIbLb1EES18_IbLb0EEEEDaS14_S15_EUlS14_E_NS1_11comp_targetILNS1_3genE9ELNS1_11target_archE1100ELNS1_3gpuE3ELNS1_3repE0EEENS1_30default_config_static_selectorELNS0_4arch9wavefront6targetE0EEEvT1_,"axG",@progbits,_ZN7rocprim17ROCPRIM_400000_NS6detail17trampoline_kernelINS0_14default_configENS1_25partition_config_selectorILNS1_17partition_subalgoE9EllbEEZZNS1_14partition_implILS5_9ELb0ES3_jPKlN6thrust23THRUST_200600_302600_NS17counting_iteratorIlNSB_11use_defaultESD_SD_EEPNS0_10empty_typeENS0_5tupleIJPlSF_EEENSH_IJSI_SG_EEENS0_18inequality_wrapperIN6hipcub16HIPCUB_304000_NS8EqualityEEESI_JSF_EEE10hipError_tPvRmT3_T4_T5_T6_T7_T9_mT8_P12ihipStream_tbDpT10_ENKUlT_T0_E_clISt17integral_constantIbLb1EES18_IbLb0EEEEDaS14_S15_EUlS14_E_NS1_11comp_targetILNS1_3genE9ELNS1_11target_archE1100ELNS1_3gpuE3ELNS1_3repE0EEENS1_30default_config_static_selectorELNS0_4arch9wavefront6targetE0EEEvT1_,comdat
	.protected	_ZN7rocprim17ROCPRIM_400000_NS6detail17trampoline_kernelINS0_14default_configENS1_25partition_config_selectorILNS1_17partition_subalgoE9EllbEEZZNS1_14partition_implILS5_9ELb0ES3_jPKlN6thrust23THRUST_200600_302600_NS17counting_iteratorIlNSB_11use_defaultESD_SD_EEPNS0_10empty_typeENS0_5tupleIJPlSF_EEENSH_IJSI_SG_EEENS0_18inequality_wrapperIN6hipcub16HIPCUB_304000_NS8EqualityEEESI_JSF_EEE10hipError_tPvRmT3_T4_T5_T6_T7_T9_mT8_P12ihipStream_tbDpT10_ENKUlT_T0_E_clISt17integral_constantIbLb1EES18_IbLb0EEEEDaS14_S15_EUlS14_E_NS1_11comp_targetILNS1_3genE9ELNS1_11target_archE1100ELNS1_3gpuE3ELNS1_3repE0EEENS1_30default_config_static_selectorELNS0_4arch9wavefront6targetE0EEEvT1_ ; -- Begin function _ZN7rocprim17ROCPRIM_400000_NS6detail17trampoline_kernelINS0_14default_configENS1_25partition_config_selectorILNS1_17partition_subalgoE9EllbEEZZNS1_14partition_implILS5_9ELb0ES3_jPKlN6thrust23THRUST_200600_302600_NS17counting_iteratorIlNSB_11use_defaultESD_SD_EEPNS0_10empty_typeENS0_5tupleIJPlSF_EEENSH_IJSI_SG_EEENS0_18inequality_wrapperIN6hipcub16HIPCUB_304000_NS8EqualityEEESI_JSF_EEE10hipError_tPvRmT3_T4_T5_T6_T7_T9_mT8_P12ihipStream_tbDpT10_ENKUlT_T0_E_clISt17integral_constantIbLb1EES18_IbLb0EEEEDaS14_S15_EUlS14_E_NS1_11comp_targetILNS1_3genE9ELNS1_11target_archE1100ELNS1_3gpuE3ELNS1_3repE0EEENS1_30default_config_static_selectorELNS0_4arch9wavefront6targetE0EEEvT1_
	.globl	_ZN7rocprim17ROCPRIM_400000_NS6detail17trampoline_kernelINS0_14default_configENS1_25partition_config_selectorILNS1_17partition_subalgoE9EllbEEZZNS1_14partition_implILS5_9ELb0ES3_jPKlN6thrust23THRUST_200600_302600_NS17counting_iteratorIlNSB_11use_defaultESD_SD_EEPNS0_10empty_typeENS0_5tupleIJPlSF_EEENSH_IJSI_SG_EEENS0_18inequality_wrapperIN6hipcub16HIPCUB_304000_NS8EqualityEEESI_JSF_EEE10hipError_tPvRmT3_T4_T5_T6_T7_T9_mT8_P12ihipStream_tbDpT10_ENKUlT_T0_E_clISt17integral_constantIbLb1EES18_IbLb0EEEEDaS14_S15_EUlS14_E_NS1_11comp_targetILNS1_3genE9ELNS1_11target_archE1100ELNS1_3gpuE3ELNS1_3repE0EEENS1_30default_config_static_selectorELNS0_4arch9wavefront6targetE0EEEvT1_
	.p2align	8
	.type	_ZN7rocprim17ROCPRIM_400000_NS6detail17trampoline_kernelINS0_14default_configENS1_25partition_config_selectorILNS1_17partition_subalgoE9EllbEEZZNS1_14partition_implILS5_9ELb0ES3_jPKlN6thrust23THRUST_200600_302600_NS17counting_iteratorIlNSB_11use_defaultESD_SD_EEPNS0_10empty_typeENS0_5tupleIJPlSF_EEENSH_IJSI_SG_EEENS0_18inequality_wrapperIN6hipcub16HIPCUB_304000_NS8EqualityEEESI_JSF_EEE10hipError_tPvRmT3_T4_T5_T6_T7_T9_mT8_P12ihipStream_tbDpT10_ENKUlT_T0_E_clISt17integral_constantIbLb1EES18_IbLb0EEEEDaS14_S15_EUlS14_E_NS1_11comp_targetILNS1_3genE9ELNS1_11target_archE1100ELNS1_3gpuE3ELNS1_3repE0EEENS1_30default_config_static_selectorELNS0_4arch9wavefront6targetE0EEEvT1_,@function
_ZN7rocprim17ROCPRIM_400000_NS6detail17trampoline_kernelINS0_14default_configENS1_25partition_config_selectorILNS1_17partition_subalgoE9EllbEEZZNS1_14partition_implILS5_9ELb0ES3_jPKlN6thrust23THRUST_200600_302600_NS17counting_iteratorIlNSB_11use_defaultESD_SD_EEPNS0_10empty_typeENS0_5tupleIJPlSF_EEENSH_IJSI_SG_EEENS0_18inequality_wrapperIN6hipcub16HIPCUB_304000_NS8EqualityEEESI_JSF_EEE10hipError_tPvRmT3_T4_T5_T6_T7_T9_mT8_P12ihipStream_tbDpT10_ENKUlT_T0_E_clISt17integral_constantIbLb1EES18_IbLb0EEEEDaS14_S15_EUlS14_E_NS1_11comp_targetILNS1_3genE9ELNS1_11target_archE1100ELNS1_3gpuE3ELNS1_3repE0EEENS1_30default_config_static_selectorELNS0_4arch9wavefront6targetE0EEEvT1_: ; @_ZN7rocprim17ROCPRIM_400000_NS6detail17trampoline_kernelINS0_14default_configENS1_25partition_config_selectorILNS1_17partition_subalgoE9EllbEEZZNS1_14partition_implILS5_9ELb0ES3_jPKlN6thrust23THRUST_200600_302600_NS17counting_iteratorIlNSB_11use_defaultESD_SD_EEPNS0_10empty_typeENS0_5tupleIJPlSF_EEENSH_IJSI_SG_EEENS0_18inequality_wrapperIN6hipcub16HIPCUB_304000_NS8EqualityEEESI_JSF_EEE10hipError_tPvRmT3_T4_T5_T6_T7_T9_mT8_P12ihipStream_tbDpT10_ENKUlT_T0_E_clISt17integral_constantIbLb1EES18_IbLb0EEEEDaS14_S15_EUlS14_E_NS1_11comp_targetILNS1_3genE9ELNS1_11target_archE1100ELNS1_3gpuE3ELNS1_3repE0EEENS1_30default_config_static_selectorELNS0_4arch9wavefront6targetE0EEEvT1_
; %bb.0:
	.section	.rodata,"a",@progbits
	.p2align	6, 0x0
	.amdhsa_kernel _ZN7rocprim17ROCPRIM_400000_NS6detail17trampoline_kernelINS0_14default_configENS1_25partition_config_selectorILNS1_17partition_subalgoE9EllbEEZZNS1_14partition_implILS5_9ELb0ES3_jPKlN6thrust23THRUST_200600_302600_NS17counting_iteratorIlNSB_11use_defaultESD_SD_EEPNS0_10empty_typeENS0_5tupleIJPlSF_EEENSH_IJSI_SG_EEENS0_18inequality_wrapperIN6hipcub16HIPCUB_304000_NS8EqualityEEESI_JSF_EEE10hipError_tPvRmT3_T4_T5_T6_T7_T9_mT8_P12ihipStream_tbDpT10_ENKUlT_T0_E_clISt17integral_constantIbLb1EES18_IbLb0EEEEDaS14_S15_EUlS14_E_NS1_11comp_targetILNS1_3genE9ELNS1_11target_archE1100ELNS1_3gpuE3ELNS1_3repE0EEENS1_30default_config_static_selectorELNS0_4arch9wavefront6targetE0EEEvT1_
		.amdhsa_group_segment_fixed_size 0
		.amdhsa_private_segment_fixed_size 0
		.amdhsa_kernarg_size 112
		.amdhsa_user_sgpr_count 2
		.amdhsa_user_sgpr_dispatch_ptr 0
		.amdhsa_user_sgpr_queue_ptr 0
		.amdhsa_user_sgpr_kernarg_segment_ptr 1
		.amdhsa_user_sgpr_dispatch_id 0
		.amdhsa_user_sgpr_kernarg_preload_length 0
		.amdhsa_user_sgpr_kernarg_preload_offset 0
		.amdhsa_user_sgpr_private_segment_size 0
		.amdhsa_wavefront_size32 1
		.amdhsa_uses_dynamic_stack 0
		.amdhsa_enable_private_segment 0
		.amdhsa_system_sgpr_workgroup_id_x 1
		.amdhsa_system_sgpr_workgroup_id_y 0
		.amdhsa_system_sgpr_workgroup_id_z 0
		.amdhsa_system_sgpr_workgroup_info 0
		.amdhsa_system_vgpr_workitem_id 0
		.amdhsa_next_free_vgpr 1
		.amdhsa_next_free_sgpr 1
		.amdhsa_named_barrier_count 0
		.amdhsa_reserve_vcc 0
		.amdhsa_float_round_mode_32 0
		.amdhsa_float_round_mode_16_64 0
		.amdhsa_float_denorm_mode_32 3
		.amdhsa_float_denorm_mode_16_64 3
		.amdhsa_fp16_overflow 0
		.amdhsa_memory_ordered 1
		.amdhsa_forward_progress 1
		.amdhsa_inst_pref_size 0
		.amdhsa_round_robin_scheduling 0
		.amdhsa_exception_fp_ieee_invalid_op 0
		.amdhsa_exception_fp_denorm_src 0
		.amdhsa_exception_fp_ieee_div_zero 0
		.amdhsa_exception_fp_ieee_overflow 0
		.amdhsa_exception_fp_ieee_underflow 0
		.amdhsa_exception_fp_ieee_inexact 0
		.amdhsa_exception_int_div_zero 0
	.end_amdhsa_kernel
	.section	.text._ZN7rocprim17ROCPRIM_400000_NS6detail17trampoline_kernelINS0_14default_configENS1_25partition_config_selectorILNS1_17partition_subalgoE9EllbEEZZNS1_14partition_implILS5_9ELb0ES3_jPKlN6thrust23THRUST_200600_302600_NS17counting_iteratorIlNSB_11use_defaultESD_SD_EEPNS0_10empty_typeENS0_5tupleIJPlSF_EEENSH_IJSI_SG_EEENS0_18inequality_wrapperIN6hipcub16HIPCUB_304000_NS8EqualityEEESI_JSF_EEE10hipError_tPvRmT3_T4_T5_T6_T7_T9_mT8_P12ihipStream_tbDpT10_ENKUlT_T0_E_clISt17integral_constantIbLb1EES18_IbLb0EEEEDaS14_S15_EUlS14_E_NS1_11comp_targetILNS1_3genE9ELNS1_11target_archE1100ELNS1_3gpuE3ELNS1_3repE0EEENS1_30default_config_static_selectorELNS0_4arch9wavefront6targetE0EEEvT1_,"axG",@progbits,_ZN7rocprim17ROCPRIM_400000_NS6detail17trampoline_kernelINS0_14default_configENS1_25partition_config_selectorILNS1_17partition_subalgoE9EllbEEZZNS1_14partition_implILS5_9ELb0ES3_jPKlN6thrust23THRUST_200600_302600_NS17counting_iteratorIlNSB_11use_defaultESD_SD_EEPNS0_10empty_typeENS0_5tupleIJPlSF_EEENSH_IJSI_SG_EEENS0_18inequality_wrapperIN6hipcub16HIPCUB_304000_NS8EqualityEEESI_JSF_EEE10hipError_tPvRmT3_T4_T5_T6_T7_T9_mT8_P12ihipStream_tbDpT10_ENKUlT_T0_E_clISt17integral_constantIbLb1EES18_IbLb0EEEEDaS14_S15_EUlS14_E_NS1_11comp_targetILNS1_3genE9ELNS1_11target_archE1100ELNS1_3gpuE3ELNS1_3repE0EEENS1_30default_config_static_selectorELNS0_4arch9wavefront6targetE0EEEvT1_,comdat
.Lfunc_end66:
	.size	_ZN7rocprim17ROCPRIM_400000_NS6detail17trampoline_kernelINS0_14default_configENS1_25partition_config_selectorILNS1_17partition_subalgoE9EllbEEZZNS1_14partition_implILS5_9ELb0ES3_jPKlN6thrust23THRUST_200600_302600_NS17counting_iteratorIlNSB_11use_defaultESD_SD_EEPNS0_10empty_typeENS0_5tupleIJPlSF_EEENSH_IJSI_SG_EEENS0_18inequality_wrapperIN6hipcub16HIPCUB_304000_NS8EqualityEEESI_JSF_EEE10hipError_tPvRmT3_T4_T5_T6_T7_T9_mT8_P12ihipStream_tbDpT10_ENKUlT_T0_E_clISt17integral_constantIbLb1EES18_IbLb0EEEEDaS14_S15_EUlS14_E_NS1_11comp_targetILNS1_3genE9ELNS1_11target_archE1100ELNS1_3gpuE3ELNS1_3repE0EEENS1_30default_config_static_selectorELNS0_4arch9wavefront6targetE0EEEvT1_, .Lfunc_end66-_ZN7rocprim17ROCPRIM_400000_NS6detail17trampoline_kernelINS0_14default_configENS1_25partition_config_selectorILNS1_17partition_subalgoE9EllbEEZZNS1_14partition_implILS5_9ELb0ES3_jPKlN6thrust23THRUST_200600_302600_NS17counting_iteratorIlNSB_11use_defaultESD_SD_EEPNS0_10empty_typeENS0_5tupleIJPlSF_EEENSH_IJSI_SG_EEENS0_18inequality_wrapperIN6hipcub16HIPCUB_304000_NS8EqualityEEESI_JSF_EEE10hipError_tPvRmT3_T4_T5_T6_T7_T9_mT8_P12ihipStream_tbDpT10_ENKUlT_T0_E_clISt17integral_constantIbLb1EES18_IbLb0EEEEDaS14_S15_EUlS14_E_NS1_11comp_targetILNS1_3genE9ELNS1_11target_archE1100ELNS1_3gpuE3ELNS1_3repE0EEENS1_30default_config_static_selectorELNS0_4arch9wavefront6targetE0EEEvT1_
                                        ; -- End function
	.set _ZN7rocprim17ROCPRIM_400000_NS6detail17trampoline_kernelINS0_14default_configENS1_25partition_config_selectorILNS1_17partition_subalgoE9EllbEEZZNS1_14partition_implILS5_9ELb0ES3_jPKlN6thrust23THRUST_200600_302600_NS17counting_iteratorIlNSB_11use_defaultESD_SD_EEPNS0_10empty_typeENS0_5tupleIJPlSF_EEENSH_IJSI_SG_EEENS0_18inequality_wrapperIN6hipcub16HIPCUB_304000_NS8EqualityEEESI_JSF_EEE10hipError_tPvRmT3_T4_T5_T6_T7_T9_mT8_P12ihipStream_tbDpT10_ENKUlT_T0_E_clISt17integral_constantIbLb1EES18_IbLb0EEEEDaS14_S15_EUlS14_E_NS1_11comp_targetILNS1_3genE9ELNS1_11target_archE1100ELNS1_3gpuE3ELNS1_3repE0EEENS1_30default_config_static_selectorELNS0_4arch9wavefront6targetE0EEEvT1_.num_vgpr, 0
	.set _ZN7rocprim17ROCPRIM_400000_NS6detail17trampoline_kernelINS0_14default_configENS1_25partition_config_selectorILNS1_17partition_subalgoE9EllbEEZZNS1_14partition_implILS5_9ELb0ES3_jPKlN6thrust23THRUST_200600_302600_NS17counting_iteratorIlNSB_11use_defaultESD_SD_EEPNS0_10empty_typeENS0_5tupleIJPlSF_EEENSH_IJSI_SG_EEENS0_18inequality_wrapperIN6hipcub16HIPCUB_304000_NS8EqualityEEESI_JSF_EEE10hipError_tPvRmT3_T4_T5_T6_T7_T9_mT8_P12ihipStream_tbDpT10_ENKUlT_T0_E_clISt17integral_constantIbLb1EES18_IbLb0EEEEDaS14_S15_EUlS14_E_NS1_11comp_targetILNS1_3genE9ELNS1_11target_archE1100ELNS1_3gpuE3ELNS1_3repE0EEENS1_30default_config_static_selectorELNS0_4arch9wavefront6targetE0EEEvT1_.num_agpr, 0
	.set _ZN7rocprim17ROCPRIM_400000_NS6detail17trampoline_kernelINS0_14default_configENS1_25partition_config_selectorILNS1_17partition_subalgoE9EllbEEZZNS1_14partition_implILS5_9ELb0ES3_jPKlN6thrust23THRUST_200600_302600_NS17counting_iteratorIlNSB_11use_defaultESD_SD_EEPNS0_10empty_typeENS0_5tupleIJPlSF_EEENSH_IJSI_SG_EEENS0_18inequality_wrapperIN6hipcub16HIPCUB_304000_NS8EqualityEEESI_JSF_EEE10hipError_tPvRmT3_T4_T5_T6_T7_T9_mT8_P12ihipStream_tbDpT10_ENKUlT_T0_E_clISt17integral_constantIbLb1EES18_IbLb0EEEEDaS14_S15_EUlS14_E_NS1_11comp_targetILNS1_3genE9ELNS1_11target_archE1100ELNS1_3gpuE3ELNS1_3repE0EEENS1_30default_config_static_selectorELNS0_4arch9wavefront6targetE0EEEvT1_.numbered_sgpr, 0
	.set _ZN7rocprim17ROCPRIM_400000_NS6detail17trampoline_kernelINS0_14default_configENS1_25partition_config_selectorILNS1_17partition_subalgoE9EllbEEZZNS1_14partition_implILS5_9ELb0ES3_jPKlN6thrust23THRUST_200600_302600_NS17counting_iteratorIlNSB_11use_defaultESD_SD_EEPNS0_10empty_typeENS0_5tupleIJPlSF_EEENSH_IJSI_SG_EEENS0_18inequality_wrapperIN6hipcub16HIPCUB_304000_NS8EqualityEEESI_JSF_EEE10hipError_tPvRmT3_T4_T5_T6_T7_T9_mT8_P12ihipStream_tbDpT10_ENKUlT_T0_E_clISt17integral_constantIbLb1EES18_IbLb0EEEEDaS14_S15_EUlS14_E_NS1_11comp_targetILNS1_3genE9ELNS1_11target_archE1100ELNS1_3gpuE3ELNS1_3repE0EEENS1_30default_config_static_selectorELNS0_4arch9wavefront6targetE0EEEvT1_.num_named_barrier, 0
	.set _ZN7rocprim17ROCPRIM_400000_NS6detail17trampoline_kernelINS0_14default_configENS1_25partition_config_selectorILNS1_17partition_subalgoE9EllbEEZZNS1_14partition_implILS5_9ELb0ES3_jPKlN6thrust23THRUST_200600_302600_NS17counting_iteratorIlNSB_11use_defaultESD_SD_EEPNS0_10empty_typeENS0_5tupleIJPlSF_EEENSH_IJSI_SG_EEENS0_18inequality_wrapperIN6hipcub16HIPCUB_304000_NS8EqualityEEESI_JSF_EEE10hipError_tPvRmT3_T4_T5_T6_T7_T9_mT8_P12ihipStream_tbDpT10_ENKUlT_T0_E_clISt17integral_constantIbLb1EES18_IbLb0EEEEDaS14_S15_EUlS14_E_NS1_11comp_targetILNS1_3genE9ELNS1_11target_archE1100ELNS1_3gpuE3ELNS1_3repE0EEENS1_30default_config_static_selectorELNS0_4arch9wavefront6targetE0EEEvT1_.private_seg_size, 0
	.set _ZN7rocprim17ROCPRIM_400000_NS6detail17trampoline_kernelINS0_14default_configENS1_25partition_config_selectorILNS1_17partition_subalgoE9EllbEEZZNS1_14partition_implILS5_9ELb0ES3_jPKlN6thrust23THRUST_200600_302600_NS17counting_iteratorIlNSB_11use_defaultESD_SD_EEPNS0_10empty_typeENS0_5tupleIJPlSF_EEENSH_IJSI_SG_EEENS0_18inequality_wrapperIN6hipcub16HIPCUB_304000_NS8EqualityEEESI_JSF_EEE10hipError_tPvRmT3_T4_T5_T6_T7_T9_mT8_P12ihipStream_tbDpT10_ENKUlT_T0_E_clISt17integral_constantIbLb1EES18_IbLb0EEEEDaS14_S15_EUlS14_E_NS1_11comp_targetILNS1_3genE9ELNS1_11target_archE1100ELNS1_3gpuE3ELNS1_3repE0EEENS1_30default_config_static_selectorELNS0_4arch9wavefront6targetE0EEEvT1_.uses_vcc, 0
	.set _ZN7rocprim17ROCPRIM_400000_NS6detail17trampoline_kernelINS0_14default_configENS1_25partition_config_selectorILNS1_17partition_subalgoE9EllbEEZZNS1_14partition_implILS5_9ELb0ES3_jPKlN6thrust23THRUST_200600_302600_NS17counting_iteratorIlNSB_11use_defaultESD_SD_EEPNS0_10empty_typeENS0_5tupleIJPlSF_EEENSH_IJSI_SG_EEENS0_18inequality_wrapperIN6hipcub16HIPCUB_304000_NS8EqualityEEESI_JSF_EEE10hipError_tPvRmT3_T4_T5_T6_T7_T9_mT8_P12ihipStream_tbDpT10_ENKUlT_T0_E_clISt17integral_constantIbLb1EES18_IbLb0EEEEDaS14_S15_EUlS14_E_NS1_11comp_targetILNS1_3genE9ELNS1_11target_archE1100ELNS1_3gpuE3ELNS1_3repE0EEENS1_30default_config_static_selectorELNS0_4arch9wavefront6targetE0EEEvT1_.uses_flat_scratch, 0
	.set _ZN7rocprim17ROCPRIM_400000_NS6detail17trampoline_kernelINS0_14default_configENS1_25partition_config_selectorILNS1_17partition_subalgoE9EllbEEZZNS1_14partition_implILS5_9ELb0ES3_jPKlN6thrust23THRUST_200600_302600_NS17counting_iteratorIlNSB_11use_defaultESD_SD_EEPNS0_10empty_typeENS0_5tupleIJPlSF_EEENSH_IJSI_SG_EEENS0_18inequality_wrapperIN6hipcub16HIPCUB_304000_NS8EqualityEEESI_JSF_EEE10hipError_tPvRmT3_T4_T5_T6_T7_T9_mT8_P12ihipStream_tbDpT10_ENKUlT_T0_E_clISt17integral_constantIbLb1EES18_IbLb0EEEEDaS14_S15_EUlS14_E_NS1_11comp_targetILNS1_3genE9ELNS1_11target_archE1100ELNS1_3gpuE3ELNS1_3repE0EEENS1_30default_config_static_selectorELNS0_4arch9wavefront6targetE0EEEvT1_.has_dyn_sized_stack, 0
	.set _ZN7rocprim17ROCPRIM_400000_NS6detail17trampoline_kernelINS0_14default_configENS1_25partition_config_selectorILNS1_17partition_subalgoE9EllbEEZZNS1_14partition_implILS5_9ELb0ES3_jPKlN6thrust23THRUST_200600_302600_NS17counting_iteratorIlNSB_11use_defaultESD_SD_EEPNS0_10empty_typeENS0_5tupleIJPlSF_EEENSH_IJSI_SG_EEENS0_18inequality_wrapperIN6hipcub16HIPCUB_304000_NS8EqualityEEESI_JSF_EEE10hipError_tPvRmT3_T4_T5_T6_T7_T9_mT8_P12ihipStream_tbDpT10_ENKUlT_T0_E_clISt17integral_constantIbLb1EES18_IbLb0EEEEDaS14_S15_EUlS14_E_NS1_11comp_targetILNS1_3genE9ELNS1_11target_archE1100ELNS1_3gpuE3ELNS1_3repE0EEENS1_30default_config_static_selectorELNS0_4arch9wavefront6targetE0EEEvT1_.has_recursion, 0
	.set _ZN7rocprim17ROCPRIM_400000_NS6detail17trampoline_kernelINS0_14default_configENS1_25partition_config_selectorILNS1_17partition_subalgoE9EllbEEZZNS1_14partition_implILS5_9ELb0ES3_jPKlN6thrust23THRUST_200600_302600_NS17counting_iteratorIlNSB_11use_defaultESD_SD_EEPNS0_10empty_typeENS0_5tupleIJPlSF_EEENSH_IJSI_SG_EEENS0_18inequality_wrapperIN6hipcub16HIPCUB_304000_NS8EqualityEEESI_JSF_EEE10hipError_tPvRmT3_T4_T5_T6_T7_T9_mT8_P12ihipStream_tbDpT10_ENKUlT_T0_E_clISt17integral_constantIbLb1EES18_IbLb0EEEEDaS14_S15_EUlS14_E_NS1_11comp_targetILNS1_3genE9ELNS1_11target_archE1100ELNS1_3gpuE3ELNS1_3repE0EEENS1_30default_config_static_selectorELNS0_4arch9wavefront6targetE0EEEvT1_.has_indirect_call, 0
	.section	.AMDGPU.csdata,"",@progbits
; Kernel info:
; codeLenInByte = 0
; TotalNumSgprs: 0
; NumVgprs: 0
; ScratchSize: 0
; MemoryBound: 0
; FloatMode: 240
; IeeeMode: 1
; LDSByteSize: 0 bytes/workgroup (compile time only)
; SGPRBlocks: 0
; VGPRBlocks: 0
; NumSGPRsForWavesPerEU: 1
; NumVGPRsForWavesPerEU: 1
; NamedBarCnt: 0
; Occupancy: 16
; WaveLimiterHint : 0
; COMPUTE_PGM_RSRC2:SCRATCH_EN: 0
; COMPUTE_PGM_RSRC2:USER_SGPR: 2
; COMPUTE_PGM_RSRC2:TRAP_HANDLER: 0
; COMPUTE_PGM_RSRC2:TGID_X_EN: 1
; COMPUTE_PGM_RSRC2:TGID_Y_EN: 0
; COMPUTE_PGM_RSRC2:TGID_Z_EN: 0
; COMPUTE_PGM_RSRC2:TIDIG_COMP_CNT: 0
	.section	.text._ZN7rocprim17ROCPRIM_400000_NS6detail17trampoline_kernelINS0_14default_configENS1_25partition_config_selectorILNS1_17partition_subalgoE9EllbEEZZNS1_14partition_implILS5_9ELb0ES3_jPKlN6thrust23THRUST_200600_302600_NS17counting_iteratorIlNSB_11use_defaultESD_SD_EEPNS0_10empty_typeENS0_5tupleIJPlSF_EEENSH_IJSI_SG_EEENS0_18inequality_wrapperIN6hipcub16HIPCUB_304000_NS8EqualityEEESI_JSF_EEE10hipError_tPvRmT3_T4_T5_T6_T7_T9_mT8_P12ihipStream_tbDpT10_ENKUlT_T0_E_clISt17integral_constantIbLb1EES18_IbLb0EEEEDaS14_S15_EUlS14_E_NS1_11comp_targetILNS1_3genE8ELNS1_11target_archE1030ELNS1_3gpuE2ELNS1_3repE0EEENS1_30default_config_static_selectorELNS0_4arch9wavefront6targetE0EEEvT1_,"axG",@progbits,_ZN7rocprim17ROCPRIM_400000_NS6detail17trampoline_kernelINS0_14default_configENS1_25partition_config_selectorILNS1_17partition_subalgoE9EllbEEZZNS1_14partition_implILS5_9ELb0ES3_jPKlN6thrust23THRUST_200600_302600_NS17counting_iteratorIlNSB_11use_defaultESD_SD_EEPNS0_10empty_typeENS0_5tupleIJPlSF_EEENSH_IJSI_SG_EEENS0_18inequality_wrapperIN6hipcub16HIPCUB_304000_NS8EqualityEEESI_JSF_EEE10hipError_tPvRmT3_T4_T5_T6_T7_T9_mT8_P12ihipStream_tbDpT10_ENKUlT_T0_E_clISt17integral_constantIbLb1EES18_IbLb0EEEEDaS14_S15_EUlS14_E_NS1_11comp_targetILNS1_3genE8ELNS1_11target_archE1030ELNS1_3gpuE2ELNS1_3repE0EEENS1_30default_config_static_selectorELNS0_4arch9wavefront6targetE0EEEvT1_,comdat
	.protected	_ZN7rocprim17ROCPRIM_400000_NS6detail17trampoline_kernelINS0_14default_configENS1_25partition_config_selectorILNS1_17partition_subalgoE9EllbEEZZNS1_14partition_implILS5_9ELb0ES3_jPKlN6thrust23THRUST_200600_302600_NS17counting_iteratorIlNSB_11use_defaultESD_SD_EEPNS0_10empty_typeENS0_5tupleIJPlSF_EEENSH_IJSI_SG_EEENS0_18inequality_wrapperIN6hipcub16HIPCUB_304000_NS8EqualityEEESI_JSF_EEE10hipError_tPvRmT3_T4_T5_T6_T7_T9_mT8_P12ihipStream_tbDpT10_ENKUlT_T0_E_clISt17integral_constantIbLb1EES18_IbLb0EEEEDaS14_S15_EUlS14_E_NS1_11comp_targetILNS1_3genE8ELNS1_11target_archE1030ELNS1_3gpuE2ELNS1_3repE0EEENS1_30default_config_static_selectorELNS0_4arch9wavefront6targetE0EEEvT1_ ; -- Begin function _ZN7rocprim17ROCPRIM_400000_NS6detail17trampoline_kernelINS0_14default_configENS1_25partition_config_selectorILNS1_17partition_subalgoE9EllbEEZZNS1_14partition_implILS5_9ELb0ES3_jPKlN6thrust23THRUST_200600_302600_NS17counting_iteratorIlNSB_11use_defaultESD_SD_EEPNS0_10empty_typeENS0_5tupleIJPlSF_EEENSH_IJSI_SG_EEENS0_18inequality_wrapperIN6hipcub16HIPCUB_304000_NS8EqualityEEESI_JSF_EEE10hipError_tPvRmT3_T4_T5_T6_T7_T9_mT8_P12ihipStream_tbDpT10_ENKUlT_T0_E_clISt17integral_constantIbLb1EES18_IbLb0EEEEDaS14_S15_EUlS14_E_NS1_11comp_targetILNS1_3genE8ELNS1_11target_archE1030ELNS1_3gpuE2ELNS1_3repE0EEENS1_30default_config_static_selectorELNS0_4arch9wavefront6targetE0EEEvT1_
	.globl	_ZN7rocprim17ROCPRIM_400000_NS6detail17trampoline_kernelINS0_14default_configENS1_25partition_config_selectorILNS1_17partition_subalgoE9EllbEEZZNS1_14partition_implILS5_9ELb0ES3_jPKlN6thrust23THRUST_200600_302600_NS17counting_iteratorIlNSB_11use_defaultESD_SD_EEPNS0_10empty_typeENS0_5tupleIJPlSF_EEENSH_IJSI_SG_EEENS0_18inequality_wrapperIN6hipcub16HIPCUB_304000_NS8EqualityEEESI_JSF_EEE10hipError_tPvRmT3_T4_T5_T6_T7_T9_mT8_P12ihipStream_tbDpT10_ENKUlT_T0_E_clISt17integral_constantIbLb1EES18_IbLb0EEEEDaS14_S15_EUlS14_E_NS1_11comp_targetILNS1_3genE8ELNS1_11target_archE1030ELNS1_3gpuE2ELNS1_3repE0EEENS1_30default_config_static_selectorELNS0_4arch9wavefront6targetE0EEEvT1_
	.p2align	8
	.type	_ZN7rocprim17ROCPRIM_400000_NS6detail17trampoline_kernelINS0_14default_configENS1_25partition_config_selectorILNS1_17partition_subalgoE9EllbEEZZNS1_14partition_implILS5_9ELb0ES3_jPKlN6thrust23THRUST_200600_302600_NS17counting_iteratorIlNSB_11use_defaultESD_SD_EEPNS0_10empty_typeENS0_5tupleIJPlSF_EEENSH_IJSI_SG_EEENS0_18inequality_wrapperIN6hipcub16HIPCUB_304000_NS8EqualityEEESI_JSF_EEE10hipError_tPvRmT3_T4_T5_T6_T7_T9_mT8_P12ihipStream_tbDpT10_ENKUlT_T0_E_clISt17integral_constantIbLb1EES18_IbLb0EEEEDaS14_S15_EUlS14_E_NS1_11comp_targetILNS1_3genE8ELNS1_11target_archE1030ELNS1_3gpuE2ELNS1_3repE0EEENS1_30default_config_static_selectorELNS0_4arch9wavefront6targetE0EEEvT1_,@function
_ZN7rocprim17ROCPRIM_400000_NS6detail17trampoline_kernelINS0_14default_configENS1_25partition_config_selectorILNS1_17partition_subalgoE9EllbEEZZNS1_14partition_implILS5_9ELb0ES3_jPKlN6thrust23THRUST_200600_302600_NS17counting_iteratorIlNSB_11use_defaultESD_SD_EEPNS0_10empty_typeENS0_5tupleIJPlSF_EEENSH_IJSI_SG_EEENS0_18inequality_wrapperIN6hipcub16HIPCUB_304000_NS8EqualityEEESI_JSF_EEE10hipError_tPvRmT3_T4_T5_T6_T7_T9_mT8_P12ihipStream_tbDpT10_ENKUlT_T0_E_clISt17integral_constantIbLb1EES18_IbLb0EEEEDaS14_S15_EUlS14_E_NS1_11comp_targetILNS1_3genE8ELNS1_11target_archE1030ELNS1_3gpuE2ELNS1_3repE0EEENS1_30default_config_static_selectorELNS0_4arch9wavefront6targetE0EEEvT1_: ; @_ZN7rocprim17ROCPRIM_400000_NS6detail17trampoline_kernelINS0_14default_configENS1_25partition_config_selectorILNS1_17partition_subalgoE9EllbEEZZNS1_14partition_implILS5_9ELb0ES3_jPKlN6thrust23THRUST_200600_302600_NS17counting_iteratorIlNSB_11use_defaultESD_SD_EEPNS0_10empty_typeENS0_5tupleIJPlSF_EEENSH_IJSI_SG_EEENS0_18inequality_wrapperIN6hipcub16HIPCUB_304000_NS8EqualityEEESI_JSF_EEE10hipError_tPvRmT3_T4_T5_T6_T7_T9_mT8_P12ihipStream_tbDpT10_ENKUlT_T0_E_clISt17integral_constantIbLb1EES18_IbLb0EEEEDaS14_S15_EUlS14_E_NS1_11comp_targetILNS1_3genE8ELNS1_11target_archE1030ELNS1_3gpuE2ELNS1_3repE0EEENS1_30default_config_static_selectorELNS0_4arch9wavefront6targetE0EEEvT1_
; %bb.0:
	.section	.rodata,"a",@progbits
	.p2align	6, 0x0
	.amdhsa_kernel _ZN7rocprim17ROCPRIM_400000_NS6detail17trampoline_kernelINS0_14default_configENS1_25partition_config_selectorILNS1_17partition_subalgoE9EllbEEZZNS1_14partition_implILS5_9ELb0ES3_jPKlN6thrust23THRUST_200600_302600_NS17counting_iteratorIlNSB_11use_defaultESD_SD_EEPNS0_10empty_typeENS0_5tupleIJPlSF_EEENSH_IJSI_SG_EEENS0_18inequality_wrapperIN6hipcub16HIPCUB_304000_NS8EqualityEEESI_JSF_EEE10hipError_tPvRmT3_T4_T5_T6_T7_T9_mT8_P12ihipStream_tbDpT10_ENKUlT_T0_E_clISt17integral_constantIbLb1EES18_IbLb0EEEEDaS14_S15_EUlS14_E_NS1_11comp_targetILNS1_3genE8ELNS1_11target_archE1030ELNS1_3gpuE2ELNS1_3repE0EEENS1_30default_config_static_selectorELNS0_4arch9wavefront6targetE0EEEvT1_
		.amdhsa_group_segment_fixed_size 0
		.amdhsa_private_segment_fixed_size 0
		.amdhsa_kernarg_size 112
		.amdhsa_user_sgpr_count 2
		.amdhsa_user_sgpr_dispatch_ptr 0
		.amdhsa_user_sgpr_queue_ptr 0
		.amdhsa_user_sgpr_kernarg_segment_ptr 1
		.amdhsa_user_sgpr_dispatch_id 0
		.amdhsa_user_sgpr_kernarg_preload_length 0
		.amdhsa_user_sgpr_kernarg_preload_offset 0
		.amdhsa_user_sgpr_private_segment_size 0
		.amdhsa_wavefront_size32 1
		.amdhsa_uses_dynamic_stack 0
		.amdhsa_enable_private_segment 0
		.amdhsa_system_sgpr_workgroup_id_x 1
		.amdhsa_system_sgpr_workgroup_id_y 0
		.amdhsa_system_sgpr_workgroup_id_z 0
		.amdhsa_system_sgpr_workgroup_info 0
		.amdhsa_system_vgpr_workitem_id 0
		.amdhsa_next_free_vgpr 1
		.amdhsa_next_free_sgpr 1
		.amdhsa_named_barrier_count 0
		.amdhsa_reserve_vcc 0
		.amdhsa_float_round_mode_32 0
		.amdhsa_float_round_mode_16_64 0
		.amdhsa_float_denorm_mode_32 3
		.amdhsa_float_denorm_mode_16_64 3
		.amdhsa_fp16_overflow 0
		.amdhsa_memory_ordered 1
		.amdhsa_forward_progress 1
		.amdhsa_inst_pref_size 0
		.amdhsa_round_robin_scheduling 0
		.amdhsa_exception_fp_ieee_invalid_op 0
		.amdhsa_exception_fp_denorm_src 0
		.amdhsa_exception_fp_ieee_div_zero 0
		.amdhsa_exception_fp_ieee_overflow 0
		.amdhsa_exception_fp_ieee_underflow 0
		.amdhsa_exception_fp_ieee_inexact 0
		.amdhsa_exception_int_div_zero 0
	.end_amdhsa_kernel
	.section	.text._ZN7rocprim17ROCPRIM_400000_NS6detail17trampoline_kernelINS0_14default_configENS1_25partition_config_selectorILNS1_17partition_subalgoE9EllbEEZZNS1_14partition_implILS5_9ELb0ES3_jPKlN6thrust23THRUST_200600_302600_NS17counting_iteratorIlNSB_11use_defaultESD_SD_EEPNS0_10empty_typeENS0_5tupleIJPlSF_EEENSH_IJSI_SG_EEENS0_18inequality_wrapperIN6hipcub16HIPCUB_304000_NS8EqualityEEESI_JSF_EEE10hipError_tPvRmT3_T4_T5_T6_T7_T9_mT8_P12ihipStream_tbDpT10_ENKUlT_T0_E_clISt17integral_constantIbLb1EES18_IbLb0EEEEDaS14_S15_EUlS14_E_NS1_11comp_targetILNS1_3genE8ELNS1_11target_archE1030ELNS1_3gpuE2ELNS1_3repE0EEENS1_30default_config_static_selectorELNS0_4arch9wavefront6targetE0EEEvT1_,"axG",@progbits,_ZN7rocprim17ROCPRIM_400000_NS6detail17trampoline_kernelINS0_14default_configENS1_25partition_config_selectorILNS1_17partition_subalgoE9EllbEEZZNS1_14partition_implILS5_9ELb0ES3_jPKlN6thrust23THRUST_200600_302600_NS17counting_iteratorIlNSB_11use_defaultESD_SD_EEPNS0_10empty_typeENS0_5tupleIJPlSF_EEENSH_IJSI_SG_EEENS0_18inequality_wrapperIN6hipcub16HIPCUB_304000_NS8EqualityEEESI_JSF_EEE10hipError_tPvRmT3_T4_T5_T6_T7_T9_mT8_P12ihipStream_tbDpT10_ENKUlT_T0_E_clISt17integral_constantIbLb1EES18_IbLb0EEEEDaS14_S15_EUlS14_E_NS1_11comp_targetILNS1_3genE8ELNS1_11target_archE1030ELNS1_3gpuE2ELNS1_3repE0EEENS1_30default_config_static_selectorELNS0_4arch9wavefront6targetE0EEEvT1_,comdat
.Lfunc_end67:
	.size	_ZN7rocprim17ROCPRIM_400000_NS6detail17trampoline_kernelINS0_14default_configENS1_25partition_config_selectorILNS1_17partition_subalgoE9EllbEEZZNS1_14partition_implILS5_9ELb0ES3_jPKlN6thrust23THRUST_200600_302600_NS17counting_iteratorIlNSB_11use_defaultESD_SD_EEPNS0_10empty_typeENS0_5tupleIJPlSF_EEENSH_IJSI_SG_EEENS0_18inequality_wrapperIN6hipcub16HIPCUB_304000_NS8EqualityEEESI_JSF_EEE10hipError_tPvRmT3_T4_T5_T6_T7_T9_mT8_P12ihipStream_tbDpT10_ENKUlT_T0_E_clISt17integral_constantIbLb1EES18_IbLb0EEEEDaS14_S15_EUlS14_E_NS1_11comp_targetILNS1_3genE8ELNS1_11target_archE1030ELNS1_3gpuE2ELNS1_3repE0EEENS1_30default_config_static_selectorELNS0_4arch9wavefront6targetE0EEEvT1_, .Lfunc_end67-_ZN7rocprim17ROCPRIM_400000_NS6detail17trampoline_kernelINS0_14default_configENS1_25partition_config_selectorILNS1_17partition_subalgoE9EllbEEZZNS1_14partition_implILS5_9ELb0ES3_jPKlN6thrust23THRUST_200600_302600_NS17counting_iteratorIlNSB_11use_defaultESD_SD_EEPNS0_10empty_typeENS0_5tupleIJPlSF_EEENSH_IJSI_SG_EEENS0_18inequality_wrapperIN6hipcub16HIPCUB_304000_NS8EqualityEEESI_JSF_EEE10hipError_tPvRmT3_T4_T5_T6_T7_T9_mT8_P12ihipStream_tbDpT10_ENKUlT_T0_E_clISt17integral_constantIbLb1EES18_IbLb0EEEEDaS14_S15_EUlS14_E_NS1_11comp_targetILNS1_3genE8ELNS1_11target_archE1030ELNS1_3gpuE2ELNS1_3repE0EEENS1_30default_config_static_selectorELNS0_4arch9wavefront6targetE0EEEvT1_
                                        ; -- End function
	.set _ZN7rocprim17ROCPRIM_400000_NS6detail17trampoline_kernelINS0_14default_configENS1_25partition_config_selectorILNS1_17partition_subalgoE9EllbEEZZNS1_14partition_implILS5_9ELb0ES3_jPKlN6thrust23THRUST_200600_302600_NS17counting_iteratorIlNSB_11use_defaultESD_SD_EEPNS0_10empty_typeENS0_5tupleIJPlSF_EEENSH_IJSI_SG_EEENS0_18inequality_wrapperIN6hipcub16HIPCUB_304000_NS8EqualityEEESI_JSF_EEE10hipError_tPvRmT3_T4_T5_T6_T7_T9_mT8_P12ihipStream_tbDpT10_ENKUlT_T0_E_clISt17integral_constantIbLb1EES18_IbLb0EEEEDaS14_S15_EUlS14_E_NS1_11comp_targetILNS1_3genE8ELNS1_11target_archE1030ELNS1_3gpuE2ELNS1_3repE0EEENS1_30default_config_static_selectorELNS0_4arch9wavefront6targetE0EEEvT1_.num_vgpr, 0
	.set _ZN7rocprim17ROCPRIM_400000_NS6detail17trampoline_kernelINS0_14default_configENS1_25partition_config_selectorILNS1_17partition_subalgoE9EllbEEZZNS1_14partition_implILS5_9ELb0ES3_jPKlN6thrust23THRUST_200600_302600_NS17counting_iteratorIlNSB_11use_defaultESD_SD_EEPNS0_10empty_typeENS0_5tupleIJPlSF_EEENSH_IJSI_SG_EEENS0_18inequality_wrapperIN6hipcub16HIPCUB_304000_NS8EqualityEEESI_JSF_EEE10hipError_tPvRmT3_T4_T5_T6_T7_T9_mT8_P12ihipStream_tbDpT10_ENKUlT_T0_E_clISt17integral_constantIbLb1EES18_IbLb0EEEEDaS14_S15_EUlS14_E_NS1_11comp_targetILNS1_3genE8ELNS1_11target_archE1030ELNS1_3gpuE2ELNS1_3repE0EEENS1_30default_config_static_selectorELNS0_4arch9wavefront6targetE0EEEvT1_.num_agpr, 0
	.set _ZN7rocprim17ROCPRIM_400000_NS6detail17trampoline_kernelINS0_14default_configENS1_25partition_config_selectorILNS1_17partition_subalgoE9EllbEEZZNS1_14partition_implILS5_9ELb0ES3_jPKlN6thrust23THRUST_200600_302600_NS17counting_iteratorIlNSB_11use_defaultESD_SD_EEPNS0_10empty_typeENS0_5tupleIJPlSF_EEENSH_IJSI_SG_EEENS0_18inequality_wrapperIN6hipcub16HIPCUB_304000_NS8EqualityEEESI_JSF_EEE10hipError_tPvRmT3_T4_T5_T6_T7_T9_mT8_P12ihipStream_tbDpT10_ENKUlT_T0_E_clISt17integral_constantIbLb1EES18_IbLb0EEEEDaS14_S15_EUlS14_E_NS1_11comp_targetILNS1_3genE8ELNS1_11target_archE1030ELNS1_3gpuE2ELNS1_3repE0EEENS1_30default_config_static_selectorELNS0_4arch9wavefront6targetE0EEEvT1_.numbered_sgpr, 0
	.set _ZN7rocprim17ROCPRIM_400000_NS6detail17trampoline_kernelINS0_14default_configENS1_25partition_config_selectorILNS1_17partition_subalgoE9EllbEEZZNS1_14partition_implILS5_9ELb0ES3_jPKlN6thrust23THRUST_200600_302600_NS17counting_iteratorIlNSB_11use_defaultESD_SD_EEPNS0_10empty_typeENS0_5tupleIJPlSF_EEENSH_IJSI_SG_EEENS0_18inequality_wrapperIN6hipcub16HIPCUB_304000_NS8EqualityEEESI_JSF_EEE10hipError_tPvRmT3_T4_T5_T6_T7_T9_mT8_P12ihipStream_tbDpT10_ENKUlT_T0_E_clISt17integral_constantIbLb1EES18_IbLb0EEEEDaS14_S15_EUlS14_E_NS1_11comp_targetILNS1_3genE8ELNS1_11target_archE1030ELNS1_3gpuE2ELNS1_3repE0EEENS1_30default_config_static_selectorELNS0_4arch9wavefront6targetE0EEEvT1_.num_named_barrier, 0
	.set _ZN7rocprim17ROCPRIM_400000_NS6detail17trampoline_kernelINS0_14default_configENS1_25partition_config_selectorILNS1_17partition_subalgoE9EllbEEZZNS1_14partition_implILS5_9ELb0ES3_jPKlN6thrust23THRUST_200600_302600_NS17counting_iteratorIlNSB_11use_defaultESD_SD_EEPNS0_10empty_typeENS0_5tupleIJPlSF_EEENSH_IJSI_SG_EEENS0_18inequality_wrapperIN6hipcub16HIPCUB_304000_NS8EqualityEEESI_JSF_EEE10hipError_tPvRmT3_T4_T5_T6_T7_T9_mT8_P12ihipStream_tbDpT10_ENKUlT_T0_E_clISt17integral_constantIbLb1EES18_IbLb0EEEEDaS14_S15_EUlS14_E_NS1_11comp_targetILNS1_3genE8ELNS1_11target_archE1030ELNS1_3gpuE2ELNS1_3repE0EEENS1_30default_config_static_selectorELNS0_4arch9wavefront6targetE0EEEvT1_.private_seg_size, 0
	.set _ZN7rocprim17ROCPRIM_400000_NS6detail17trampoline_kernelINS0_14default_configENS1_25partition_config_selectorILNS1_17partition_subalgoE9EllbEEZZNS1_14partition_implILS5_9ELb0ES3_jPKlN6thrust23THRUST_200600_302600_NS17counting_iteratorIlNSB_11use_defaultESD_SD_EEPNS0_10empty_typeENS0_5tupleIJPlSF_EEENSH_IJSI_SG_EEENS0_18inequality_wrapperIN6hipcub16HIPCUB_304000_NS8EqualityEEESI_JSF_EEE10hipError_tPvRmT3_T4_T5_T6_T7_T9_mT8_P12ihipStream_tbDpT10_ENKUlT_T0_E_clISt17integral_constantIbLb1EES18_IbLb0EEEEDaS14_S15_EUlS14_E_NS1_11comp_targetILNS1_3genE8ELNS1_11target_archE1030ELNS1_3gpuE2ELNS1_3repE0EEENS1_30default_config_static_selectorELNS0_4arch9wavefront6targetE0EEEvT1_.uses_vcc, 0
	.set _ZN7rocprim17ROCPRIM_400000_NS6detail17trampoline_kernelINS0_14default_configENS1_25partition_config_selectorILNS1_17partition_subalgoE9EllbEEZZNS1_14partition_implILS5_9ELb0ES3_jPKlN6thrust23THRUST_200600_302600_NS17counting_iteratorIlNSB_11use_defaultESD_SD_EEPNS0_10empty_typeENS0_5tupleIJPlSF_EEENSH_IJSI_SG_EEENS0_18inequality_wrapperIN6hipcub16HIPCUB_304000_NS8EqualityEEESI_JSF_EEE10hipError_tPvRmT3_T4_T5_T6_T7_T9_mT8_P12ihipStream_tbDpT10_ENKUlT_T0_E_clISt17integral_constantIbLb1EES18_IbLb0EEEEDaS14_S15_EUlS14_E_NS1_11comp_targetILNS1_3genE8ELNS1_11target_archE1030ELNS1_3gpuE2ELNS1_3repE0EEENS1_30default_config_static_selectorELNS0_4arch9wavefront6targetE0EEEvT1_.uses_flat_scratch, 0
	.set _ZN7rocprim17ROCPRIM_400000_NS6detail17trampoline_kernelINS0_14default_configENS1_25partition_config_selectorILNS1_17partition_subalgoE9EllbEEZZNS1_14partition_implILS5_9ELb0ES3_jPKlN6thrust23THRUST_200600_302600_NS17counting_iteratorIlNSB_11use_defaultESD_SD_EEPNS0_10empty_typeENS0_5tupleIJPlSF_EEENSH_IJSI_SG_EEENS0_18inequality_wrapperIN6hipcub16HIPCUB_304000_NS8EqualityEEESI_JSF_EEE10hipError_tPvRmT3_T4_T5_T6_T7_T9_mT8_P12ihipStream_tbDpT10_ENKUlT_T0_E_clISt17integral_constantIbLb1EES18_IbLb0EEEEDaS14_S15_EUlS14_E_NS1_11comp_targetILNS1_3genE8ELNS1_11target_archE1030ELNS1_3gpuE2ELNS1_3repE0EEENS1_30default_config_static_selectorELNS0_4arch9wavefront6targetE0EEEvT1_.has_dyn_sized_stack, 0
	.set _ZN7rocprim17ROCPRIM_400000_NS6detail17trampoline_kernelINS0_14default_configENS1_25partition_config_selectorILNS1_17partition_subalgoE9EllbEEZZNS1_14partition_implILS5_9ELb0ES3_jPKlN6thrust23THRUST_200600_302600_NS17counting_iteratorIlNSB_11use_defaultESD_SD_EEPNS0_10empty_typeENS0_5tupleIJPlSF_EEENSH_IJSI_SG_EEENS0_18inequality_wrapperIN6hipcub16HIPCUB_304000_NS8EqualityEEESI_JSF_EEE10hipError_tPvRmT3_T4_T5_T6_T7_T9_mT8_P12ihipStream_tbDpT10_ENKUlT_T0_E_clISt17integral_constantIbLb1EES18_IbLb0EEEEDaS14_S15_EUlS14_E_NS1_11comp_targetILNS1_3genE8ELNS1_11target_archE1030ELNS1_3gpuE2ELNS1_3repE0EEENS1_30default_config_static_selectorELNS0_4arch9wavefront6targetE0EEEvT1_.has_recursion, 0
	.set _ZN7rocprim17ROCPRIM_400000_NS6detail17trampoline_kernelINS0_14default_configENS1_25partition_config_selectorILNS1_17partition_subalgoE9EllbEEZZNS1_14partition_implILS5_9ELb0ES3_jPKlN6thrust23THRUST_200600_302600_NS17counting_iteratorIlNSB_11use_defaultESD_SD_EEPNS0_10empty_typeENS0_5tupleIJPlSF_EEENSH_IJSI_SG_EEENS0_18inequality_wrapperIN6hipcub16HIPCUB_304000_NS8EqualityEEESI_JSF_EEE10hipError_tPvRmT3_T4_T5_T6_T7_T9_mT8_P12ihipStream_tbDpT10_ENKUlT_T0_E_clISt17integral_constantIbLb1EES18_IbLb0EEEEDaS14_S15_EUlS14_E_NS1_11comp_targetILNS1_3genE8ELNS1_11target_archE1030ELNS1_3gpuE2ELNS1_3repE0EEENS1_30default_config_static_selectorELNS0_4arch9wavefront6targetE0EEEvT1_.has_indirect_call, 0
	.section	.AMDGPU.csdata,"",@progbits
; Kernel info:
; codeLenInByte = 0
; TotalNumSgprs: 0
; NumVgprs: 0
; ScratchSize: 0
; MemoryBound: 0
; FloatMode: 240
; IeeeMode: 1
; LDSByteSize: 0 bytes/workgroup (compile time only)
; SGPRBlocks: 0
; VGPRBlocks: 0
; NumSGPRsForWavesPerEU: 1
; NumVGPRsForWavesPerEU: 1
; NamedBarCnt: 0
; Occupancy: 16
; WaveLimiterHint : 0
; COMPUTE_PGM_RSRC2:SCRATCH_EN: 0
; COMPUTE_PGM_RSRC2:USER_SGPR: 2
; COMPUTE_PGM_RSRC2:TRAP_HANDLER: 0
; COMPUTE_PGM_RSRC2:TGID_X_EN: 1
; COMPUTE_PGM_RSRC2:TGID_Y_EN: 0
; COMPUTE_PGM_RSRC2:TGID_Z_EN: 0
; COMPUTE_PGM_RSRC2:TIDIG_COMP_CNT: 0
	.section	.text._ZN7rocprim17ROCPRIM_400000_NS6detail17trampoline_kernelINS0_14default_configENS1_25partition_config_selectorILNS1_17partition_subalgoE9EllbEEZZNS1_14partition_implILS5_9ELb0ES3_jPKlN6thrust23THRUST_200600_302600_NS17counting_iteratorIlNSB_11use_defaultESD_SD_EEPNS0_10empty_typeENS0_5tupleIJPlSF_EEENSH_IJSI_SG_EEENS0_18inequality_wrapperIN6hipcub16HIPCUB_304000_NS8EqualityEEESI_JSF_EEE10hipError_tPvRmT3_T4_T5_T6_T7_T9_mT8_P12ihipStream_tbDpT10_ENKUlT_T0_E_clISt17integral_constantIbLb0EES18_IbLb1EEEEDaS14_S15_EUlS14_E_NS1_11comp_targetILNS1_3genE0ELNS1_11target_archE4294967295ELNS1_3gpuE0ELNS1_3repE0EEENS1_30default_config_static_selectorELNS0_4arch9wavefront6targetE0EEEvT1_,"axG",@progbits,_ZN7rocprim17ROCPRIM_400000_NS6detail17trampoline_kernelINS0_14default_configENS1_25partition_config_selectorILNS1_17partition_subalgoE9EllbEEZZNS1_14partition_implILS5_9ELb0ES3_jPKlN6thrust23THRUST_200600_302600_NS17counting_iteratorIlNSB_11use_defaultESD_SD_EEPNS0_10empty_typeENS0_5tupleIJPlSF_EEENSH_IJSI_SG_EEENS0_18inequality_wrapperIN6hipcub16HIPCUB_304000_NS8EqualityEEESI_JSF_EEE10hipError_tPvRmT3_T4_T5_T6_T7_T9_mT8_P12ihipStream_tbDpT10_ENKUlT_T0_E_clISt17integral_constantIbLb0EES18_IbLb1EEEEDaS14_S15_EUlS14_E_NS1_11comp_targetILNS1_3genE0ELNS1_11target_archE4294967295ELNS1_3gpuE0ELNS1_3repE0EEENS1_30default_config_static_selectorELNS0_4arch9wavefront6targetE0EEEvT1_,comdat
	.protected	_ZN7rocprim17ROCPRIM_400000_NS6detail17trampoline_kernelINS0_14default_configENS1_25partition_config_selectorILNS1_17partition_subalgoE9EllbEEZZNS1_14partition_implILS5_9ELb0ES3_jPKlN6thrust23THRUST_200600_302600_NS17counting_iteratorIlNSB_11use_defaultESD_SD_EEPNS0_10empty_typeENS0_5tupleIJPlSF_EEENSH_IJSI_SG_EEENS0_18inequality_wrapperIN6hipcub16HIPCUB_304000_NS8EqualityEEESI_JSF_EEE10hipError_tPvRmT3_T4_T5_T6_T7_T9_mT8_P12ihipStream_tbDpT10_ENKUlT_T0_E_clISt17integral_constantIbLb0EES18_IbLb1EEEEDaS14_S15_EUlS14_E_NS1_11comp_targetILNS1_3genE0ELNS1_11target_archE4294967295ELNS1_3gpuE0ELNS1_3repE0EEENS1_30default_config_static_selectorELNS0_4arch9wavefront6targetE0EEEvT1_ ; -- Begin function _ZN7rocprim17ROCPRIM_400000_NS6detail17trampoline_kernelINS0_14default_configENS1_25partition_config_selectorILNS1_17partition_subalgoE9EllbEEZZNS1_14partition_implILS5_9ELb0ES3_jPKlN6thrust23THRUST_200600_302600_NS17counting_iteratorIlNSB_11use_defaultESD_SD_EEPNS0_10empty_typeENS0_5tupleIJPlSF_EEENSH_IJSI_SG_EEENS0_18inequality_wrapperIN6hipcub16HIPCUB_304000_NS8EqualityEEESI_JSF_EEE10hipError_tPvRmT3_T4_T5_T6_T7_T9_mT8_P12ihipStream_tbDpT10_ENKUlT_T0_E_clISt17integral_constantIbLb0EES18_IbLb1EEEEDaS14_S15_EUlS14_E_NS1_11comp_targetILNS1_3genE0ELNS1_11target_archE4294967295ELNS1_3gpuE0ELNS1_3repE0EEENS1_30default_config_static_selectorELNS0_4arch9wavefront6targetE0EEEvT1_
	.globl	_ZN7rocprim17ROCPRIM_400000_NS6detail17trampoline_kernelINS0_14default_configENS1_25partition_config_selectorILNS1_17partition_subalgoE9EllbEEZZNS1_14partition_implILS5_9ELb0ES3_jPKlN6thrust23THRUST_200600_302600_NS17counting_iteratorIlNSB_11use_defaultESD_SD_EEPNS0_10empty_typeENS0_5tupleIJPlSF_EEENSH_IJSI_SG_EEENS0_18inequality_wrapperIN6hipcub16HIPCUB_304000_NS8EqualityEEESI_JSF_EEE10hipError_tPvRmT3_T4_T5_T6_T7_T9_mT8_P12ihipStream_tbDpT10_ENKUlT_T0_E_clISt17integral_constantIbLb0EES18_IbLb1EEEEDaS14_S15_EUlS14_E_NS1_11comp_targetILNS1_3genE0ELNS1_11target_archE4294967295ELNS1_3gpuE0ELNS1_3repE0EEENS1_30default_config_static_selectorELNS0_4arch9wavefront6targetE0EEEvT1_
	.p2align	8
	.type	_ZN7rocprim17ROCPRIM_400000_NS6detail17trampoline_kernelINS0_14default_configENS1_25partition_config_selectorILNS1_17partition_subalgoE9EllbEEZZNS1_14partition_implILS5_9ELb0ES3_jPKlN6thrust23THRUST_200600_302600_NS17counting_iteratorIlNSB_11use_defaultESD_SD_EEPNS0_10empty_typeENS0_5tupleIJPlSF_EEENSH_IJSI_SG_EEENS0_18inequality_wrapperIN6hipcub16HIPCUB_304000_NS8EqualityEEESI_JSF_EEE10hipError_tPvRmT3_T4_T5_T6_T7_T9_mT8_P12ihipStream_tbDpT10_ENKUlT_T0_E_clISt17integral_constantIbLb0EES18_IbLb1EEEEDaS14_S15_EUlS14_E_NS1_11comp_targetILNS1_3genE0ELNS1_11target_archE4294967295ELNS1_3gpuE0ELNS1_3repE0EEENS1_30default_config_static_selectorELNS0_4arch9wavefront6targetE0EEEvT1_,@function
_ZN7rocprim17ROCPRIM_400000_NS6detail17trampoline_kernelINS0_14default_configENS1_25partition_config_selectorILNS1_17partition_subalgoE9EllbEEZZNS1_14partition_implILS5_9ELb0ES3_jPKlN6thrust23THRUST_200600_302600_NS17counting_iteratorIlNSB_11use_defaultESD_SD_EEPNS0_10empty_typeENS0_5tupleIJPlSF_EEENSH_IJSI_SG_EEENS0_18inequality_wrapperIN6hipcub16HIPCUB_304000_NS8EqualityEEESI_JSF_EEE10hipError_tPvRmT3_T4_T5_T6_T7_T9_mT8_P12ihipStream_tbDpT10_ENKUlT_T0_E_clISt17integral_constantIbLb0EES18_IbLb1EEEEDaS14_S15_EUlS14_E_NS1_11comp_targetILNS1_3genE0ELNS1_11target_archE4294967295ELNS1_3gpuE0ELNS1_3repE0EEENS1_30default_config_static_selectorELNS0_4arch9wavefront6targetE0EEEvT1_: ; @_ZN7rocprim17ROCPRIM_400000_NS6detail17trampoline_kernelINS0_14default_configENS1_25partition_config_selectorILNS1_17partition_subalgoE9EllbEEZZNS1_14partition_implILS5_9ELb0ES3_jPKlN6thrust23THRUST_200600_302600_NS17counting_iteratorIlNSB_11use_defaultESD_SD_EEPNS0_10empty_typeENS0_5tupleIJPlSF_EEENSH_IJSI_SG_EEENS0_18inequality_wrapperIN6hipcub16HIPCUB_304000_NS8EqualityEEESI_JSF_EEE10hipError_tPvRmT3_T4_T5_T6_T7_T9_mT8_P12ihipStream_tbDpT10_ENKUlT_T0_E_clISt17integral_constantIbLb0EES18_IbLb1EEEEDaS14_S15_EUlS14_E_NS1_11comp_targetILNS1_3genE0ELNS1_11target_archE4294967295ELNS1_3gpuE0ELNS1_3repE0EEENS1_30default_config_static_selectorELNS0_4arch9wavefront6targetE0EEEvT1_
; %bb.0:
	s_clause 0x4
	s_load_b128 s[4:7], s[0:1], 0x8
	s_load_b64 s[8:9], s[0:1], 0x18
	s_load_b128 s[12:15], s[0:1], 0x40
	s_load_b64 s[10:11], s[0:1], 0x50
	s_load_b64 s[20:21], s[0:1], 0x60
	v_cmp_ne_u32_e64 s3, 0, v0
	v_cmp_eq_u32_e64 s2, 0, v0
	s_and_saveexec_b32 s16, s2
	s_cbranch_execz .LBB68_4
; %bb.1:
	s_mov_b32 s18, exec_lo
	s_mov_b32 s17, exec_lo
	v_mbcnt_lo_u32_b32 v1, s18, 0
                                        ; implicit-def: $vgpr2
	s_delay_alu instid0(VALU_DEP_1)
	v_cmpx_eq_u32_e32 0, v1
	s_cbranch_execz .LBB68_3
; %bb.2:
	s_load_b64 s[22:23], s[0:1], 0x70
	s_bcnt1_i32_b32 s18, s18
	s_delay_alu instid0(SALU_CYCLE_1)
	v_dual_mov_b32 v2, 0 :: v_dual_mov_b32 v3, s18
	s_wait_xcnt 0x0
	s_wait_kmcnt 0x0
	global_atomic_add_u32 v2, v2, v3, s[22:23] th:TH_ATOMIC_RETURN scope:SCOPE_DEV
.LBB68_3:
	s_wait_xcnt 0x0
	s_or_b32 exec_lo, exec_lo, s17
	s_wait_loadcnt 0x0
	v_readfirstlane_b32 s17, v2
	s_delay_alu instid0(VALU_DEP_1)
	v_dual_mov_b32 v2, 0 :: v_dual_add_nc_u32 v1, s17, v1
	ds_store_b32 v2, v1
.LBB68_4:
	s_or_b32 exec_lo, exec_lo, s16
	v_dual_mov_b32 v1, 0 :: v_dual_lshlrev_b32 v34, 3, v0
	s_clause 0x1
	s_load_b128 s[16:19], s[0:1], 0x28
	s_load_b32 s22, s[0:1], 0x68
	s_wait_dscnt 0x0
	s_barrier_signal -1
	s_barrier_wait -1
	ds_load_b32 v4, v1
	s_wait_dscnt 0x0
	s_barrier_signal -1
	s_barrier_wait -1
	s_wait_kmcnt 0x0
	global_load_b64 v[2:3], v1, s[14:15]
	s_wait_xcnt 0x0
	s_mov_b32 s15, 0
	s_lshl_b64 s[0:1], s[6:7], 3
	s_mov_b32 s27, -1
	s_add_nc_u64 s[0:1], s[4:5], s[0:1]
	s_mul_i32 s14, s22, 0x280
	s_add_co_i32 s22, s22, -1
	s_add_nc_u64 s[28:29], s[6:7], s[14:15]
	s_add_co_i32 s14, s14, s6
	v_cmp_le_u64_e64 s11, s[10:11], s[28:29]
	v_readfirstlane_b32 s24, v4
	s_sub_co_i32 s26, s10, s14
	s_cmp_eq_u32 s24, s22
	s_mul_i32 s14, s24, 0x280
	s_cselect_b32 s22, -1, 0
	s_lshl_b64 s[4:5], s[14:15], 3
	s_and_b32 s25, s11, s22
	s_add_nc_u64 s[0:1], s[0:1], s[4:5]
	s_xor_b32 s23, s25, -1
	s_delay_alu instid0(SALU_CYCLE_1)
	s_and_b32 vcc_lo, exec_lo, s23
	s_wait_loadcnt 0x0
	v_readfirstlane_b32 s10, v2
	v_readfirstlane_b32 s11, v3
	s_cbranch_vccz .LBB68_6
; %bb.5:
	s_clause 0x4
	global_load_b64 v[2:3], v0, s[0:1] scale_offset
	global_load_b64 v[4:5], v0, s[0:1] offset:1024 scale_offset
	global_load_b64 v[6:7], v0, s[0:1] offset:2048 scale_offset
	;; [unrolled: 1-line block ×4, first 2 shown]
	v_lshlrev_b32_e32 v1, 3, v0
	s_mov_b32 s27, s15
	s_wait_loadcnt 0x3
	ds_store_2addr_stride64_b64 v1, v[2:3], v[4:5] offset1:2
	s_wait_loadcnt 0x1
	ds_store_2addr_stride64_b64 v1, v[6:7], v[8:9] offset0:4 offset1:6
	s_wait_loadcnt 0x0
	ds_store_b64 v1, v[10:11] offset:4096
	s_wait_dscnt 0x0
	s_barrier_signal -1
	s_barrier_wait -1
.LBB68_6:
	s_and_not1_b32 vcc_lo, exec_lo, s27
	s_addk_co_i32 s26, 0x280
	s_cbranch_vccnz .LBB68_18
; %bb.7:
	v_mov_b32_e32 v2, 0
	s_mov_b32 s4, exec_lo
	s_delay_alu instid0(VALU_DEP_1)
	v_dual_mov_b32 v3, v2 :: v_dual_mov_b32 v4, v2
	v_dual_mov_b32 v5, v2 :: v_dual_mov_b32 v6, v2
	;; [unrolled: 1-line block ×4, first 2 shown]
	v_mov_b32_e32 v11, v2
	v_cmpx_gt_u32_e64 s26, v0
	s_cbranch_execz .LBB68_9
; %bb.8:
	global_load_b64 v[4:5], v0, s[0:1] scale_offset
	v_dual_mov_b32 v6, v2 :: v_dual_mov_b32 v7, v2
	v_dual_mov_b32 v8, v2 :: v_dual_mov_b32 v9, v2
	;; [unrolled: 1-line block ×4, first 2 shown]
	s_wait_loadcnt 0x0
	v_mov_b64_e32 v[2:3], v[4:5]
	v_mov_b64_e32 v[4:5], v[6:7]
	;; [unrolled: 1-line block ×8, first 2 shown]
.LBB68_9:
	s_or_b32 exec_lo, exec_lo, s4
	v_or_b32_e32 v1, 0x80, v0
	s_mov_b32 s4, exec_lo
	s_delay_alu instid0(VALU_DEP_1)
	v_cmpx_gt_u32_e64 s26, v1
	s_cbranch_execz .LBB68_11
; %bb.10:
	global_load_b64 v[4:5], v0, s[0:1] offset:1024 scale_offset
.LBB68_11:
	s_wait_xcnt 0x0
	s_or_b32 exec_lo, exec_lo, s4
	v_or_b32_e32 v1, 0x100, v0
	s_mov_b32 s4, exec_lo
	s_delay_alu instid0(VALU_DEP_1)
	v_cmpx_gt_u32_e64 s26, v1
	s_cbranch_execz .LBB68_13
; %bb.12:
	global_load_b64 v[6:7], v0, s[0:1] offset:2048 scale_offset
.LBB68_13:
	s_wait_xcnt 0x0
	;; [unrolled: 10-line block ×4, first 2 shown]
	s_or_b32 exec_lo, exec_lo, s4
	v_lshlrev_b32_e32 v1, 3, v0
	s_wait_loadcnt 0x0
	ds_store_2addr_stride64_b64 v1, v[2:3], v[4:5] offset1:2
	ds_store_2addr_stride64_b64 v1, v[6:7], v[8:9] offset0:4 offset1:6
	ds_store_b64 v1, v[10:11] offset:4096
	s_wait_dscnt 0x0
	s_barrier_signal -1
	s_barrier_wait -1
.LBB68_18:
	v_mul_u32_u24_e32 v32, 5, v0
	s_add_nc_u64 s[4:5], s[8:9], s[6:7]
	s_and_b32 vcc_lo, exec_lo, s23
	s_add_nc_u64 s[4:5], s[4:5], s[14:15]
	s_delay_alu instid0(VALU_DEP_1)
	v_lshlrev_b32_e32 v33, 3, v32
	s_mov_b32 s8, -1
	ds_load_2addr_b64 v[14:17], v33 offset0:2 offset1:3
	ds_load_2addr_b64 v[10:13], v33 offset0:3 offset1:4
	ds_load_2addr_b64 v[18:21], v33 offset1:1
	ds_load_2addr_b64 v[22:25], v33 offset0:1 offset1:2
	s_wait_dscnt 0x0
	s_barrier_signal -1
	s_barrier_wait -1
	s_cbranch_vccz .LBB68_20
; %bb.19:
	v_mov_b32_e32 v1, 0
	s_mov_b32 s8, 0
	s_delay_alu instid0(VALU_DEP_1) | instskip(SKIP_1) | instid1(VALU_DEP_2)
	v_add_nc_u64_e32 v[2:3], s[4:5], v[0:1]
	v_lshlrev_b32_e32 v1, 3, v0
	v_add_nc_u64_e32 v[4:5], 0x80, v[2:3]
	v_add_nc_u64_e32 v[6:7], 0x100, v[2:3]
	;; [unrolled: 1-line block ×4, first 2 shown]
	ds_store_2addr_stride64_b64 v1, v[2:3], v[4:5] offset1:2
	ds_store_2addr_stride64_b64 v1, v[6:7], v[8:9] offset0:4 offset1:6
	ds_store_b64 v1, v[26:27] offset:4096
	s_wait_dscnt 0x0
	s_barrier_signal -1
	s_barrier_wait -1
.LBB68_20:
	v_lshlrev_b32_e32 v35, 5, v0
	s_and_not1_b32 vcc_lo, exec_lo, s8
	s_cbranch_vccnz .LBB68_22
; %bb.21:
	v_mov_b32_e32 v1, 0
	v_or_b32_e32 v2, 0x80, v0
	v_or_b32_e32 v4, 0x100, v0
	;; [unrolled: 1-line block ×4, first 2 shown]
	v_dual_mov_b32 v3, v1 :: v_dual_mov_b32 v5, v1
	v_dual_mov_b32 v7, v1 :: v_dual_mov_b32 v9, v1
	v_add_nc_u64_e32 v[26:27], s[4:5], v[0:1]
	s_delay_alu instid0(VALU_DEP_3) | instskip(NEXT) | instid1(VALU_DEP_4)
	v_add_nc_u64_e32 v[2:3], s[4:5], v[2:3]
	v_add_nc_u64_e32 v[4:5], s[4:5], v[4:5]
	s_delay_alu instid0(VALU_DEP_4)
	v_add_nc_u64_e32 v[6:7], s[4:5], v[6:7]
	v_add_nc_u64_e32 v[8:9], s[4:5], v[8:9]
	v_sub_nc_u32_e32 v1, v33, v35
	ds_store_2addr_stride64_b64 v1, v[26:27], v[2:3] offset1:2
	ds_store_2addr_stride64_b64 v1, v[4:5], v[6:7] offset0:4 offset1:6
	ds_store_b64 v1, v[8:9] offset:4096
	s_wait_dscnt 0x0
	s_barrier_signal -1
	s_barrier_wait -1
.LBB68_22:
	ds_load_b64 v[26:27], v33 offset:32
	ds_load_2addr_b64 v[2:5], v33 offset0:2 offset1:3
	ds_load_2addr_b64 v[6:9], v33 offset1:1
	s_cmp_lg_u32 s24, 0
	s_wait_dscnt 0x0
	s_cselect_b32 s8, -1, 0
	s_cmp_lg_u64 s[6:7], 0
	s_mov_b32 s7, 0
	s_cselect_b32 s4, -1, 0
	s_barrier_signal -1
	s_or_b32 s4, s4, s8
	s_barrier_wait -1
	s_and_b32 vcc_lo, exec_lo, s4
	s_cbranch_vccz .LBB68_27
; %bb.23:
	v_mov_b32_e32 v1, 0
	s_and_b32 vcc_lo, exec_lo, s23
	global_load_b64 v[28:29], v1, s[0:1] offset:-8
	s_wait_xcnt 0x0
	v_lshlrev_b32_e32 v1, 3, v0
	ds_store_b64 v1, v[12:13]
	s_cbranch_vccz .LBB68_29
; %bb.24:
	s_wait_loadcnt 0x0
	v_mov_b64_e32 v[30:31], v[28:29]
	s_wait_dscnt 0x0
	s_barrier_signal -1
	s_barrier_wait -1
	s_and_saveexec_b32 s0, s3
; %bb.25:
	v_add_nc_u32_e32 v30, -8, v1
	ds_load_b64 v[30:31], v30
; %bb.26:
	s_or_b32 exec_lo, exec_lo, s0
	v_cmp_ne_u64_e32 vcc_lo, v[14:15], v[16:17]
	s_wait_dscnt 0x0
	v_cmp_ne_u64_e64 s0, v[30:31], v[18:19]
	v_cndmask_b32_e64 v36, 0, 1, vcc_lo
	v_cmp_ne_u64_e32 vcc_lo, v[20:21], v[14:15]
	s_delay_alu instid0(VALU_DEP_2) | instskip(SKIP_2) | instid1(VALU_DEP_2)
	v_lshlrev_b16 v36, 8, v36
	v_cndmask_b32_e64 v37, 0, 1, vcc_lo
	v_cmp_ne_u64_e32 vcc_lo, v[18:19], v[20:21]
	v_or_b32_e32 v36, v37, v36
	v_cndmask_b32_e64 v38, 0, 1, vcc_lo
	v_cmp_ne_u64_e32 vcc_lo, v[16:17], v[12:13]
	s_delay_alu instid0(VALU_DEP_3) | instskip(NEXT) | instid1(VALU_DEP_3)
	v_lshlrev_b32_e32 v36, 16, v36
	v_lshlrev_b16 v37, 8, v38
	v_cndmask_b32_e64 v31, 0, 1, vcc_lo
	s_delay_alu instid0(VALU_DEP_2) | instskip(NEXT) | instid1(VALU_DEP_1)
	v_and_b32_e32 v37, 0xffff, v37
	v_or_b32_e32 v36, v37, v36
	s_branch .LBB68_33
.LBB68_27:
                                        ; implicit-def: $sgpr0
                                        ; implicit-def: $vgpr31
                                        ; implicit-def: $vgpr36
	s_branch .LBB68_34
.LBB68_28:
                                        ; implicit-def: $vgpr30
                                        ; implicit-def: $vgpr29
                                        ; implicit-def: $vgpr35
                                        ; implicit-def: $vgpr28
                                        ; implicit-def: $vgpr1
	s_branch .LBB68_42
.LBB68_29:
                                        ; implicit-def: $sgpr0
                                        ; implicit-def: $vgpr31
                                        ; implicit-def: $vgpr36
	s_cbranch_execz .LBB68_33
; %bb.30:
	s_wait_loadcnt_dscnt 0x0
	s_barrier_signal -1
	s_barrier_wait -1
	s_and_saveexec_b32 s0, s3
; %bb.31:
	v_add_nc_u32_e32 v1, -8, v1
	ds_load_b64 v[28:29], v1
; %bb.32:
	s_or_b32 exec_lo, exec_lo, s0
	v_dual_add_nc_u32 v1, 3, v32 :: v_dual_add_nc_u32 v30, 2, v32
	v_cmp_ne_u64_e32 vcc_lo, v[14:15], v[16:17]
	v_cmp_ne_u64_e64 s1, v[20:21], v[14:15]
	v_cmp_ne_u64_e64 s4, v[18:19], v[20:21]
	s_delay_alu instid0(VALU_DEP_4)
	v_cmp_gt_u32_e64 s0, s26, v1
	v_dual_add_nc_u32 v1, 1, v32 :: v_dual_add_nc_u32 v36, 4, v32
	v_cmp_gt_u32_e64 s5, s26, v30
	s_and_b32 s0, s0, vcc_lo
	v_cmp_gt_u32_e32 vcc_lo, s26, v1
	v_cndmask_b32_e64 v30, 0, 1, s0
	s_and_b32 s0, s5, s1
	s_wait_dscnt 0x0
	v_cmp_ne_u64_e64 s1, v[28:29], v[18:19]
	v_cndmask_b32_e64 v1, 0, 1, s0
	s_and_b32 s0, vcc_lo, s4
	v_lshlrev_b16 v30, 8, v30
	v_cndmask_b32_e64 v31, 0, 1, s0
	v_cmp_ne_u64_e32 vcc_lo, v[16:17], v[12:13]
	v_cmp_gt_u32_e64 s0, s26, v36
	v_cmp_gt_u32_e64 s4, s26, v32
	v_or_b32_e32 v1, v1, v30
	v_lshlrev_b16 v30, 8, v31
	s_and_b32 s0, s0, vcc_lo
	s_delay_alu instid0(VALU_DEP_2) | instskip(NEXT) | instid1(VALU_DEP_2)
	v_lshlrev_b32_e32 v1, 16, v1
	v_and_b32_e32 v30, 0xffff, v30
	v_cndmask_b32_e64 v31, 0, 1, s0
	s_and_b32 s0, s4, s1
	s_delay_alu instid0(VALU_DEP_2)
	v_or_b32_e32 v36, v30, v1
.LBB68_33:
	s_mov_b32 s7, -1
	s_cbranch_execnz .LBB68_28
.LBB68_34:
	v_sub_nc_u32_e32 v33, v33, v35
	s_and_b32 vcc_lo, exec_lo, s23
	ds_store_b64 v33, v[12:13]
	s_cbranch_vccz .LBB68_38
; %bb.35:
	v_cmp_ne_u64_e32 vcc_lo, v[16:17], v[12:13]
	v_mov_b32_e32 v30, 1
	s_wait_loadcnt_dscnt 0x0
	s_barrier_signal -1
	s_barrier_wait -1
                                        ; implicit-def: $sgpr0
                                        ; implicit-def: $vgpr36
	v_cndmask_b32_e64 v1, 0, 1, vcc_lo
	v_cmp_ne_u64_e32 vcc_lo, v[18:19], v[20:21]
	v_cndmask_b32_e64 v29, 0, 1, vcc_lo
	v_cmp_ne_u64_e32 vcc_lo, v[20:21], v[14:15]
	;; [unrolled: 2-line block ×3, first 2 shown]
	v_cndmask_b32_e64 v28, 0, 1, vcc_lo
	s_and_saveexec_b32 s1, s3
	s_delay_alu instid0(SALU_CYCLE_1)
	s_xor_b32 s1, exec_lo, s1
	s_cbranch_execz .LBB68_37
; %bb.36:
	v_lshlrev_b16 v38, 8, v29
	v_add_nc_u32_e32 v31, -8, v33
	s_or_b32 s7, s7, exec_lo
	s_delay_alu instid0(VALU_DEP_2) | instskip(SKIP_3) | instid1(VALU_DEP_2)
	v_or_b32_e32 v38, 1, v38
	ds_load_b64 v[36:37], v31
	v_lshlrev_b16 v31, 8, v28
	v_and_b32_e32 v38, 0xffff, v38
	v_or_b32_e32 v31, v35, v31
	s_delay_alu instid0(VALU_DEP_1) | instskip(NEXT) | instid1(VALU_DEP_1)
	v_lshlrev_b32_e32 v31, 16, v31
	v_or_b32_e32 v31, v38, v31
	s_wait_dscnt 0x0
	v_cmp_ne_u64_e64 s0, v[36:37], v[18:19]
	s_delay_alu instid0(VALU_DEP_2)
	v_perm_b32 v36, v31, v31, 0x3020104
.LBB68_37:
	s_or_b32 exec_lo, exec_lo, s1
	v_mov_b32_e32 v31, v1
	s_branch .LBB68_42
.LBB68_38:
                                        ; implicit-def: $sgpr0
                                        ; implicit-def: $vgpr31
                                        ; implicit-def: $vgpr36
                                        ; implicit-def: $vgpr30
                                        ; implicit-def: $vgpr29
                                        ; implicit-def: $vgpr35
                                        ; implicit-def: $vgpr28
                                        ; implicit-def: $vgpr1
	s_cbranch_execz .LBB68_42
; %bb.39:
	s_wait_loadcnt 0x0
	v_dual_add_nc_u32 v1, 4, v32 :: v_dual_add_nc_u32 v28, 3, v32
	v_add_nc_u32_e32 v29, 2, v32
	v_cmp_ne_u64_e32 vcc_lo, v[16:17], v[12:13]
	v_cmp_ne_u64_e64 s0, v[20:21], v[24:25]
	s_delay_alu instid0(VALU_DEP_4)
	v_cmp_gt_u32_e64 s1, s26, v1
	v_cmp_ne_u64_e64 s4, v[14:15], v[10:11]
	v_add_nc_u32_e32 v11, 1, v32
	v_cmp_gt_u32_e64 s5, s26, v29
	v_cmp_gt_u32_e64 s6, s26, v28
	s_and_b32 s1, s1, vcc_lo
	v_cmp_ne_u64_e32 vcc_lo, v[18:19], v[22:23]
	v_cndmask_b32_e64 v31, 0, 1, s1
	s_and_b32 s0, s5, s0
	s_wait_dscnt 0x0
	v_cndmask_b32_e64 v24, 0, 1, s0
	s_and_b32 s0, s6, s4
	v_lshlrev_b16 v10, 8, v31
	v_cndmask_b32_e64 v25, 0, 1, s0
	v_cmp_gt_u32_e64 s0, s26, v11
	v_lshlrev_b16 v1, 8, v24
	s_barrier_signal -1
	s_delay_alu instid0(VALU_DEP_3) | instskip(SKIP_1) | instid1(VALU_DEP_2)
	v_dual_mov_b32 v30, 1 :: v_dual_bitop2_b32 v28, v25, v10 bitop3:0x54
	s_and_b32 s0, s0, vcc_lo
	v_and_b32_e32 v11, 0xffff, v1
	v_cndmask_b32_e64 v22, 0, 1, s0
	s_barrier_wait -1
	v_lshlrev_b32_e32 v10, 16, v28
                                        ; implicit-def: $sgpr0
                                        ; implicit-def: $vgpr36
	s_delay_alu instid0(VALU_DEP_1)
	v_or_b32_e32 v11, v11, v10
	s_and_saveexec_b32 s1, s3
	s_cbranch_execz .LBB68_41
; %bb.40:
	v_lshlrev_b16 v23, 8, v25
	v_add_nc_u32_e32 v29, -8, v33
	v_lshlrev_b16 v25, 8, v22
	v_cmp_gt_u32_e64 s0, s26, v32
	s_or_b32 s7, s7, exec_lo
	v_lshrrev_b32_e32 v23, 8, v23
	ds_load_b64 v[36:37], v29
	v_lshlrev_b16 v23, 8, v23
	s_delay_alu instid0(VALU_DEP_1) | instskip(NEXT) | instid1(VALU_DEP_1)
	v_dual_lshrrev_b32 v25, 8, v25 :: v_dual_bitop2_b32 v23, v24, v23 bitop3:0x54
	v_lshlrev_b16 v25, 8, v25
	s_delay_alu instid0(VALU_DEP_1) | instskip(NEXT) | instid1(VALU_DEP_1)
	v_dual_lshlrev_b32 v23, 16, v23 :: v_dual_bitop2_b32 v24, 1, v25 bitop3:0x54
	v_and_b32_e32 v24, 0xffff, v24
	s_wait_dscnt 0x0
	v_cmp_ne_u64_e32 vcc_lo, v[36:37], v[18:19]
	s_delay_alu instid0(VALU_DEP_2) | instskip(SKIP_1) | instid1(VALU_DEP_1)
	v_or_b32_e32 v23, v24, v23
	s_and_b32 s0, s0, vcc_lo
	v_perm_b32 v36, v23, v23, 0x3020104
.LBB68_41:
	s_or_b32 exec_lo, exec_lo, s1
	v_dual_lshrrev_b32 v1, 24, v10 :: v_dual_bitop2_b32 v29, v22, v1 bitop3:0x54
	v_lshrrev_b32_e32 v35, 8, v11
.LBB68_42:
	s_and_saveexec_b32 s1, s7
	s_cbranch_execz .LBB68_44
; %bb.43:
	s_wait_loadcnt 0x0
	v_dual_lshrrev_b32 v28, 24, v36 :: v_dual_lshrrev_b32 v35, 16, v36
	v_dual_lshrrev_b32 v29, 8, v36 :: v_dual_mov_b32 v1, v31
	v_cndmask_b32_e64 v30, 0, 1, s0
.LBB68_44:
	s_or_b32 exec_lo, exec_lo, s1
	s_delay_alu instid0(SALU_CYCLE_1)
	s_and_not1_b32 vcc_lo, exec_lo, s25
	s_cbranch_vccnz .LBB68_48
; %bb.45:
	s_wait_loadcnt 0x0
	v_perm_b32 v10, v30, v29, 0xc0c0004
	v_perm_b32 v11, v35, v28, 0xc0c0004
	v_cmp_gt_u32_e32 vcc_lo, s26, v32
	v_and_b32_e32 v1, 0xff, v1
	s_mov_b32 s0, exec_lo
	v_add_nc_u32_e32 v22, 1, v32
	v_lshl_or_b32 v10, v11, 16, v10
	s_delay_alu instid0(VALU_DEP_3) | instskip(NEXT) | instid1(VALU_DEP_2)
	v_and_b32_e32 v31, 0xffff, v1
	v_cndmask_b32_e32 v11, 0, v10, vcc_lo
	s_delay_alu instid0(VALU_DEP_4) | instskip(SKIP_1) | instid1(VALU_DEP_3)
	v_cmp_gt_u32_e32 vcc_lo, s26, v22
	v_add_nc_u32_e32 v22, 2, v32
	v_and_b32_e32 v11, 0xff, v11
	s_delay_alu instid0(VALU_DEP_1) | instskip(NEXT) | instid1(VALU_DEP_3)
	v_cndmask_b32_e32 v11, v11, v10, vcc_lo
	v_cmp_gt_u32_e32 vcc_lo, s26, v22
	v_add_nc_u32_e32 v22, 3, v32
	s_delay_alu instid0(VALU_DEP_3) | instskip(NEXT) | instid1(VALU_DEP_1)
	v_and_b32_e32 v11, 0xffff, v11
	v_cndmask_b32_e32 v11, v11, v10, vcc_lo
	s_delay_alu instid0(VALU_DEP_3) | instskip(NEXT) | instid1(VALU_DEP_2)
	v_cmp_gt_u32_e32 vcc_lo, s26, v22
	v_and_b32_e32 v11, 0xffffff, v11
	s_delay_alu instid0(VALU_DEP_1) | instskip(NEXT) | instid1(VALU_DEP_1)
	v_dual_cndmask_b32 v30, v11, v10, vcc_lo :: v_dual_add_nc_u32 v10, 4, v32
	v_lshrrev_b64 v[28:29], 24, v[30:31]
	v_dual_lshrrev_b32 v35, 16, v30 :: v_dual_lshrrev_b32 v29, 8, v30
	s_delay_alu instid0(VALU_DEP_3)
	v_cmpx_le_u32_e64 s26, v10
; %bb.46:
	v_mov_b32_e32 v1, 0
; %bb.47:
	s_or_b32 exec_lo, exec_lo, s0
.LBB68_48:
	s_delay_alu instid0(VALU_DEP_1)
	v_and_b32_e32 v31, 0xff, v30
	s_wait_loadcnt 0x0
	v_and_b32_e32 v36, 0xff, v29
	v_and_b32_e32 v37, 0xff, v35
	v_mbcnt_lo_u32_b32 v39, -1, 0
	v_and_b32_e32 v38, 0xff, v28
	v_and_b32_e32 v10, 0xff, v1
	v_lshrrev_b32_e32 v40, 5, v0
	v_add3_u32 v11, v36, v31, v37
	v_and_b32_e32 v22, 15, v39
	s_and_b32 vcc_lo, exec_lo, s8
	s_mov_b32 s7, -1
	s_wait_dscnt 0x0
	v_add3_u32 v41, v11, v38, v10
	v_and_b32_e32 v10, 16, v39
	v_or_b32_e32 v11, 31, v0
	v_cmp_eq_u32_e64 s3, 0, v22
	v_cmp_lt_u32_e64 s5, 1, v22
	v_cmp_lt_u32_e64 s6, 3, v22
	;; [unrolled: 1-line block ×3, first 2 shown]
	v_cmp_eq_u32_e64 s1, 0, v10
	v_cmp_eq_u32_e64 s0, v0, v11
	s_barrier_signal -1
	s_barrier_wait -1
	s_cbranch_vccz .LBB68_70
; %bb.49:
	v_mov_b32_dpp v10, v41 row_shr:1 row_mask:0xf bank_mask:0xf
	s_delay_alu instid0(VALU_DEP_1) | instskip(NEXT) | instid1(VALU_DEP_1)
	v_cndmask_b32_e64 v10, v10, 0, s3
	v_add_nc_u32_e32 v10, v10, v41
	s_delay_alu instid0(VALU_DEP_1) | instskip(NEXT) | instid1(VALU_DEP_1)
	v_mov_b32_dpp v11, v10 row_shr:2 row_mask:0xf bank_mask:0xf
	v_cndmask_b32_e64 v11, 0, v11, s5
	s_delay_alu instid0(VALU_DEP_1) | instskip(NEXT) | instid1(VALU_DEP_1)
	v_add_nc_u32_e32 v10, v10, v11
	v_mov_b32_dpp v11, v10 row_shr:4 row_mask:0xf bank_mask:0xf
	s_delay_alu instid0(VALU_DEP_1) | instskip(NEXT) | instid1(VALU_DEP_1)
	v_cndmask_b32_e64 v11, 0, v11, s6
	v_add_nc_u32_e32 v10, v10, v11
	s_delay_alu instid0(VALU_DEP_1) | instskip(NEXT) | instid1(VALU_DEP_1)
	v_mov_b32_dpp v11, v10 row_shr:8 row_mask:0xf bank_mask:0xf
	v_cndmask_b32_e64 v11, 0, v11, s4
	s_delay_alu instid0(VALU_DEP_1) | instskip(SKIP_3) | instid1(VALU_DEP_1)
	v_add_nc_u32_e32 v10, v10, v11
	ds_swizzle_b32 v11, v10 offset:swizzle(BROADCAST,32,15)
	s_wait_dscnt 0x0
	v_cndmask_b32_e64 v11, v11, 0, s1
	v_add_nc_u32_e32 v10, v10, v11
	s_and_saveexec_b32 s7, s0
; %bb.50:
	v_lshlrev_b32_e32 v11, 2, v40
	ds_store_b32 v11, v10
; %bb.51:
	s_or_b32 exec_lo, exec_lo, s7
	s_delay_alu instid0(SALU_CYCLE_1)
	s_mov_b32 s7, exec_lo
	s_wait_dscnt 0x0
	s_barrier_signal -1
	s_barrier_wait -1
	v_cmpx_gt_u32_e32 4, v0
	s_cbranch_execz .LBB68_53
; %bb.52:
	v_dual_lshlrev_b32 v11, 2, v0 :: v_dual_bitop2_b32 v23, 3, v39 bitop3:0x40
	ds_load_b32 v22, v11
	v_cmp_ne_u32_e32 vcc_lo, 0, v23
	s_wait_dscnt 0x0
	v_mov_b32_dpp v24, v22 row_shr:1 row_mask:0xf bank_mask:0xf
	s_delay_alu instid0(VALU_DEP_1) | instskip(SKIP_1) | instid1(VALU_DEP_2)
	v_cndmask_b32_e32 v24, 0, v24, vcc_lo
	v_cmp_lt_u32_e32 vcc_lo, 1, v23
	v_add_nc_u32_e32 v22, v24, v22
	s_delay_alu instid0(VALU_DEP_1) | instskip(NEXT) | instid1(VALU_DEP_1)
	v_mov_b32_dpp v24, v22 row_shr:2 row_mask:0xf bank_mask:0xf
	v_cndmask_b32_e32 v23, 0, v24, vcc_lo
	s_delay_alu instid0(VALU_DEP_1)
	v_add_nc_u32_e32 v22, v22, v23
	ds_store_b32 v11, v22
.LBB68_53:
	s_or_b32 exec_lo, exec_lo, s7
	s_delay_alu instid0(SALU_CYCLE_1)
	s_mov_b32 s8, exec_lo
	v_cmp_gt_u32_e32 vcc_lo, 32, v0
	s_wait_dscnt 0x0
	s_barrier_signal -1
	s_barrier_wait -1
                                        ; implicit-def: $vgpr42
	v_cmpx_lt_u32_e32 31, v0
	s_cbranch_execz .LBB68_55
; %bb.54:
	v_lshl_add_u32 v11, v40, 2, -4
	ds_load_b32 v42, v11
	s_wait_dscnt 0x0
	v_add_nc_u32_e32 v10, v42, v10
.LBB68_55:
	s_or_b32 exec_lo, exec_lo, s8
	v_sub_co_u32 v11, s7, v39, 1
	s_delay_alu instid0(VALU_DEP_1) | instskip(NEXT) | instid1(VALU_DEP_1)
	v_cmp_gt_i32_e64 s8, 0, v11
	v_cndmask_b32_e64 v11, v11, v39, s8
	s_delay_alu instid0(VALU_DEP_1)
	v_lshlrev_b32_e32 v11, 2, v11
	ds_bpermute_b32 v43, v11, v10
	s_and_saveexec_b32 s8, vcc_lo
	s_cbranch_execz .LBB68_75
; %bb.56:
	v_mov_b32_e32 v33, 0
	ds_load_b32 v10, v33 offset:12
	s_and_saveexec_b32 s9, s7
	s_cbranch_execz .LBB68_58
; %bb.57:
	s_add_co_i32 s14, s24, 32
	s_delay_alu instid0(SALU_CYCLE_1)
	v_dual_mov_b32 v11, 1 :: v_dual_mov_b32 v22, s14
	s_wait_dscnt 0x0
	global_store_b64 v22, v[10:11], s[20:21] scale_offset scope:SCOPE_DEV
.LBB68_58:
	s_wait_xcnt 0x0
	s_or_b32 exec_lo, exec_lo, s9
	v_xad_u32 v22, v39, -1, s24
	s_mov_b32 s14, 0
	s_mov_b32 s9, exec_lo
	s_delay_alu instid0(VALU_DEP_1) | instskip(SKIP_4) | instid1(VALU_DEP_1)
	v_add_nc_u32_e32 v32, 32, v22
	global_load_b64 v[24:25], v32, s[20:21] scale_offset scope:SCOPE_DEV
	s_wait_loadcnt 0x0
	v_and_b32_e32 v11, 0xff, v25
	s_wait_xcnt 0x0
	v_cmpx_eq_u16_e32 0, v11
	s_cbranch_execz .LBB68_62
; %bb.59:
	v_lshl_add_u64 v[32:33], v[32:33], 3, s[20:21]
.LBB68_60:                              ; =>This Inner Loop Header: Depth=1
	global_load_b64 v[24:25], v[32:33], off scope:SCOPE_DEV
	s_wait_loadcnt 0x0
	v_and_b32_e32 v11, 0xff, v25
	s_delay_alu instid0(VALU_DEP_1)
	v_cmp_ne_u16_e32 vcc_lo, 0, v11
	s_or_b32 s14, vcc_lo, s14
	s_wait_xcnt 0x0
	s_and_not1_b32 exec_lo, exec_lo, s14
	s_cbranch_execnz .LBB68_60
; %bb.61:
	s_or_b32 exec_lo, exec_lo, s14
.LBB68_62:
	s_delay_alu instid0(SALU_CYCLE_1)
	s_or_b32 exec_lo, exec_lo, s9
	v_cmp_ne_u32_e32 vcc_lo, 31, v39
	v_lshlrev_b32_e64 v45, v39, -1
	v_lshl_or_b32 v52, v39, 2, 64
	v_dual_add_nc_u32 v51, 8, v39 :: v_dual_add_nc_u32 v53, 16, v39
	v_add_co_ci_u32_e64 v11, null, 0, v39, vcc_lo
	s_delay_alu instid0(VALU_DEP_1)
	v_lshlrev_b32_e32 v44, 2, v11
	v_and_b32_e32 v11, 0xff, v25
	ds_bpermute_b32 v23, v44, v24
	v_cmp_eq_u16_e32 vcc_lo, 2, v11
	v_and_or_b32 v11, vcc_lo, v45, 0x80000000
	v_cmp_gt_u32_e32 vcc_lo, 30, v39
	s_delay_alu instid0(VALU_DEP_2) | instskip(SKIP_1) | instid1(VALU_DEP_2)
	v_ctz_i32_b32_e32 v11, v11
	v_cndmask_b32_e64 v32, 0, 2, vcc_lo
	v_cmp_lt_u32_e32 vcc_lo, v39, v11
	s_delay_alu instid0(VALU_DEP_2) | instskip(SKIP_3) | instid1(VALU_DEP_2)
	v_add_lshl_u32 v46, v32, v39, 2
	s_wait_dscnt 0x0
	v_cndmask_b32_e32 v23, 0, v23, vcc_lo
	v_cmp_gt_u32_e32 vcc_lo, 28, v39
	v_dual_add_nc_u32 v23, v23, v24 :: v_dual_add_nc_u32 v47, 2, v39
	v_cndmask_b32_e64 v32, 0, 4, vcc_lo
	ds_bpermute_b32 v24, v46, v23
	v_cmp_le_u32_e32 vcc_lo, v47, v11
	v_add_lshl_u32 v48, v32, v39, 2
	s_wait_dscnt 0x0
	v_cndmask_b32_e32 v24, 0, v24, vcc_lo
	v_cmp_gt_u32_e32 vcc_lo, 24, v39
	s_delay_alu instid0(VALU_DEP_2) | instskip(SKIP_4) | instid1(VALU_DEP_2)
	v_add_nc_u32_e32 v23, v23, v24
	v_cndmask_b32_e64 v32, 0, 8, vcc_lo
	ds_bpermute_b32 v24, v48, v23
	v_add_nc_u32_e32 v49, 4, v39
	v_add_lshl_u32 v50, v32, v39, 2
	v_cmp_le_u32_e32 vcc_lo, v49, v11
	s_wait_dscnt 0x0
	v_cndmask_b32_e32 v24, 0, v24, vcc_lo
	v_cmp_le_u32_e32 vcc_lo, v51, v11
	s_delay_alu instid0(VALU_DEP_2) | instskip(SKIP_4) | instid1(VALU_DEP_2)
	v_add_nc_u32_e32 v23, v23, v24
	ds_bpermute_b32 v24, v50, v23
	s_wait_dscnt 0x0
	v_cndmask_b32_e32 v24, 0, v24, vcc_lo
	v_cmp_le_u32_e32 vcc_lo, v53, v11
	v_add_nc_u32_e32 v23, v23, v24
	ds_bpermute_b32 v24, v52, v23
	s_wait_dscnt 0x0
	v_cndmask_b32_e32 v11, 0, v24, vcc_lo
	s_delay_alu instid0(VALU_DEP_1)
	v_dual_mov_b32 v23, 0 :: v_dual_add_nc_u32 v24, v23, v11
	s_branch .LBB68_65
.LBB68_63:                              ;   in Loop: Header=BB68_65 Depth=1
	s_or_b32 exec_lo, exec_lo, s9
	v_and_b32_e32 v32, 0xff, v25
	ds_bpermute_b32 v33, v44, v24
	v_subrev_nc_u32_e32 v22, 32, v22
	s_mov_b32 s9, 0
	v_cmp_eq_u16_e32 vcc_lo, 2, v32
	v_and_or_b32 v32, vcc_lo, v45, 0x80000000
	s_delay_alu instid0(VALU_DEP_1) | instskip(NEXT) | instid1(VALU_DEP_1)
	v_ctz_i32_b32_e32 v32, v32
	v_cmp_lt_u32_e32 vcc_lo, v39, v32
	s_wait_dscnt 0x0
	v_cndmask_b32_e32 v33, 0, v33, vcc_lo
	v_cmp_le_u32_e32 vcc_lo, v47, v32
	s_delay_alu instid0(VALU_DEP_2) | instskip(SKIP_4) | instid1(VALU_DEP_2)
	v_add_nc_u32_e32 v24, v33, v24
	ds_bpermute_b32 v33, v46, v24
	s_wait_dscnt 0x0
	v_cndmask_b32_e32 v33, 0, v33, vcc_lo
	v_cmp_le_u32_e32 vcc_lo, v49, v32
	v_add_nc_u32_e32 v24, v24, v33
	ds_bpermute_b32 v33, v48, v24
	s_wait_dscnt 0x0
	v_cndmask_b32_e32 v33, 0, v33, vcc_lo
	v_cmp_le_u32_e32 vcc_lo, v51, v32
	s_delay_alu instid0(VALU_DEP_2) | instskip(SKIP_4) | instid1(VALU_DEP_2)
	v_add_nc_u32_e32 v24, v24, v33
	ds_bpermute_b32 v33, v50, v24
	s_wait_dscnt 0x0
	v_cndmask_b32_e32 v33, 0, v33, vcc_lo
	v_cmp_le_u32_e32 vcc_lo, v53, v32
	v_add_nc_u32_e32 v24, v24, v33
	ds_bpermute_b32 v33, v52, v24
	s_wait_dscnt 0x0
	v_cndmask_b32_e32 v32, 0, v33, vcc_lo
	s_delay_alu instid0(VALU_DEP_1)
	v_add3_u32 v24, v32, v11, v24
.LBB68_64:                              ;   in Loop: Header=BB68_65 Depth=1
	s_and_b32 vcc_lo, exec_lo, s9
	s_cbranch_vccnz .LBB68_71
.LBB68_65:                              ; =>This Loop Header: Depth=1
                                        ;     Child Loop BB68_68 Depth 2
	v_and_b32_e32 v11, 0xff, v25
	s_mov_b32 s9, -1
                                        ; implicit-def: $vgpr25
	s_delay_alu instid0(VALU_DEP_1)
	v_cmp_ne_u16_e32 vcc_lo, 2, v11
	v_mov_b32_e32 v11, v24
                                        ; implicit-def: $vgpr24
	s_cmp_lg_u32 vcc_lo, exec_lo
	s_cbranch_scc1 .LBB68_64
; %bb.66:                               ;   in Loop: Header=BB68_65 Depth=1
	global_load_b64 v[24:25], v22, s[20:21] scale_offset scope:SCOPE_DEV
	s_mov_b32 s9, exec_lo
	s_wait_loadcnt 0x0
	v_and_b32_e32 v32, 0xff, v25
	s_wait_xcnt 0x0
	s_delay_alu instid0(VALU_DEP_1)
	v_cmpx_eq_u16_e32 0, v32
	s_cbranch_execz .LBB68_63
; %bb.67:                               ;   in Loop: Header=BB68_65 Depth=1
	v_lshl_add_u64 v[32:33], v[22:23], 3, s[20:21]
	s_mov_b32 s14, 0
.LBB68_68:                              ;   Parent Loop BB68_65 Depth=1
                                        ; =>  This Inner Loop Header: Depth=2
	global_load_b64 v[24:25], v[32:33], off scope:SCOPE_DEV
	s_wait_loadcnt 0x0
	v_and_b32_e32 v54, 0xff, v25
	s_delay_alu instid0(VALU_DEP_1)
	v_cmp_ne_u16_e32 vcc_lo, 0, v54
	s_or_b32 s14, vcc_lo, s14
	s_wait_xcnt 0x0
	s_and_not1_b32 exec_lo, exec_lo, s14
	s_cbranch_execnz .LBB68_68
; %bb.69:                               ;   in Loop: Header=BB68_65 Depth=1
	s_or_b32 exec_lo, exec_lo, s14
	s_branch .LBB68_63
.LBB68_70:
                                        ; implicit-def: $sgpr8
                                        ; implicit-def: $vgpr10
                                        ; implicit-def: $vgpr22
                                        ; implicit-def: $vgpr23
                                        ; implicit-def: $vgpr24
                                        ; implicit-def: $vgpr25
                                        ; implicit-def: $vgpr32
	s_and_b32 vcc_lo, exec_lo, s7
	s_cbranch_vccnz .LBB68_76
	s_branch .LBB68_85
.LBB68_71:
	s_and_saveexec_b32 s9, s7
	s_cbranch_execz .LBB68_73
; %bb.72:
	s_add_co_i32 s14, s24, 32
	v_dual_mov_b32 v23, 2 :: v_dual_add_nc_u32 v22, v11, v10
	v_dual_mov_b32 v24, s14 :: v_dual_mov_b32 v25, 0
	global_store_b64 v24, v[22:23], s[20:21] scale_offset scope:SCOPE_DEV
	ds_store_b64 v25, v[10:11] offset:5120
.LBB68_73:
	s_wait_xcnt 0x0
	s_or_b32 exec_lo, exec_lo, s9
	s_delay_alu instid0(SALU_CYCLE_1)
	s_and_b32 exec_lo, exec_lo, s2
; %bb.74:
	v_mov_b32_e32 v10, 0
	ds_store_b32 v10, v11 offset:12
.LBB68_75:
	s_or_b32 exec_lo, exec_lo, s8
	s_wait_dscnt 0x0
	v_dual_mov_b32 v10, 0 :: v_dual_cndmask_b32 v22, v43, v42, s7
	s_wait_storecnt 0x0
	s_barrier_signal -1
	s_barrier_wait -1
	ds_load_b32 v11, v10 offset:12
	v_cndmask_b32_e64 v22, v22, 0, s2
	s_wait_dscnt 0x0
	s_barrier_signal -1
	s_barrier_wait -1
	s_delay_alu instid0(VALU_DEP_1) | instskip(SKIP_2) | instid1(VALU_DEP_1)
	v_add_nc_u32_e32 v32, v11, v22
	ds_load_b64 v[10:11], v10 offset:5120
	v_add_nc_u32_e32 v25, v32, v31
	v_add_nc_u32_e32 v24, v25, v36
	s_delay_alu instid0(VALU_DEP_1) | instskip(NEXT) | instid1(VALU_DEP_1)
	v_add_nc_u32_e32 v23, v24, v37
	v_add_nc_u32_e32 v22, v23, v38
	s_wait_dscnt 0x0
	v_readfirstlane_b32 s8, v11
	s_branch .LBB68_85
.LBB68_76:
	v_mov_b32_dpp v10, v41 row_shr:1 row_mask:0xf bank_mask:0xf
	s_delay_alu instid0(VALU_DEP_1) | instskip(NEXT) | instid1(VALU_DEP_1)
	v_cndmask_b32_e64 v10, v10, 0, s3
	v_add_nc_u32_e32 v10, v10, v41
	s_delay_alu instid0(VALU_DEP_1) | instskip(NEXT) | instid1(VALU_DEP_1)
	v_mov_b32_dpp v11, v10 row_shr:2 row_mask:0xf bank_mask:0xf
	v_cndmask_b32_e64 v11, 0, v11, s5
	s_delay_alu instid0(VALU_DEP_1) | instskip(NEXT) | instid1(VALU_DEP_1)
	v_add_nc_u32_e32 v10, v10, v11
	v_mov_b32_dpp v11, v10 row_shr:4 row_mask:0xf bank_mask:0xf
	s_delay_alu instid0(VALU_DEP_1) | instskip(NEXT) | instid1(VALU_DEP_1)
	v_cndmask_b32_e64 v11, 0, v11, s6
	v_add_nc_u32_e32 v10, v10, v11
	s_delay_alu instid0(VALU_DEP_1) | instskip(NEXT) | instid1(VALU_DEP_1)
	v_mov_b32_dpp v11, v10 row_shr:8 row_mask:0xf bank_mask:0xf
	v_cndmask_b32_e64 v11, 0, v11, s4
	s_delay_alu instid0(VALU_DEP_1) | instskip(SKIP_3) | instid1(VALU_DEP_1)
	v_add_nc_u32_e32 v10, v10, v11
	ds_swizzle_b32 v11, v10 offset:swizzle(BROADCAST,32,15)
	s_wait_dscnt 0x0
	v_cndmask_b32_e64 v11, v11, 0, s1
	v_add_nc_u32_e32 v10, v10, v11
	s_and_saveexec_b32 s1, s0
; %bb.77:
	v_lshlrev_b32_e32 v11, 2, v40
	ds_store_b32 v11, v10
; %bb.78:
	s_or_b32 exec_lo, exec_lo, s1
	s_delay_alu instid0(SALU_CYCLE_1)
	s_mov_b32 s0, exec_lo
	s_wait_dscnt 0x0
	s_barrier_signal -1
	s_barrier_wait -1
	v_cmpx_gt_u32_e32 4, v0
	s_cbranch_execz .LBB68_80
; %bb.79:
	v_dual_lshlrev_b32 v11, 2, v0 :: v_dual_bitop2_b32 v23, 3, v39 bitop3:0x40
	ds_load_b32 v22, v11
	v_cmp_ne_u32_e32 vcc_lo, 0, v23
	s_wait_dscnt 0x0
	v_mov_b32_dpp v24, v22 row_shr:1 row_mask:0xf bank_mask:0xf
	s_delay_alu instid0(VALU_DEP_1) | instskip(SKIP_1) | instid1(VALU_DEP_2)
	v_cndmask_b32_e32 v24, 0, v24, vcc_lo
	v_cmp_lt_u32_e32 vcc_lo, 1, v23
	v_add_nc_u32_e32 v22, v24, v22
	s_delay_alu instid0(VALU_DEP_1) | instskip(NEXT) | instid1(VALU_DEP_1)
	v_mov_b32_dpp v24, v22 row_shr:2 row_mask:0xf bank_mask:0xf
	v_cndmask_b32_e32 v23, 0, v24, vcc_lo
	s_delay_alu instid0(VALU_DEP_1)
	v_add_nc_u32_e32 v22, v22, v23
	ds_store_b32 v11, v22
.LBB68_80:
	s_or_b32 exec_lo, exec_lo, s0
	v_dual_mov_b32 v11, 0 :: v_dual_mov_b32 v22, 0
	s_mov_b32 s0, exec_lo
	s_wait_dscnt 0x0
	s_barrier_signal -1
	s_barrier_wait -1
	v_cmpx_lt_u32_e32 31, v0
; %bb.81:
	v_lshl_add_u32 v22, v40, 2, -4
	ds_load_b32 v22, v22
; %bb.82:
	s_or_b32 exec_lo, exec_lo, s0
	v_sub_co_u32 v23, vcc_lo, v39, 1
	s_mov_b32 s8, 0
	s_wait_dscnt 0x0
	v_add_nc_u32_e32 v10, v22, v10
	v_cmp_gt_i32_e64 s0, 0, v23
	s_delay_alu instid0(VALU_DEP_1) | instskip(NEXT) | instid1(VALU_DEP_1)
	v_cndmask_b32_e64 v23, v23, v39, s0
	v_lshlrev_b32_e32 v23, 2, v23
	ds_bpermute_b32 v23, v23, v10
	ds_load_b32 v10, v11 offset:12
	s_and_saveexec_b32 s0, s2
	s_cbranch_execz .LBB68_84
; %bb.83:
	v_dual_mov_b32 v24, 0 :: v_dual_mov_b32 v11, 2
	s_wait_dscnt 0x0
	global_store_b64 v24, v[10:11], s[20:21] offset:256 scope:SCOPE_DEV
.LBB68_84:
	s_wait_xcnt 0x0
	s_or_b32 exec_lo, exec_lo, s0
	s_wait_dscnt 0x1
	v_cndmask_b32_e32 v11, v23, v22, vcc_lo
	s_wait_storecnt_dscnt 0x0
	s_barrier_signal -1
	s_barrier_wait -1
	s_delay_alu instid0(VALU_DEP_1) | instskip(NEXT) | instid1(VALU_DEP_1)
	v_cndmask_b32_e64 v32, v11, 0, s2
	v_add_nc_u32_e32 v25, v32, v31
	s_delay_alu instid0(VALU_DEP_1) | instskip(NEXT) | instid1(VALU_DEP_1)
	v_add_nc_u32_e32 v24, v25, v36
	v_add_nc_u32_e32 v23, v24, v37
	s_delay_alu instid0(VALU_DEP_1)
	v_add_nc_u32_e32 v22, v23, v38
.LBB68_85:
	s_delay_alu instid0(VALU_DEP_1)
	v_add_nc_u32_e32 v31, s8, v10
	v_and_b32_e32 v11, 1, v30
	v_cmp_gt_u32_e64 s0, 0x81, v10
	s_mov_b32 s4, -1
	v_cmp_lt_u32_e64 s1, v32, v31
	v_cmp_eq_u32_e64 s3, 1, v11
	s_and_b32 vcc_lo, exec_lo, s0
	s_cbranch_vccz .LBB68_97
; %bb.86:
	s_or_b32 s1, s23, s1
	s_delay_alu instid0(SALU_CYCLE_1) | instskip(NEXT) | instid1(SALU_CYCLE_1)
	s_and_b32 s3, s1, s3
	s_and_saveexec_b32 s1, s3
	s_cbranch_execz .LBB68_88
; %bb.87:
	s_lshl_b64 s[4:5], s[10:11], 3
	s_delay_alu instid0(SALU_CYCLE_1)
	s_add_nc_u64 s[4:5], s[16:17], s[4:5]
	global_store_b64 v32, v[18:19], s[4:5] scale_offset
.LBB68_88:
	s_wait_xcnt 0x0
	s_or_b32 exec_lo, exec_lo, s1
	v_and_b32_e32 v30, 1, v29
	v_cmp_lt_u32_e32 vcc_lo, v25, v31
	s_delay_alu instid0(VALU_DEP_2) | instskip(SKIP_1) | instid1(SALU_CYCLE_1)
	v_cmp_eq_u32_e64 s1, 1, v30
	s_or_b32 s3, s23, vcc_lo
	s_and_b32 s3, s3, s1
	s_delay_alu instid0(SALU_CYCLE_1)
	s_and_saveexec_b32 s1, s3
	s_cbranch_execz .LBB68_90
; %bb.89:
	s_lshl_b64 s[4:5], s[10:11], 3
	s_delay_alu instid0(SALU_CYCLE_1)
	s_add_nc_u64 s[4:5], s[16:17], s[4:5]
	global_store_b64 v25, v[20:21], s[4:5] scale_offset
.LBB68_90:
	s_wait_xcnt 0x0
	s_or_b32 exec_lo, exec_lo, s1
	v_and_b32_e32 v30, 1, v35
	v_cmp_lt_u32_e32 vcc_lo, v24, v31
	s_delay_alu instid0(VALU_DEP_2) | instskip(SKIP_1) | instid1(SALU_CYCLE_1)
	v_cmp_eq_u32_e64 s1, 1, v30
	s_or_b32 s3, s23, vcc_lo
	s_and_b32 s3, s3, s1
	s_delay_alu instid0(SALU_CYCLE_1)
	;; [unrolled: 17-line block ×4, first 2 shown]
	s_and_saveexec_b32 s1, s3
	s_cbranch_execz .LBB68_96
; %bb.95:
	s_lshl_b64 s[4:5], s[10:11], 3
	s_delay_alu instid0(SALU_CYCLE_1)
	s_add_nc_u64 s[4:5], s[16:17], s[4:5]
	global_store_b64 v22, v[12:13], s[4:5] scale_offset
.LBB68_96:
	s_wait_xcnt 0x0
	s_or_b32 exec_lo, exec_lo, s1
	s_mov_b32 s4, 0
.LBB68_97:
	s_delay_alu instid0(SALU_CYCLE_1)
	s_and_b32 vcc_lo, exec_lo, s4
	s_cbranch_vccz .LBB68_111
; %bb.98:
	s_mov_b32 s1, exec_lo
	v_cmpx_eq_u32_e32 1, v11
; %bb.99:
	v_subrev_nc_u32_e32 v30, s8, v32
	s_delay_alu instid0(VALU_DEP_1)
	v_lshlrev_b32_e32 v30, 3, v30
	ds_store_b64 v30, v[18:19]
; %bb.100:
	s_or_b32 exec_lo, exec_lo, s1
	v_and_b32_e32 v18, 1, v29
	s_mov_b32 s1, exec_lo
	s_delay_alu instid0(VALU_DEP_1)
	v_cmpx_eq_u32_e32 1, v18
; %bb.101:
	v_subrev_nc_u32_e32 v18, s8, v25
	s_delay_alu instid0(VALU_DEP_1)
	v_lshlrev_b32_e32 v18, 3, v18
	ds_store_b64 v18, v[20:21]
; %bb.102:
	s_or_b32 exec_lo, exec_lo, s1
	v_and_b32_e32 v18, 1, v35
	s_mov_b32 s1, exec_lo
	s_delay_alu instid0(VALU_DEP_1)
	;; [unrolled: 11-line block ×4, first 2 shown]
	v_cmpx_eq_u32_e32 1, v14
; %bb.107:
	v_subrev_nc_u32_e32 v14, s8, v22
	s_delay_alu instid0(VALU_DEP_1)
	v_lshlrev_b32_e32 v14, 3, v14
	ds_store_b64 v14, v[12:13]
; %bb.108:
	s_or_b32 exec_lo, exec_lo, s1
	s_mov_b32 s9, 0
	v_dual_mov_b32 v13, v0 :: v_dual_lshlrev_b32 v12, 3, v0
	s_lshl_b64 s[4:5], s[8:9], 3
	s_lshl_b64 s[6:7], s[10:11], 3
	s_add_nc_u64 s[4:5], s[16:17], s[4:5]
	s_wait_storecnt_dscnt 0x0
	s_add_nc_u64 s[4:5], s[4:5], s[6:7]
	s_barrier_signal -1
	s_barrier_wait -1
.LBB68_109:                             ; =>This Inner Loop Header: Depth=1
	ds_load_b64 v[14:15], v12
	v_add_nc_u32_e32 v12, 0x400, v12
	s_wait_dscnt 0x0
	global_store_b64 v13, v[14:15], s[4:5] scale_offset
	s_wait_xcnt 0x0
	v_add_nc_u32_e32 v13, 0x80, v13
	s_delay_alu instid0(VALU_DEP_1) | instskip(SKIP_1) | instid1(SALU_CYCLE_1)
	v_cmp_ge_u32_e32 vcc_lo, v13, v10
	s_or_b32 s9, vcc_lo, s9
	s_and_not1_b32 exec_lo, exec_lo, s9
	s_cbranch_execnz .LBB68_109
; %bb.110:
	s_or_b32 exec_lo, exec_lo, s9
.LBB68_111:
	s_delay_alu instid0(SALU_CYCLE_1)
	s_and_b32 vcc_lo, exec_lo, s0
	s_mov_b32 s0, -1
	s_wait_storecnt 0x0
	s_barrier_signal -1
	s_barrier_wait -1
	s_cbranch_vccnz .LBB68_115
; %bb.112:
	s_and_b32 vcc_lo, exec_lo, s0
	s_cbranch_vccnz .LBB68_126
.LBB68_113:
	s_and_b32 s0, s2, s22
	s_delay_alu instid0(SALU_CYCLE_1)
	s_and_saveexec_b32 s1, s0
	s_cbranch_execnz .LBB68_139
.LBB68_114:
	s_endpgm
.LBB68_115:
	v_cmp_lt_u32_e32 vcc_lo, v32, v31
	v_cmp_eq_u32_e64 s0, 1, v11
	s_or_b32 s1, s23, vcc_lo
	s_delay_alu instid0(SALU_CYCLE_1) | instskip(NEXT) | instid1(SALU_CYCLE_1)
	s_and_b32 s1, s1, s0
	s_and_saveexec_b32 s0, s1
	s_cbranch_execz .LBB68_117
; %bb.116:
	s_lshl_b64 s[4:5], s[10:11], 3
	s_delay_alu instid0(SALU_CYCLE_1)
	s_add_nc_u64 s[4:5], s[18:19], s[4:5]
	global_store_b64 v32, v[6:7], s[4:5] scale_offset
.LBB68_117:
	s_wait_xcnt 0x0
	s_or_b32 exec_lo, exec_lo, s0
	v_and_b32_e32 v12, 1, v29
	v_cmp_lt_u32_e32 vcc_lo, v25, v31
	s_delay_alu instid0(VALU_DEP_2) | instskip(SKIP_1) | instid1(SALU_CYCLE_1)
	v_cmp_eq_u32_e64 s0, 1, v12
	s_or_b32 s1, s23, vcc_lo
	s_and_b32 s1, s1, s0
	s_delay_alu instid0(SALU_CYCLE_1)
	s_and_saveexec_b32 s0, s1
	s_cbranch_execz .LBB68_119
; %bb.118:
	s_lshl_b64 s[4:5], s[10:11], 3
	s_delay_alu instid0(SALU_CYCLE_1)
	s_add_nc_u64 s[4:5], s[18:19], s[4:5]
	global_store_b64 v25, v[8:9], s[4:5] scale_offset
.LBB68_119:
	s_wait_xcnt 0x0
	s_or_b32 exec_lo, exec_lo, s0
	v_and_b32_e32 v12, 1, v35
	v_cmp_lt_u32_e32 vcc_lo, v24, v31
	s_delay_alu instid0(VALU_DEP_2) | instskip(SKIP_1) | instid1(SALU_CYCLE_1)
	v_cmp_eq_u32_e64 s0, 1, v12
	s_or_b32 s1, s23, vcc_lo
	s_and_b32 s1, s1, s0
	s_delay_alu instid0(SALU_CYCLE_1)
	;; [unrolled: 17-line block ×4, first 2 shown]
	s_and_saveexec_b32 s0, s1
	s_cbranch_execz .LBB68_125
; %bb.124:
	s_lshl_b64 s[4:5], s[10:11], 3
	s_delay_alu instid0(SALU_CYCLE_1)
	s_add_nc_u64 s[4:5], s[18:19], s[4:5]
	global_store_b64 v22, v[26:27], s[4:5] scale_offset
.LBB68_125:
	s_wait_xcnt 0x0
	s_or_b32 exec_lo, exec_lo, s0
	s_branch .LBB68_113
.LBB68_126:
	s_mov_b32 s0, exec_lo
	v_cmpx_eq_u32_e32 1, v11
; %bb.127:
	v_subrev_nc_u32_e32 v11, s8, v32
	s_delay_alu instid0(VALU_DEP_1)
	v_lshlrev_b32_e32 v11, 3, v11
	ds_store_b64 v11, v[6:7]
; %bb.128:
	s_or_b32 exec_lo, exec_lo, s0
	v_and_b32_e32 v6, 1, v29
	s_mov_b32 s0, exec_lo
	s_delay_alu instid0(VALU_DEP_1)
	v_cmpx_eq_u32_e32 1, v6
; %bb.129:
	v_subrev_nc_u32_e32 v6, s8, v25
	s_delay_alu instid0(VALU_DEP_1)
	v_lshlrev_b32_e32 v6, 3, v6
	ds_store_b64 v6, v[8:9]
; %bb.130:
	s_or_b32 exec_lo, exec_lo, s0
	v_and_b32_e32 v6, 1, v35
	s_mov_b32 s0, exec_lo
	s_delay_alu instid0(VALU_DEP_1)
	;; [unrolled: 11-line block ×4, first 2 shown]
	v_cmpx_eq_u32_e32 1, v1
; %bb.135:
	v_subrev_nc_u32_e32 v1, s8, v22
	s_delay_alu instid0(VALU_DEP_1)
	v_lshlrev_b32_e32 v1, 3, v1
	ds_store_b64 v1, v[26:27]
; %bb.136:
	s_or_b32 exec_lo, exec_lo, s0
	s_mov_b32 s9, 0
	s_lshl_b64 s[4:5], s[10:11], 3
	s_lshl_b64 s[0:1], s[8:9], 3
	s_wait_storecnt_dscnt 0x0
	s_add_nc_u64 s[0:1], s[18:19], s[0:1]
	s_barrier_signal -1
	s_add_nc_u64 s[0:1], s[0:1], s[4:5]
	s_barrier_wait -1
.LBB68_137:                             ; =>This Inner Loop Header: Depth=1
	ds_load_b64 v[2:3], v34
	v_add_nc_u32_e32 v34, 0x400, v34
	s_wait_dscnt 0x0
	global_store_b64 v0, v[2:3], s[0:1] scale_offset
	s_wait_xcnt 0x0
	v_add_nc_u32_e32 v0, 0x80, v0
	s_delay_alu instid0(VALU_DEP_1) | instskip(SKIP_1) | instid1(SALU_CYCLE_1)
	v_cmp_ge_u32_e32 vcc_lo, v0, v10
	s_or_b32 s9, vcc_lo, s9
	s_and_not1_b32 exec_lo, exec_lo, s9
	s_cbranch_execnz .LBB68_137
; %bb.138:
	s_or_b32 exec_lo, exec_lo, s9
	s_and_b32 s0, s2, s22
	s_delay_alu instid0(SALU_CYCLE_1)
	s_and_saveexec_b32 s1, s0
	s_cbranch_execz .LBB68_114
.LBB68_139:
	v_mov_b32_e32 v11, 0
	s_mov_b32 s9, 0
	s_delay_alu instid0(VALU_DEP_1) | instskip(NEXT) | instid1(VALU_DEP_1)
	v_add_nc_u64_e32 v[0:1], s[10:11], v[10:11]
	v_add_nc_u64_e32 v[0:1], s[8:9], v[0:1]
	global_store_b64 v11, v[0:1], s[12:13]
	s_endpgm
	.section	.rodata,"a",@progbits
	.p2align	6, 0x0
	.amdhsa_kernel _ZN7rocprim17ROCPRIM_400000_NS6detail17trampoline_kernelINS0_14default_configENS1_25partition_config_selectorILNS1_17partition_subalgoE9EllbEEZZNS1_14partition_implILS5_9ELb0ES3_jPKlN6thrust23THRUST_200600_302600_NS17counting_iteratorIlNSB_11use_defaultESD_SD_EEPNS0_10empty_typeENS0_5tupleIJPlSF_EEENSH_IJSI_SG_EEENS0_18inequality_wrapperIN6hipcub16HIPCUB_304000_NS8EqualityEEESI_JSF_EEE10hipError_tPvRmT3_T4_T5_T6_T7_T9_mT8_P12ihipStream_tbDpT10_ENKUlT_T0_E_clISt17integral_constantIbLb0EES18_IbLb1EEEEDaS14_S15_EUlS14_E_NS1_11comp_targetILNS1_3genE0ELNS1_11target_archE4294967295ELNS1_3gpuE0ELNS1_3repE0EEENS1_30default_config_static_selectorELNS0_4arch9wavefront6targetE0EEEvT1_
		.amdhsa_group_segment_fixed_size 5128
		.amdhsa_private_segment_fixed_size 0
		.amdhsa_kernarg_size 128
		.amdhsa_user_sgpr_count 2
		.amdhsa_user_sgpr_dispatch_ptr 0
		.amdhsa_user_sgpr_queue_ptr 0
		.amdhsa_user_sgpr_kernarg_segment_ptr 1
		.amdhsa_user_sgpr_dispatch_id 0
		.amdhsa_user_sgpr_kernarg_preload_length 0
		.amdhsa_user_sgpr_kernarg_preload_offset 0
		.amdhsa_user_sgpr_private_segment_size 0
		.amdhsa_wavefront_size32 1
		.amdhsa_uses_dynamic_stack 0
		.amdhsa_enable_private_segment 0
		.amdhsa_system_sgpr_workgroup_id_x 1
		.amdhsa_system_sgpr_workgroup_id_y 0
		.amdhsa_system_sgpr_workgroup_id_z 0
		.amdhsa_system_sgpr_workgroup_info 0
		.amdhsa_system_vgpr_workitem_id 0
		.amdhsa_next_free_vgpr 55
		.amdhsa_next_free_sgpr 30
		.amdhsa_named_barrier_count 0
		.amdhsa_reserve_vcc 1
		.amdhsa_float_round_mode_32 0
		.amdhsa_float_round_mode_16_64 0
		.amdhsa_float_denorm_mode_32 3
		.amdhsa_float_denorm_mode_16_64 3
		.amdhsa_fp16_overflow 0
		.amdhsa_memory_ordered 1
		.amdhsa_forward_progress 1
		.amdhsa_inst_pref_size 47
		.amdhsa_round_robin_scheduling 0
		.amdhsa_exception_fp_ieee_invalid_op 0
		.amdhsa_exception_fp_denorm_src 0
		.amdhsa_exception_fp_ieee_div_zero 0
		.amdhsa_exception_fp_ieee_overflow 0
		.amdhsa_exception_fp_ieee_underflow 0
		.amdhsa_exception_fp_ieee_inexact 0
		.amdhsa_exception_int_div_zero 0
	.end_amdhsa_kernel
	.section	.text._ZN7rocprim17ROCPRIM_400000_NS6detail17trampoline_kernelINS0_14default_configENS1_25partition_config_selectorILNS1_17partition_subalgoE9EllbEEZZNS1_14partition_implILS5_9ELb0ES3_jPKlN6thrust23THRUST_200600_302600_NS17counting_iteratorIlNSB_11use_defaultESD_SD_EEPNS0_10empty_typeENS0_5tupleIJPlSF_EEENSH_IJSI_SG_EEENS0_18inequality_wrapperIN6hipcub16HIPCUB_304000_NS8EqualityEEESI_JSF_EEE10hipError_tPvRmT3_T4_T5_T6_T7_T9_mT8_P12ihipStream_tbDpT10_ENKUlT_T0_E_clISt17integral_constantIbLb0EES18_IbLb1EEEEDaS14_S15_EUlS14_E_NS1_11comp_targetILNS1_3genE0ELNS1_11target_archE4294967295ELNS1_3gpuE0ELNS1_3repE0EEENS1_30default_config_static_selectorELNS0_4arch9wavefront6targetE0EEEvT1_,"axG",@progbits,_ZN7rocprim17ROCPRIM_400000_NS6detail17trampoline_kernelINS0_14default_configENS1_25partition_config_selectorILNS1_17partition_subalgoE9EllbEEZZNS1_14partition_implILS5_9ELb0ES3_jPKlN6thrust23THRUST_200600_302600_NS17counting_iteratorIlNSB_11use_defaultESD_SD_EEPNS0_10empty_typeENS0_5tupleIJPlSF_EEENSH_IJSI_SG_EEENS0_18inequality_wrapperIN6hipcub16HIPCUB_304000_NS8EqualityEEESI_JSF_EEE10hipError_tPvRmT3_T4_T5_T6_T7_T9_mT8_P12ihipStream_tbDpT10_ENKUlT_T0_E_clISt17integral_constantIbLb0EES18_IbLb1EEEEDaS14_S15_EUlS14_E_NS1_11comp_targetILNS1_3genE0ELNS1_11target_archE4294967295ELNS1_3gpuE0ELNS1_3repE0EEENS1_30default_config_static_selectorELNS0_4arch9wavefront6targetE0EEEvT1_,comdat
.Lfunc_end68:
	.size	_ZN7rocprim17ROCPRIM_400000_NS6detail17trampoline_kernelINS0_14default_configENS1_25partition_config_selectorILNS1_17partition_subalgoE9EllbEEZZNS1_14partition_implILS5_9ELb0ES3_jPKlN6thrust23THRUST_200600_302600_NS17counting_iteratorIlNSB_11use_defaultESD_SD_EEPNS0_10empty_typeENS0_5tupleIJPlSF_EEENSH_IJSI_SG_EEENS0_18inequality_wrapperIN6hipcub16HIPCUB_304000_NS8EqualityEEESI_JSF_EEE10hipError_tPvRmT3_T4_T5_T6_T7_T9_mT8_P12ihipStream_tbDpT10_ENKUlT_T0_E_clISt17integral_constantIbLb0EES18_IbLb1EEEEDaS14_S15_EUlS14_E_NS1_11comp_targetILNS1_3genE0ELNS1_11target_archE4294967295ELNS1_3gpuE0ELNS1_3repE0EEENS1_30default_config_static_selectorELNS0_4arch9wavefront6targetE0EEEvT1_, .Lfunc_end68-_ZN7rocprim17ROCPRIM_400000_NS6detail17trampoline_kernelINS0_14default_configENS1_25partition_config_selectorILNS1_17partition_subalgoE9EllbEEZZNS1_14partition_implILS5_9ELb0ES3_jPKlN6thrust23THRUST_200600_302600_NS17counting_iteratorIlNSB_11use_defaultESD_SD_EEPNS0_10empty_typeENS0_5tupleIJPlSF_EEENSH_IJSI_SG_EEENS0_18inequality_wrapperIN6hipcub16HIPCUB_304000_NS8EqualityEEESI_JSF_EEE10hipError_tPvRmT3_T4_T5_T6_T7_T9_mT8_P12ihipStream_tbDpT10_ENKUlT_T0_E_clISt17integral_constantIbLb0EES18_IbLb1EEEEDaS14_S15_EUlS14_E_NS1_11comp_targetILNS1_3genE0ELNS1_11target_archE4294967295ELNS1_3gpuE0ELNS1_3repE0EEENS1_30default_config_static_selectorELNS0_4arch9wavefront6targetE0EEEvT1_
                                        ; -- End function
	.set _ZN7rocprim17ROCPRIM_400000_NS6detail17trampoline_kernelINS0_14default_configENS1_25partition_config_selectorILNS1_17partition_subalgoE9EllbEEZZNS1_14partition_implILS5_9ELb0ES3_jPKlN6thrust23THRUST_200600_302600_NS17counting_iteratorIlNSB_11use_defaultESD_SD_EEPNS0_10empty_typeENS0_5tupleIJPlSF_EEENSH_IJSI_SG_EEENS0_18inequality_wrapperIN6hipcub16HIPCUB_304000_NS8EqualityEEESI_JSF_EEE10hipError_tPvRmT3_T4_T5_T6_T7_T9_mT8_P12ihipStream_tbDpT10_ENKUlT_T0_E_clISt17integral_constantIbLb0EES18_IbLb1EEEEDaS14_S15_EUlS14_E_NS1_11comp_targetILNS1_3genE0ELNS1_11target_archE4294967295ELNS1_3gpuE0ELNS1_3repE0EEENS1_30default_config_static_selectorELNS0_4arch9wavefront6targetE0EEEvT1_.num_vgpr, 55
	.set _ZN7rocprim17ROCPRIM_400000_NS6detail17trampoline_kernelINS0_14default_configENS1_25partition_config_selectorILNS1_17partition_subalgoE9EllbEEZZNS1_14partition_implILS5_9ELb0ES3_jPKlN6thrust23THRUST_200600_302600_NS17counting_iteratorIlNSB_11use_defaultESD_SD_EEPNS0_10empty_typeENS0_5tupleIJPlSF_EEENSH_IJSI_SG_EEENS0_18inequality_wrapperIN6hipcub16HIPCUB_304000_NS8EqualityEEESI_JSF_EEE10hipError_tPvRmT3_T4_T5_T6_T7_T9_mT8_P12ihipStream_tbDpT10_ENKUlT_T0_E_clISt17integral_constantIbLb0EES18_IbLb1EEEEDaS14_S15_EUlS14_E_NS1_11comp_targetILNS1_3genE0ELNS1_11target_archE4294967295ELNS1_3gpuE0ELNS1_3repE0EEENS1_30default_config_static_selectorELNS0_4arch9wavefront6targetE0EEEvT1_.num_agpr, 0
	.set _ZN7rocprim17ROCPRIM_400000_NS6detail17trampoline_kernelINS0_14default_configENS1_25partition_config_selectorILNS1_17partition_subalgoE9EllbEEZZNS1_14partition_implILS5_9ELb0ES3_jPKlN6thrust23THRUST_200600_302600_NS17counting_iteratorIlNSB_11use_defaultESD_SD_EEPNS0_10empty_typeENS0_5tupleIJPlSF_EEENSH_IJSI_SG_EEENS0_18inequality_wrapperIN6hipcub16HIPCUB_304000_NS8EqualityEEESI_JSF_EEE10hipError_tPvRmT3_T4_T5_T6_T7_T9_mT8_P12ihipStream_tbDpT10_ENKUlT_T0_E_clISt17integral_constantIbLb0EES18_IbLb1EEEEDaS14_S15_EUlS14_E_NS1_11comp_targetILNS1_3genE0ELNS1_11target_archE4294967295ELNS1_3gpuE0ELNS1_3repE0EEENS1_30default_config_static_selectorELNS0_4arch9wavefront6targetE0EEEvT1_.numbered_sgpr, 30
	.set _ZN7rocprim17ROCPRIM_400000_NS6detail17trampoline_kernelINS0_14default_configENS1_25partition_config_selectorILNS1_17partition_subalgoE9EllbEEZZNS1_14partition_implILS5_9ELb0ES3_jPKlN6thrust23THRUST_200600_302600_NS17counting_iteratorIlNSB_11use_defaultESD_SD_EEPNS0_10empty_typeENS0_5tupleIJPlSF_EEENSH_IJSI_SG_EEENS0_18inequality_wrapperIN6hipcub16HIPCUB_304000_NS8EqualityEEESI_JSF_EEE10hipError_tPvRmT3_T4_T5_T6_T7_T9_mT8_P12ihipStream_tbDpT10_ENKUlT_T0_E_clISt17integral_constantIbLb0EES18_IbLb1EEEEDaS14_S15_EUlS14_E_NS1_11comp_targetILNS1_3genE0ELNS1_11target_archE4294967295ELNS1_3gpuE0ELNS1_3repE0EEENS1_30default_config_static_selectorELNS0_4arch9wavefront6targetE0EEEvT1_.num_named_barrier, 0
	.set _ZN7rocprim17ROCPRIM_400000_NS6detail17trampoline_kernelINS0_14default_configENS1_25partition_config_selectorILNS1_17partition_subalgoE9EllbEEZZNS1_14partition_implILS5_9ELb0ES3_jPKlN6thrust23THRUST_200600_302600_NS17counting_iteratorIlNSB_11use_defaultESD_SD_EEPNS0_10empty_typeENS0_5tupleIJPlSF_EEENSH_IJSI_SG_EEENS0_18inequality_wrapperIN6hipcub16HIPCUB_304000_NS8EqualityEEESI_JSF_EEE10hipError_tPvRmT3_T4_T5_T6_T7_T9_mT8_P12ihipStream_tbDpT10_ENKUlT_T0_E_clISt17integral_constantIbLb0EES18_IbLb1EEEEDaS14_S15_EUlS14_E_NS1_11comp_targetILNS1_3genE0ELNS1_11target_archE4294967295ELNS1_3gpuE0ELNS1_3repE0EEENS1_30default_config_static_selectorELNS0_4arch9wavefront6targetE0EEEvT1_.private_seg_size, 0
	.set _ZN7rocprim17ROCPRIM_400000_NS6detail17trampoline_kernelINS0_14default_configENS1_25partition_config_selectorILNS1_17partition_subalgoE9EllbEEZZNS1_14partition_implILS5_9ELb0ES3_jPKlN6thrust23THRUST_200600_302600_NS17counting_iteratorIlNSB_11use_defaultESD_SD_EEPNS0_10empty_typeENS0_5tupleIJPlSF_EEENSH_IJSI_SG_EEENS0_18inequality_wrapperIN6hipcub16HIPCUB_304000_NS8EqualityEEESI_JSF_EEE10hipError_tPvRmT3_T4_T5_T6_T7_T9_mT8_P12ihipStream_tbDpT10_ENKUlT_T0_E_clISt17integral_constantIbLb0EES18_IbLb1EEEEDaS14_S15_EUlS14_E_NS1_11comp_targetILNS1_3genE0ELNS1_11target_archE4294967295ELNS1_3gpuE0ELNS1_3repE0EEENS1_30default_config_static_selectorELNS0_4arch9wavefront6targetE0EEEvT1_.uses_vcc, 1
	.set _ZN7rocprim17ROCPRIM_400000_NS6detail17trampoline_kernelINS0_14default_configENS1_25partition_config_selectorILNS1_17partition_subalgoE9EllbEEZZNS1_14partition_implILS5_9ELb0ES3_jPKlN6thrust23THRUST_200600_302600_NS17counting_iteratorIlNSB_11use_defaultESD_SD_EEPNS0_10empty_typeENS0_5tupleIJPlSF_EEENSH_IJSI_SG_EEENS0_18inequality_wrapperIN6hipcub16HIPCUB_304000_NS8EqualityEEESI_JSF_EEE10hipError_tPvRmT3_T4_T5_T6_T7_T9_mT8_P12ihipStream_tbDpT10_ENKUlT_T0_E_clISt17integral_constantIbLb0EES18_IbLb1EEEEDaS14_S15_EUlS14_E_NS1_11comp_targetILNS1_3genE0ELNS1_11target_archE4294967295ELNS1_3gpuE0ELNS1_3repE0EEENS1_30default_config_static_selectorELNS0_4arch9wavefront6targetE0EEEvT1_.uses_flat_scratch, 0
	.set _ZN7rocprim17ROCPRIM_400000_NS6detail17trampoline_kernelINS0_14default_configENS1_25partition_config_selectorILNS1_17partition_subalgoE9EllbEEZZNS1_14partition_implILS5_9ELb0ES3_jPKlN6thrust23THRUST_200600_302600_NS17counting_iteratorIlNSB_11use_defaultESD_SD_EEPNS0_10empty_typeENS0_5tupleIJPlSF_EEENSH_IJSI_SG_EEENS0_18inequality_wrapperIN6hipcub16HIPCUB_304000_NS8EqualityEEESI_JSF_EEE10hipError_tPvRmT3_T4_T5_T6_T7_T9_mT8_P12ihipStream_tbDpT10_ENKUlT_T0_E_clISt17integral_constantIbLb0EES18_IbLb1EEEEDaS14_S15_EUlS14_E_NS1_11comp_targetILNS1_3genE0ELNS1_11target_archE4294967295ELNS1_3gpuE0ELNS1_3repE0EEENS1_30default_config_static_selectorELNS0_4arch9wavefront6targetE0EEEvT1_.has_dyn_sized_stack, 0
	.set _ZN7rocprim17ROCPRIM_400000_NS6detail17trampoline_kernelINS0_14default_configENS1_25partition_config_selectorILNS1_17partition_subalgoE9EllbEEZZNS1_14partition_implILS5_9ELb0ES3_jPKlN6thrust23THRUST_200600_302600_NS17counting_iteratorIlNSB_11use_defaultESD_SD_EEPNS0_10empty_typeENS0_5tupleIJPlSF_EEENSH_IJSI_SG_EEENS0_18inequality_wrapperIN6hipcub16HIPCUB_304000_NS8EqualityEEESI_JSF_EEE10hipError_tPvRmT3_T4_T5_T6_T7_T9_mT8_P12ihipStream_tbDpT10_ENKUlT_T0_E_clISt17integral_constantIbLb0EES18_IbLb1EEEEDaS14_S15_EUlS14_E_NS1_11comp_targetILNS1_3genE0ELNS1_11target_archE4294967295ELNS1_3gpuE0ELNS1_3repE0EEENS1_30default_config_static_selectorELNS0_4arch9wavefront6targetE0EEEvT1_.has_recursion, 0
	.set _ZN7rocprim17ROCPRIM_400000_NS6detail17trampoline_kernelINS0_14default_configENS1_25partition_config_selectorILNS1_17partition_subalgoE9EllbEEZZNS1_14partition_implILS5_9ELb0ES3_jPKlN6thrust23THRUST_200600_302600_NS17counting_iteratorIlNSB_11use_defaultESD_SD_EEPNS0_10empty_typeENS0_5tupleIJPlSF_EEENSH_IJSI_SG_EEENS0_18inequality_wrapperIN6hipcub16HIPCUB_304000_NS8EqualityEEESI_JSF_EEE10hipError_tPvRmT3_T4_T5_T6_T7_T9_mT8_P12ihipStream_tbDpT10_ENKUlT_T0_E_clISt17integral_constantIbLb0EES18_IbLb1EEEEDaS14_S15_EUlS14_E_NS1_11comp_targetILNS1_3genE0ELNS1_11target_archE4294967295ELNS1_3gpuE0ELNS1_3repE0EEENS1_30default_config_static_selectorELNS0_4arch9wavefront6targetE0EEEvT1_.has_indirect_call, 0
	.section	.AMDGPU.csdata,"",@progbits
; Kernel info:
; codeLenInByte = 5992
; TotalNumSgprs: 32
; NumVgprs: 55
; ScratchSize: 0
; MemoryBound: 0
; FloatMode: 240
; IeeeMode: 1
; LDSByteSize: 5128 bytes/workgroup (compile time only)
; SGPRBlocks: 0
; VGPRBlocks: 3
; NumSGPRsForWavesPerEU: 32
; NumVGPRsForWavesPerEU: 55
; NamedBarCnt: 0
; Occupancy: 16
; WaveLimiterHint : 1
; COMPUTE_PGM_RSRC2:SCRATCH_EN: 0
; COMPUTE_PGM_RSRC2:USER_SGPR: 2
; COMPUTE_PGM_RSRC2:TRAP_HANDLER: 0
; COMPUTE_PGM_RSRC2:TGID_X_EN: 1
; COMPUTE_PGM_RSRC2:TGID_Y_EN: 0
; COMPUTE_PGM_RSRC2:TGID_Z_EN: 0
; COMPUTE_PGM_RSRC2:TIDIG_COMP_CNT: 0
	.section	.text._ZN7rocprim17ROCPRIM_400000_NS6detail17trampoline_kernelINS0_14default_configENS1_25partition_config_selectorILNS1_17partition_subalgoE9EllbEEZZNS1_14partition_implILS5_9ELb0ES3_jPKlN6thrust23THRUST_200600_302600_NS17counting_iteratorIlNSB_11use_defaultESD_SD_EEPNS0_10empty_typeENS0_5tupleIJPlSF_EEENSH_IJSI_SG_EEENS0_18inequality_wrapperIN6hipcub16HIPCUB_304000_NS8EqualityEEESI_JSF_EEE10hipError_tPvRmT3_T4_T5_T6_T7_T9_mT8_P12ihipStream_tbDpT10_ENKUlT_T0_E_clISt17integral_constantIbLb0EES18_IbLb1EEEEDaS14_S15_EUlS14_E_NS1_11comp_targetILNS1_3genE5ELNS1_11target_archE942ELNS1_3gpuE9ELNS1_3repE0EEENS1_30default_config_static_selectorELNS0_4arch9wavefront6targetE0EEEvT1_,"axG",@progbits,_ZN7rocprim17ROCPRIM_400000_NS6detail17trampoline_kernelINS0_14default_configENS1_25partition_config_selectorILNS1_17partition_subalgoE9EllbEEZZNS1_14partition_implILS5_9ELb0ES3_jPKlN6thrust23THRUST_200600_302600_NS17counting_iteratorIlNSB_11use_defaultESD_SD_EEPNS0_10empty_typeENS0_5tupleIJPlSF_EEENSH_IJSI_SG_EEENS0_18inequality_wrapperIN6hipcub16HIPCUB_304000_NS8EqualityEEESI_JSF_EEE10hipError_tPvRmT3_T4_T5_T6_T7_T9_mT8_P12ihipStream_tbDpT10_ENKUlT_T0_E_clISt17integral_constantIbLb0EES18_IbLb1EEEEDaS14_S15_EUlS14_E_NS1_11comp_targetILNS1_3genE5ELNS1_11target_archE942ELNS1_3gpuE9ELNS1_3repE0EEENS1_30default_config_static_selectorELNS0_4arch9wavefront6targetE0EEEvT1_,comdat
	.protected	_ZN7rocprim17ROCPRIM_400000_NS6detail17trampoline_kernelINS0_14default_configENS1_25partition_config_selectorILNS1_17partition_subalgoE9EllbEEZZNS1_14partition_implILS5_9ELb0ES3_jPKlN6thrust23THRUST_200600_302600_NS17counting_iteratorIlNSB_11use_defaultESD_SD_EEPNS0_10empty_typeENS0_5tupleIJPlSF_EEENSH_IJSI_SG_EEENS0_18inequality_wrapperIN6hipcub16HIPCUB_304000_NS8EqualityEEESI_JSF_EEE10hipError_tPvRmT3_T4_T5_T6_T7_T9_mT8_P12ihipStream_tbDpT10_ENKUlT_T0_E_clISt17integral_constantIbLb0EES18_IbLb1EEEEDaS14_S15_EUlS14_E_NS1_11comp_targetILNS1_3genE5ELNS1_11target_archE942ELNS1_3gpuE9ELNS1_3repE0EEENS1_30default_config_static_selectorELNS0_4arch9wavefront6targetE0EEEvT1_ ; -- Begin function _ZN7rocprim17ROCPRIM_400000_NS6detail17trampoline_kernelINS0_14default_configENS1_25partition_config_selectorILNS1_17partition_subalgoE9EllbEEZZNS1_14partition_implILS5_9ELb0ES3_jPKlN6thrust23THRUST_200600_302600_NS17counting_iteratorIlNSB_11use_defaultESD_SD_EEPNS0_10empty_typeENS0_5tupleIJPlSF_EEENSH_IJSI_SG_EEENS0_18inequality_wrapperIN6hipcub16HIPCUB_304000_NS8EqualityEEESI_JSF_EEE10hipError_tPvRmT3_T4_T5_T6_T7_T9_mT8_P12ihipStream_tbDpT10_ENKUlT_T0_E_clISt17integral_constantIbLb0EES18_IbLb1EEEEDaS14_S15_EUlS14_E_NS1_11comp_targetILNS1_3genE5ELNS1_11target_archE942ELNS1_3gpuE9ELNS1_3repE0EEENS1_30default_config_static_selectorELNS0_4arch9wavefront6targetE0EEEvT1_
	.globl	_ZN7rocprim17ROCPRIM_400000_NS6detail17trampoline_kernelINS0_14default_configENS1_25partition_config_selectorILNS1_17partition_subalgoE9EllbEEZZNS1_14partition_implILS5_9ELb0ES3_jPKlN6thrust23THRUST_200600_302600_NS17counting_iteratorIlNSB_11use_defaultESD_SD_EEPNS0_10empty_typeENS0_5tupleIJPlSF_EEENSH_IJSI_SG_EEENS0_18inequality_wrapperIN6hipcub16HIPCUB_304000_NS8EqualityEEESI_JSF_EEE10hipError_tPvRmT3_T4_T5_T6_T7_T9_mT8_P12ihipStream_tbDpT10_ENKUlT_T0_E_clISt17integral_constantIbLb0EES18_IbLb1EEEEDaS14_S15_EUlS14_E_NS1_11comp_targetILNS1_3genE5ELNS1_11target_archE942ELNS1_3gpuE9ELNS1_3repE0EEENS1_30default_config_static_selectorELNS0_4arch9wavefront6targetE0EEEvT1_
	.p2align	8
	.type	_ZN7rocprim17ROCPRIM_400000_NS6detail17trampoline_kernelINS0_14default_configENS1_25partition_config_selectorILNS1_17partition_subalgoE9EllbEEZZNS1_14partition_implILS5_9ELb0ES3_jPKlN6thrust23THRUST_200600_302600_NS17counting_iteratorIlNSB_11use_defaultESD_SD_EEPNS0_10empty_typeENS0_5tupleIJPlSF_EEENSH_IJSI_SG_EEENS0_18inequality_wrapperIN6hipcub16HIPCUB_304000_NS8EqualityEEESI_JSF_EEE10hipError_tPvRmT3_T4_T5_T6_T7_T9_mT8_P12ihipStream_tbDpT10_ENKUlT_T0_E_clISt17integral_constantIbLb0EES18_IbLb1EEEEDaS14_S15_EUlS14_E_NS1_11comp_targetILNS1_3genE5ELNS1_11target_archE942ELNS1_3gpuE9ELNS1_3repE0EEENS1_30default_config_static_selectorELNS0_4arch9wavefront6targetE0EEEvT1_,@function
_ZN7rocprim17ROCPRIM_400000_NS6detail17trampoline_kernelINS0_14default_configENS1_25partition_config_selectorILNS1_17partition_subalgoE9EllbEEZZNS1_14partition_implILS5_9ELb0ES3_jPKlN6thrust23THRUST_200600_302600_NS17counting_iteratorIlNSB_11use_defaultESD_SD_EEPNS0_10empty_typeENS0_5tupleIJPlSF_EEENSH_IJSI_SG_EEENS0_18inequality_wrapperIN6hipcub16HIPCUB_304000_NS8EqualityEEESI_JSF_EEE10hipError_tPvRmT3_T4_T5_T6_T7_T9_mT8_P12ihipStream_tbDpT10_ENKUlT_T0_E_clISt17integral_constantIbLb0EES18_IbLb1EEEEDaS14_S15_EUlS14_E_NS1_11comp_targetILNS1_3genE5ELNS1_11target_archE942ELNS1_3gpuE9ELNS1_3repE0EEENS1_30default_config_static_selectorELNS0_4arch9wavefront6targetE0EEEvT1_: ; @_ZN7rocprim17ROCPRIM_400000_NS6detail17trampoline_kernelINS0_14default_configENS1_25partition_config_selectorILNS1_17partition_subalgoE9EllbEEZZNS1_14partition_implILS5_9ELb0ES3_jPKlN6thrust23THRUST_200600_302600_NS17counting_iteratorIlNSB_11use_defaultESD_SD_EEPNS0_10empty_typeENS0_5tupleIJPlSF_EEENSH_IJSI_SG_EEENS0_18inequality_wrapperIN6hipcub16HIPCUB_304000_NS8EqualityEEESI_JSF_EEE10hipError_tPvRmT3_T4_T5_T6_T7_T9_mT8_P12ihipStream_tbDpT10_ENKUlT_T0_E_clISt17integral_constantIbLb0EES18_IbLb1EEEEDaS14_S15_EUlS14_E_NS1_11comp_targetILNS1_3genE5ELNS1_11target_archE942ELNS1_3gpuE9ELNS1_3repE0EEENS1_30default_config_static_selectorELNS0_4arch9wavefront6targetE0EEEvT1_
; %bb.0:
	.section	.rodata,"a",@progbits
	.p2align	6, 0x0
	.amdhsa_kernel _ZN7rocprim17ROCPRIM_400000_NS6detail17trampoline_kernelINS0_14default_configENS1_25partition_config_selectorILNS1_17partition_subalgoE9EllbEEZZNS1_14partition_implILS5_9ELb0ES3_jPKlN6thrust23THRUST_200600_302600_NS17counting_iteratorIlNSB_11use_defaultESD_SD_EEPNS0_10empty_typeENS0_5tupleIJPlSF_EEENSH_IJSI_SG_EEENS0_18inequality_wrapperIN6hipcub16HIPCUB_304000_NS8EqualityEEESI_JSF_EEE10hipError_tPvRmT3_T4_T5_T6_T7_T9_mT8_P12ihipStream_tbDpT10_ENKUlT_T0_E_clISt17integral_constantIbLb0EES18_IbLb1EEEEDaS14_S15_EUlS14_E_NS1_11comp_targetILNS1_3genE5ELNS1_11target_archE942ELNS1_3gpuE9ELNS1_3repE0EEENS1_30default_config_static_selectorELNS0_4arch9wavefront6targetE0EEEvT1_
		.amdhsa_group_segment_fixed_size 0
		.amdhsa_private_segment_fixed_size 0
		.amdhsa_kernarg_size 128
		.amdhsa_user_sgpr_count 2
		.amdhsa_user_sgpr_dispatch_ptr 0
		.amdhsa_user_sgpr_queue_ptr 0
		.amdhsa_user_sgpr_kernarg_segment_ptr 1
		.amdhsa_user_sgpr_dispatch_id 0
		.amdhsa_user_sgpr_kernarg_preload_length 0
		.amdhsa_user_sgpr_kernarg_preload_offset 0
		.amdhsa_user_sgpr_private_segment_size 0
		.amdhsa_wavefront_size32 1
		.amdhsa_uses_dynamic_stack 0
		.amdhsa_enable_private_segment 0
		.amdhsa_system_sgpr_workgroup_id_x 1
		.amdhsa_system_sgpr_workgroup_id_y 0
		.amdhsa_system_sgpr_workgroup_id_z 0
		.amdhsa_system_sgpr_workgroup_info 0
		.amdhsa_system_vgpr_workitem_id 0
		.amdhsa_next_free_vgpr 1
		.amdhsa_next_free_sgpr 1
		.amdhsa_named_barrier_count 0
		.amdhsa_reserve_vcc 0
		.amdhsa_float_round_mode_32 0
		.amdhsa_float_round_mode_16_64 0
		.amdhsa_float_denorm_mode_32 3
		.amdhsa_float_denorm_mode_16_64 3
		.amdhsa_fp16_overflow 0
		.amdhsa_memory_ordered 1
		.amdhsa_forward_progress 1
		.amdhsa_inst_pref_size 0
		.amdhsa_round_robin_scheduling 0
		.amdhsa_exception_fp_ieee_invalid_op 0
		.amdhsa_exception_fp_denorm_src 0
		.amdhsa_exception_fp_ieee_div_zero 0
		.amdhsa_exception_fp_ieee_overflow 0
		.amdhsa_exception_fp_ieee_underflow 0
		.amdhsa_exception_fp_ieee_inexact 0
		.amdhsa_exception_int_div_zero 0
	.end_amdhsa_kernel
	.section	.text._ZN7rocprim17ROCPRIM_400000_NS6detail17trampoline_kernelINS0_14default_configENS1_25partition_config_selectorILNS1_17partition_subalgoE9EllbEEZZNS1_14partition_implILS5_9ELb0ES3_jPKlN6thrust23THRUST_200600_302600_NS17counting_iteratorIlNSB_11use_defaultESD_SD_EEPNS0_10empty_typeENS0_5tupleIJPlSF_EEENSH_IJSI_SG_EEENS0_18inequality_wrapperIN6hipcub16HIPCUB_304000_NS8EqualityEEESI_JSF_EEE10hipError_tPvRmT3_T4_T5_T6_T7_T9_mT8_P12ihipStream_tbDpT10_ENKUlT_T0_E_clISt17integral_constantIbLb0EES18_IbLb1EEEEDaS14_S15_EUlS14_E_NS1_11comp_targetILNS1_3genE5ELNS1_11target_archE942ELNS1_3gpuE9ELNS1_3repE0EEENS1_30default_config_static_selectorELNS0_4arch9wavefront6targetE0EEEvT1_,"axG",@progbits,_ZN7rocprim17ROCPRIM_400000_NS6detail17trampoline_kernelINS0_14default_configENS1_25partition_config_selectorILNS1_17partition_subalgoE9EllbEEZZNS1_14partition_implILS5_9ELb0ES3_jPKlN6thrust23THRUST_200600_302600_NS17counting_iteratorIlNSB_11use_defaultESD_SD_EEPNS0_10empty_typeENS0_5tupleIJPlSF_EEENSH_IJSI_SG_EEENS0_18inequality_wrapperIN6hipcub16HIPCUB_304000_NS8EqualityEEESI_JSF_EEE10hipError_tPvRmT3_T4_T5_T6_T7_T9_mT8_P12ihipStream_tbDpT10_ENKUlT_T0_E_clISt17integral_constantIbLb0EES18_IbLb1EEEEDaS14_S15_EUlS14_E_NS1_11comp_targetILNS1_3genE5ELNS1_11target_archE942ELNS1_3gpuE9ELNS1_3repE0EEENS1_30default_config_static_selectorELNS0_4arch9wavefront6targetE0EEEvT1_,comdat
.Lfunc_end69:
	.size	_ZN7rocprim17ROCPRIM_400000_NS6detail17trampoline_kernelINS0_14default_configENS1_25partition_config_selectorILNS1_17partition_subalgoE9EllbEEZZNS1_14partition_implILS5_9ELb0ES3_jPKlN6thrust23THRUST_200600_302600_NS17counting_iteratorIlNSB_11use_defaultESD_SD_EEPNS0_10empty_typeENS0_5tupleIJPlSF_EEENSH_IJSI_SG_EEENS0_18inequality_wrapperIN6hipcub16HIPCUB_304000_NS8EqualityEEESI_JSF_EEE10hipError_tPvRmT3_T4_T5_T6_T7_T9_mT8_P12ihipStream_tbDpT10_ENKUlT_T0_E_clISt17integral_constantIbLb0EES18_IbLb1EEEEDaS14_S15_EUlS14_E_NS1_11comp_targetILNS1_3genE5ELNS1_11target_archE942ELNS1_3gpuE9ELNS1_3repE0EEENS1_30default_config_static_selectorELNS0_4arch9wavefront6targetE0EEEvT1_, .Lfunc_end69-_ZN7rocprim17ROCPRIM_400000_NS6detail17trampoline_kernelINS0_14default_configENS1_25partition_config_selectorILNS1_17partition_subalgoE9EllbEEZZNS1_14partition_implILS5_9ELb0ES3_jPKlN6thrust23THRUST_200600_302600_NS17counting_iteratorIlNSB_11use_defaultESD_SD_EEPNS0_10empty_typeENS0_5tupleIJPlSF_EEENSH_IJSI_SG_EEENS0_18inequality_wrapperIN6hipcub16HIPCUB_304000_NS8EqualityEEESI_JSF_EEE10hipError_tPvRmT3_T4_T5_T6_T7_T9_mT8_P12ihipStream_tbDpT10_ENKUlT_T0_E_clISt17integral_constantIbLb0EES18_IbLb1EEEEDaS14_S15_EUlS14_E_NS1_11comp_targetILNS1_3genE5ELNS1_11target_archE942ELNS1_3gpuE9ELNS1_3repE0EEENS1_30default_config_static_selectorELNS0_4arch9wavefront6targetE0EEEvT1_
                                        ; -- End function
	.set _ZN7rocprim17ROCPRIM_400000_NS6detail17trampoline_kernelINS0_14default_configENS1_25partition_config_selectorILNS1_17partition_subalgoE9EllbEEZZNS1_14partition_implILS5_9ELb0ES3_jPKlN6thrust23THRUST_200600_302600_NS17counting_iteratorIlNSB_11use_defaultESD_SD_EEPNS0_10empty_typeENS0_5tupleIJPlSF_EEENSH_IJSI_SG_EEENS0_18inequality_wrapperIN6hipcub16HIPCUB_304000_NS8EqualityEEESI_JSF_EEE10hipError_tPvRmT3_T4_T5_T6_T7_T9_mT8_P12ihipStream_tbDpT10_ENKUlT_T0_E_clISt17integral_constantIbLb0EES18_IbLb1EEEEDaS14_S15_EUlS14_E_NS1_11comp_targetILNS1_3genE5ELNS1_11target_archE942ELNS1_3gpuE9ELNS1_3repE0EEENS1_30default_config_static_selectorELNS0_4arch9wavefront6targetE0EEEvT1_.num_vgpr, 0
	.set _ZN7rocprim17ROCPRIM_400000_NS6detail17trampoline_kernelINS0_14default_configENS1_25partition_config_selectorILNS1_17partition_subalgoE9EllbEEZZNS1_14partition_implILS5_9ELb0ES3_jPKlN6thrust23THRUST_200600_302600_NS17counting_iteratorIlNSB_11use_defaultESD_SD_EEPNS0_10empty_typeENS0_5tupleIJPlSF_EEENSH_IJSI_SG_EEENS0_18inequality_wrapperIN6hipcub16HIPCUB_304000_NS8EqualityEEESI_JSF_EEE10hipError_tPvRmT3_T4_T5_T6_T7_T9_mT8_P12ihipStream_tbDpT10_ENKUlT_T0_E_clISt17integral_constantIbLb0EES18_IbLb1EEEEDaS14_S15_EUlS14_E_NS1_11comp_targetILNS1_3genE5ELNS1_11target_archE942ELNS1_3gpuE9ELNS1_3repE0EEENS1_30default_config_static_selectorELNS0_4arch9wavefront6targetE0EEEvT1_.num_agpr, 0
	.set _ZN7rocprim17ROCPRIM_400000_NS6detail17trampoline_kernelINS0_14default_configENS1_25partition_config_selectorILNS1_17partition_subalgoE9EllbEEZZNS1_14partition_implILS5_9ELb0ES3_jPKlN6thrust23THRUST_200600_302600_NS17counting_iteratorIlNSB_11use_defaultESD_SD_EEPNS0_10empty_typeENS0_5tupleIJPlSF_EEENSH_IJSI_SG_EEENS0_18inequality_wrapperIN6hipcub16HIPCUB_304000_NS8EqualityEEESI_JSF_EEE10hipError_tPvRmT3_T4_T5_T6_T7_T9_mT8_P12ihipStream_tbDpT10_ENKUlT_T0_E_clISt17integral_constantIbLb0EES18_IbLb1EEEEDaS14_S15_EUlS14_E_NS1_11comp_targetILNS1_3genE5ELNS1_11target_archE942ELNS1_3gpuE9ELNS1_3repE0EEENS1_30default_config_static_selectorELNS0_4arch9wavefront6targetE0EEEvT1_.numbered_sgpr, 0
	.set _ZN7rocprim17ROCPRIM_400000_NS6detail17trampoline_kernelINS0_14default_configENS1_25partition_config_selectorILNS1_17partition_subalgoE9EllbEEZZNS1_14partition_implILS5_9ELb0ES3_jPKlN6thrust23THRUST_200600_302600_NS17counting_iteratorIlNSB_11use_defaultESD_SD_EEPNS0_10empty_typeENS0_5tupleIJPlSF_EEENSH_IJSI_SG_EEENS0_18inequality_wrapperIN6hipcub16HIPCUB_304000_NS8EqualityEEESI_JSF_EEE10hipError_tPvRmT3_T4_T5_T6_T7_T9_mT8_P12ihipStream_tbDpT10_ENKUlT_T0_E_clISt17integral_constantIbLb0EES18_IbLb1EEEEDaS14_S15_EUlS14_E_NS1_11comp_targetILNS1_3genE5ELNS1_11target_archE942ELNS1_3gpuE9ELNS1_3repE0EEENS1_30default_config_static_selectorELNS0_4arch9wavefront6targetE0EEEvT1_.num_named_barrier, 0
	.set _ZN7rocprim17ROCPRIM_400000_NS6detail17trampoline_kernelINS0_14default_configENS1_25partition_config_selectorILNS1_17partition_subalgoE9EllbEEZZNS1_14partition_implILS5_9ELb0ES3_jPKlN6thrust23THRUST_200600_302600_NS17counting_iteratorIlNSB_11use_defaultESD_SD_EEPNS0_10empty_typeENS0_5tupleIJPlSF_EEENSH_IJSI_SG_EEENS0_18inequality_wrapperIN6hipcub16HIPCUB_304000_NS8EqualityEEESI_JSF_EEE10hipError_tPvRmT3_T4_T5_T6_T7_T9_mT8_P12ihipStream_tbDpT10_ENKUlT_T0_E_clISt17integral_constantIbLb0EES18_IbLb1EEEEDaS14_S15_EUlS14_E_NS1_11comp_targetILNS1_3genE5ELNS1_11target_archE942ELNS1_3gpuE9ELNS1_3repE0EEENS1_30default_config_static_selectorELNS0_4arch9wavefront6targetE0EEEvT1_.private_seg_size, 0
	.set _ZN7rocprim17ROCPRIM_400000_NS6detail17trampoline_kernelINS0_14default_configENS1_25partition_config_selectorILNS1_17partition_subalgoE9EllbEEZZNS1_14partition_implILS5_9ELb0ES3_jPKlN6thrust23THRUST_200600_302600_NS17counting_iteratorIlNSB_11use_defaultESD_SD_EEPNS0_10empty_typeENS0_5tupleIJPlSF_EEENSH_IJSI_SG_EEENS0_18inequality_wrapperIN6hipcub16HIPCUB_304000_NS8EqualityEEESI_JSF_EEE10hipError_tPvRmT3_T4_T5_T6_T7_T9_mT8_P12ihipStream_tbDpT10_ENKUlT_T0_E_clISt17integral_constantIbLb0EES18_IbLb1EEEEDaS14_S15_EUlS14_E_NS1_11comp_targetILNS1_3genE5ELNS1_11target_archE942ELNS1_3gpuE9ELNS1_3repE0EEENS1_30default_config_static_selectorELNS0_4arch9wavefront6targetE0EEEvT1_.uses_vcc, 0
	.set _ZN7rocprim17ROCPRIM_400000_NS6detail17trampoline_kernelINS0_14default_configENS1_25partition_config_selectorILNS1_17partition_subalgoE9EllbEEZZNS1_14partition_implILS5_9ELb0ES3_jPKlN6thrust23THRUST_200600_302600_NS17counting_iteratorIlNSB_11use_defaultESD_SD_EEPNS0_10empty_typeENS0_5tupleIJPlSF_EEENSH_IJSI_SG_EEENS0_18inequality_wrapperIN6hipcub16HIPCUB_304000_NS8EqualityEEESI_JSF_EEE10hipError_tPvRmT3_T4_T5_T6_T7_T9_mT8_P12ihipStream_tbDpT10_ENKUlT_T0_E_clISt17integral_constantIbLb0EES18_IbLb1EEEEDaS14_S15_EUlS14_E_NS1_11comp_targetILNS1_3genE5ELNS1_11target_archE942ELNS1_3gpuE9ELNS1_3repE0EEENS1_30default_config_static_selectorELNS0_4arch9wavefront6targetE0EEEvT1_.uses_flat_scratch, 0
	.set _ZN7rocprim17ROCPRIM_400000_NS6detail17trampoline_kernelINS0_14default_configENS1_25partition_config_selectorILNS1_17partition_subalgoE9EllbEEZZNS1_14partition_implILS5_9ELb0ES3_jPKlN6thrust23THRUST_200600_302600_NS17counting_iteratorIlNSB_11use_defaultESD_SD_EEPNS0_10empty_typeENS0_5tupleIJPlSF_EEENSH_IJSI_SG_EEENS0_18inequality_wrapperIN6hipcub16HIPCUB_304000_NS8EqualityEEESI_JSF_EEE10hipError_tPvRmT3_T4_T5_T6_T7_T9_mT8_P12ihipStream_tbDpT10_ENKUlT_T0_E_clISt17integral_constantIbLb0EES18_IbLb1EEEEDaS14_S15_EUlS14_E_NS1_11comp_targetILNS1_3genE5ELNS1_11target_archE942ELNS1_3gpuE9ELNS1_3repE0EEENS1_30default_config_static_selectorELNS0_4arch9wavefront6targetE0EEEvT1_.has_dyn_sized_stack, 0
	.set _ZN7rocprim17ROCPRIM_400000_NS6detail17trampoline_kernelINS0_14default_configENS1_25partition_config_selectorILNS1_17partition_subalgoE9EllbEEZZNS1_14partition_implILS5_9ELb0ES3_jPKlN6thrust23THRUST_200600_302600_NS17counting_iteratorIlNSB_11use_defaultESD_SD_EEPNS0_10empty_typeENS0_5tupleIJPlSF_EEENSH_IJSI_SG_EEENS0_18inequality_wrapperIN6hipcub16HIPCUB_304000_NS8EqualityEEESI_JSF_EEE10hipError_tPvRmT3_T4_T5_T6_T7_T9_mT8_P12ihipStream_tbDpT10_ENKUlT_T0_E_clISt17integral_constantIbLb0EES18_IbLb1EEEEDaS14_S15_EUlS14_E_NS1_11comp_targetILNS1_3genE5ELNS1_11target_archE942ELNS1_3gpuE9ELNS1_3repE0EEENS1_30default_config_static_selectorELNS0_4arch9wavefront6targetE0EEEvT1_.has_recursion, 0
	.set _ZN7rocprim17ROCPRIM_400000_NS6detail17trampoline_kernelINS0_14default_configENS1_25partition_config_selectorILNS1_17partition_subalgoE9EllbEEZZNS1_14partition_implILS5_9ELb0ES3_jPKlN6thrust23THRUST_200600_302600_NS17counting_iteratorIlNSB_11use_defaultESD_SD_EEPNS0_10empty_typeENS0_5tupleIJPlSF_EEENSH_IJSI_SG_EEENS0_18inequality_wrapperIN6hipcub16HIPCUB_304000_NS8EqualityEEESI_JSF_EEE10hipError_tPvRmT3_T4_T5_T6_T7_T9_mT8_P12ihipStream_tbDpT10_ENKUlT_T0_E_clISt17integral_constantIbLb0EES18_IbLb1EEEEDaS14_S15_EUlS14_E_NS1_11comp_targetILNS1_3genE5ELNS1_11target_archE942ELNS1_3gpuE9ELNS1_3repE0EEENS1_30default_config_static_selectorELNS0_4arch9wavefront6targetE0EEEvT1_.has_indirect_call, 0
	.section	.AMDGPU.csdata,"",@progbits
; Kernel info:
; codeLenInByte = 0
; TotalNumSgprs: 0
; NumVgprs: 0
; ScratchSize: 0
; MemoryBound: 0
; FloatMode: 240
; IeeeMode: 1
; LDSByteSize: 0 bytes/workgroup (compile time only)
; SGPRBlocks: 0
; VGPRBlocks: 0
; NumSGPRsForWavesPerEU: 1
; NumVGPRsForWavesPerEU: 1
; NamedBarCnt: 0
; Occupancy: 16
; WaveLimiterHint : 0
; COMPUTE_PGM_RSRC2:SCRATCH_EN: 0
; COMPUTE_PGM_RSRC2:USER_SGPR: 2
; COMPUTE_PGM_RSRC2:TRAP_HANDLER: 0
; COMPUTE_PGM_RSRC2:TGID_X_EN: 1
; COMPUTE_PGM_RSRC2:TGID_Y_EN: 0
; COMPUTE_PGM_RSRC2:TGID_Z_EN: 0
; COMPUTE_PGM_RSRC2:TIDIG_COMP_CNT: 0
	.section	.text._ZN7rocprim17ROCPRIM_400000_NS6detail17trampoline_kernelINS0_14default_configENS1_25partition_config_selectorILNS1_17partition_subalgoE9EllbEEZZNS1_14partition_implILS5_9ELb0ES3_jPKlN6thrust23THRUST_200600_302600_NS17counting_iteratorIlNSB_11use_defaultESD_SD_EEPNS0_10empty_typeENS0_5tupleIJPlSF_EEENSH_IJSI_SG_EEENS0_18inequality_wrapperIN6hipcub16HIPCUB_304000_NS8EqualityEEESI_JSF_EEE10hipError_tPvRmT3_T4_T5_T6_T7_T9_mT8_P12ihipStream_tbDpT10_ENKUlT_T0_E_clISt17integral_constantIbLb0EES18_IbLb1EEEEDaS14_S15_EUlS14_E_NS1_11comp_targetILNS1_3genE4ELNS1_11target_archE910ELNS1_3gpuE8ELNS1_3repE0EEENS1_30default_config_static_selectorELNS0_4arch9wavefront6targetE0EEEvT1_,"axG",@progbits,_ZN7rocprim17ROCPRIM_400000_NS6detail17trampoline_kernelINS0_14default_configENS1_25partition_config_selectorILNS1_17partition_subalgoE9EllbEEZZNS1_14partition_implILS5_9ELb0ES3_jPKlN6thrust23THRUST_200600_302600_NS17counting_iteratorIlNSB_11use_defaultESD_SD_EEPNS0_10empty_typeENS0_5tupleIJPlSF_EEENSH_IJSI_SG_EEENS0_18inequality_wrapperIN6hipcub16HIPCUB_304000_NS8EqualityEEESI_JSF_EEE10hipError_tPvRmT3_T4_T5_T6_T7_T9_mT8_P12ihipStream_tbDpT10_ENKUlT_T0_E_clISt17integral_constantIbLb0EES18_IbLb1EEEEDaS14_S15_EUlS14_E_NS1_11comp_targetILNS1_3genE4ELNS1_11target_archE910ELNS1_3gpuE8ELNS1_3repE0EEENS1_30default_config_static_selectorELNS0_4arch9wavefront6targetE0EEEvT1_,comdat
	.protected	_ZN7rocprim17ROCPRIM_400000_NS6detail17trampoline_kernelINS0_14default_configENS1_25partition_config_selectorILNS1_17partition_subalgoE9EllbEEZZNS1_14partition_implILS5_9ELb0ES3_jPKlN6thrust23THRUST_200600_302600_NS17counting_iteratorIlNSB_11use_defaultESD_SD_EEPNS0_10empty_typeENS0_5tupleIJPlSF_EEENSH_IJSI_SG_EEENS0_18inequality_wrapperIN6hipcub16HIPCUB_304000_NS8EqualityEEESI_JSF_EEE10hipError_tPvRmT3_T4_T5_T6_T7_T9_mT8_P12ihipStream_tbDpT10_ENKUlT_T0_E_clISt17integral_constantIbLb0EES18_IbLb1EEEEDaS14_S15_EUlS14_E_NS1_11comp_targetILNS1_3genE4ELNS1_11target_archE910ELNS1_3gpuE8ELNS1_3repE0EEENS1_30default_config_static_selectorELNS0_4arch9wavefront6targetE0EEEvT1_ ; -- Begin function _ZN7rocprim17ROCPRIM_400000_NS6detail17trampoline_kernelINS0_14default_configENS1_25partition_config_selectorILNS1_17partition_subalgoE9EllbEEZZNS1_14partition_implILS5_9ELb0ES3_jPKlN6thrust23THRUST_200600_302600_NS17counting_iteratorIlNSB_11use_defaultESD_SD_EEPNS0_10empty_typeENS0_5tupleIJPlSF_EEENSH_IJSI_SG_EEENS0_18inequality_wrapperIN6hipcub16HIPCUB_304000_NS8EqualityEEESI_JSF_EEE10hipError_tPvRmT3_T4_T5_T6_T7_T9_mT8_P12ihipStream_tbDpT10_ENKUlT_T0_E_clISt17integral_constantIbLb0EES18_IbLb1EEEEDaS14_S15_EUlS14_E_NS1_11comp_targetILNS1_3genE4ELNS1_11target_archE910ELNS1_3gpuE8ELNS1_3repE0EEENS1_30default_config_static_selectorELNS0_4arch9wavefront6targetE0EEEvT1_
	.globl	_ZN7rocprim17ROCPRIM_400000_NS6detail17trampoline_kernelINS0_14default_configENS1_25partition_config_selectorILNS1_17partition_subalgoE9EllbEEZZNS1_14partition_implILS5_9ELb0ES3_jPKlN6thrust23THRUST_200600_302600_NS17counting_iteratorIlNSB_11use_defaultESD_SD_EEPNS0_10empty_typeENS0_5tupleIJPlSF_EEENSH_IJSI_SG_EEENS0_18inequality_wrapperIN6hipcub16HIPCUB_304000_NS8EqualityEEESI_JSF_EEE10hipError_tPvRmT3_T4_T5_T6_T7_T9_mT8_P12ihipStream_tbDpT10_ENKUlT_T0_E_clISt17integral_constantIbLb0EES18_IbLb1EEEEDaS14_S15_EUlS14_E_NS1_11comp_targetILNS1_3genE4ELNS1_11target_archE910ELNS1_3gpuE8ELNS1_3repE0EEENS1_30default_config_static_selectorELNS0_4arch9wavefront6targetE0EEEvT1_
	.p2align	8
	.type	_ZN7rocprim17ROCPRIM_400000_NS6detail17trampoline_kernelINS0_14default_configENS1_25partition_config_selectorILNS1_17partition_subalgoE9EllbEEZZNS1_14partition_implILS5_9ELb0ES3_jPKlN6thrust23THRUST_200600_302600_NS17counting_iteratorIlNSB_11use_defaultESD_SD_EEPNS0_10empty_typeENS0_5tupleIJPlSF_EEENSH_IJSI_SG_EEENS0_18inequality_wrapperIN6hipcub16HIPCUB_304000_NS8EqualityEEESI_JSF_EEE10hipError_tPvRmT3_T4_T5_T6_T7_T9_mT8_P12ihipStream_tbDpT10_ENKUlT_T0_E_clISt17integral_constantIbLb0EES18_IbLb1EEEEDaS14_S15_EUlS14_E_NS1_11comp_targetILNS1_3genE4ELNS1_11target_archE910ELNS1_3gpuE8ELNS1_3repE0EEENS1_30default_config_static_selectorELNS0_4arch9wavefront6targetE0EEEvT1_,@function
_ZN7rocprim17ROCPRIM_400000_NS6detail17trampoline_kernelINS0_14default_configENS1_25partition_config_selectorILNS1_17partition_subalgoE9EllbEEZZNS1_14partition_implILS5_9ELb0ES3_jPKlN6thrust23THRUST_200600_302600_NS17counting_iteratorIlNSB_11use_defaultESD_SD_EEPNS0_10empty_typeENS0_5tupleIJPlSF_EEENSH_IJSI_SG_EEENS0_18inequality_wrapperIN6hipcub16HIPCUB_304000_NS8EqualityEEESI_JSF_EEE10hipError_tPvRmT3_T4_T5_T6_T7_T9_mT8_P12ihipStream_tbDpT10_ENKUlT_T0_E_clISt17integral_constantIbLb0EES18_IbLb1EEEEDaS14_S15_EUlS14_E_NS1_11comp_targetILNS1_3genE4ELNS1_11target_archE910ELNS1_3gpuE8ELNS1_3repE0EEENS1_30default_config_static_selectorELNS0_4arch9wavefront6targetE0EEEvT1_: ; @_ZN7rocprim17ROCPRIM_400000_NS6detail17trampoline_kernelINS0_14default_configENS1_25partition_config_selectorILNS1_17partition_subalgoE9EllbEEZZNS1_14partition_implILS5_9ELb0ES3_jPKlN6thrust23THRUST_200600_302600_NS17counting_iteratorIlNSB_11use_defaultESD_SD_EEPNS0_10empty_typeENS0_5tupleIJPlSF_EEENSH_IJSI_SG_EEENS0_18inequality_wrapperIN6hipcub16HIPCUB_304000_NS8EqualityEEESI_JSF_EEE10hipError_tPvRmT3_T4_T5_T6_T7_T9_mT8_P12ihipStream_tbDpT10_ENKUlT_T0_E_clISt17integral_constantIbLb0EES18_IbLb1EEEEDaS14_S15_EUlS14_E_NS1_11comp_targetILNS1_3genE4ELNS1_11target_archE910ELNS1_3gpuE8ELNS1_3repE0EEENS1_30default_config_static_selectorELNS0_4arch9wavefront6targetE0EEEvT1_
; %bb.0:
	.section	.rodata,"a",@progbits
	.p2align	6, 0x0
	.amdhsa_kernel _ZN7rocprim17ROCPRIM_400000_NS6detail17trampoline_kernelINS0_14default_configENS1_25partition_config_selectorILNS1_17partition_subalgoE9EllbEEZZNS1_14partition_implILS5_9ELb0ES3_jPKlN6thrust23THRUST_200600_302600_NS17counting_iteratorIlNSB_11use_defaultESD_SD_EEPNS0_10empty_typeENS0_5tupleIJPlSF_EEENSH_IJSI_SG_EEENS0_18inequality_wrapperIN6hipcub16HIPCUB_304000_NS8EqualityEEESI_JSF_EEE10hipError_tPvRmT3_T4_T5_T6_T7_T9_mT8_P12ihipStream_tbDpT10_ENKUlT_T0_E_clISt17integral_constantIbLb0EES18_IbLb1EEEEDaS14_S15_EUlS14_E_NS1_11comp_targetILNS1_3genE4ELNS1_11target_archE910ELNS1_3gpuE8ELNS1_3repE0EEENS1_30default_config_static_selectorELNS0_4arch9wavefront6targetE0EEEvT1_
		.amdhsa_group_segment_fixed_size 0
		.amdhsa_private_segment_fixed_size 0
		.amdhsa_kernarg_size 128
		.amdhsa_user_sgpr_count 2
		.amdhsa_user_sgpr_dispatch_ptr 0
		.amdhsa_user_sgpr_queue_ptr 0
		.amdhsa_user_sgpr_kernarg_segment_ptr 1
		.amdhsa_user_sgpr_dispatch_id 0
		.amdhsa_user_sgpr_kernarg_preload_length 0
		.amdhsa_user_sgpr_kernarg_preload_offset 0
		.amdhsa_user_sgpr_private_segment_size 0
		.amdhsa_wavefront_size32 1
		.amdhsa_uses_dynamic_stack 0
		.amdhsa_enable_private_segment 0
		.amdhsa_system_sgpr_workgroup_id_x 1
		.amdhsa_system_sgpr_workgroup_id_y 0
		.amdhsa_system_sgpr_workgroup_id_z 0
		.amdhsa_system_sgpr_workgroup_info 0
		.amdhsa_system_vgpr_workitem_id 0
		.amdhsa_next_free_vgpr 1
		.amdhsa_next_free_sgpr 1
		.amdhsa_named_barrier_count 0
		.amdhsa_reserve_vcc 0
		.amdhsa_float_round_mode_32 0
		.amdhsa_float_round_mode_16_64 0
		.amdhsa_float_denorm_mode_32 3
		.amdhsa_float_denorm_mode_16_64 3
		.amdhsa_fp16_overflow 0
		.amdhsa_memory_ordered 1
		.amdhsa_forward_progress 1
		.amdhsa_inst_pref_size 0
		.amdhsa_round_robin_scheduling 0
		.amdhsa_exception_fp_ieee_invalid_op 0
		.amdhsa_exception_fp_denorm_src 0
		.amdhsa_exception_fp_ieee_div_zero 0
		.amdhsa_exception_fp_ieee_overflow 0
		.amdhsa_exception_fp_ieee_underflow 0
		.amdhsa_exception_fp_ieee_inexact 0
		.amdhsa_exception_int_div_zero 0
	.end_amdhsa_kernel
	.section	.text._ZN7rocprim17ROCPRIM_400000_NS6detail17trampoline_kernelINS0_14default_configENS1_25partition_config_selectorILNS1_17partition_subalgoE9EllbEEZZNS1_14partition_implILS5_9ELb0ES3_jPKlN6thrust23THRUST_200600_302600_NS17counting_iteratorIlNSB_11use_defaultESD_SD_EEPNS0_10empty_typeENS0_5tupleIJPlSF_EEENSH_IJSI_SG_EEENS0_18inequality_wrapperIN6hipcub16HIPCUB_304000_NS8EqualityEEESI_JSF_EEE10hipError_tPvRmT3_T4_T5_T6_T7_T9_mT8_P12ihipStream_tbDpT10_ENKUlT_T0_E_clISt17integral_constantIbLb0EES18_IbLb1EEEEDaS14_S15_EUlS14_E_NS1_11comp_targetILNS1_3genE4ELNS1_11target_archE910ELNS1_3gpuE8ELNS1_3repE0EEENS1_30default_config_static_selectorELNS0_4arch9wavefront6targetE0EEEvT1_,"axG",@progbits,_ZN7rocprim17ROCPRIM_400000_NS6detail17trampoline_kernelINS0_14default_configENS1_25partition_config_selectorILNS1_17partition_subalgoE9EllbEEZZNS1_14partition_implILS5_9ELb0ES3_jPKlN6thrust23THRUST_200600_302600_NS17counting_iteratorIlNSB_11use_defaultESD_SD_EEPNS0_10empty_typeENS0_5tupleIJPlSF_EEENSH_IJSI_SG_EEENS0_18inequality_wrapperIN6hipcub16HIPCUB_304000_NS8EqualityEEESI_JSF_EEE10hipError_tPvRmT3_T4_T5_T6_T7_T9_mT8_P12ihipStream_tbDpT10_ENKUlT_T0_E_clISt17integral_constantIbLb0EES18_IbLb1EEEEDaS14_S15_EUlS14_E_NS1_11comp_targetILNS1_3genE4ELNS1_11target_archE910ELNS1_3gpuE8ELNS1_3repE0EEENS1_30default_config_static_selectorELNS0_4arch9wavefront6targetE0EEEvT1_,comdat
.Lfunc_end70:
	.size	_ZN7rocprim17ROCPRIM_400000_NS6detail17trampoline_kernelINS0_14default_configENS1_25partition_config_selectorILNS1_17partition_subalgoE9EllbEEZZNS1_14partition_implILS5_9ELb0ES3_jPKlN6thrust23THRUST_200600_302600_NS17counting_iteratorIlNSB_11use_defaultESD_SD_EEPNS0_10empty_typeENS0_5tupleIJPlSF_EEENSH_IJSI_SG_EEENS0_18inequality_wrapperIN6hipcub16HIPCUB_304000_NS8EqualityEEESI_JSF_EEE10hipError_tPvRmT3_T4_T5_T6_T7_T9_mT8_P12ihipStream_tbDpT10_ENKUlT_T0_E_clISt17integral_constantIbLb0EES18_IbLb1EEEEDaS14_S15_EUlS14_E_NS1_11comp_targetILNS1_3genE4ELNS1_11target_archE910ELNS1_3gpuE8ELNS1_3repE0EEENS1_30default_config_static_selectorELNS0_4arch9wavefront6targetE0EEEvT1_, .Lfunc_end70-_ZN7rocprim17ROCPRIM_400000_NS6detail17trampoline_kernelINS0_14default_configENS1_25partition_config_selectorILNS1_17partition_subalgoE9EllbEEZZNS1_14partition_implILS5_9ELb0ES3_jPKlN6thrust23THRUST_200600_302600_NS17counting_iteratorIlNSB_11use_defaultESD_SD_EEPNS0_10empty_typeENS0_5tupleIJPlSF_EEENSH_IJSI_SG_EEENS0_18inequality_wrapperIN6hipcub16HIPCUB_304000_NS8EqualityEEESI_JSF_EEE10hipError_tPvRmT3_T4_T5_T6_T7_T9_mT8_P12ihipStream_tbDpT10_ENKUlT_T0_E_clISt17integral_constantIbLb0EES18_IbLb1EEEEDaS14_S15_EUlS14_E_NS1_11comp_targetILNS1_3genE4ELNS1_11target_archE910ELNS1_3gpuE8ELNS1_3repE0EEENS1_30default_config_static_selectorELNS0_4arch9wavefront6targetE0EEEvT1_
                                        ; -- End function
	.set _ZN7rocprim17ROCPRIM_400000_NS6detail17trampoline_kernelINS0_14default_configENS1_25partition_config_selectorILNS1_17partition_subalgoE9EllbEEZZNS1_14partition_implILS5_9ELb0ES3_jPKlN6thrust23THRUST_200600_302600_NS17counting_iteratorIlNSB_11use_defaultESD_SD_EEPNS0_10empty_typeENS0_5tupleIJPlSF_EEENSH_IJSI_SG_EEENS0_18inequality_wrapperIN6hipcub16HIPCUB_304000_NS8EqualityEEESI_JSF_EEE10hipError_tPvRmT3_T4_T5_T6_T7_T9_mT8_P12ihipStream_tbDpT10_ENKUlT_T0_E_clISt17integral_constantIbLb0EES18_IbLb1EEEEDaS14_S15_EUlS14_E_NS1_11comp_targetILNS1_3genE4ELNS1_11target_archE910ELNS1_3gpuE8ELNS1_3repE0EEENS1_30default_config_static_selectorELNS0_4arch9wavefront6targetE0EEEvT1_.num_vgpr, 0
	.set _ZN7rocprim17ROCPRIM_400000_NS6detail17trampoline_kernelINS0_14default_configENS1_25partition_config_selectorILNS1_17partition_subalgoE9EllbEEZZNS1_14partition_implILS5_9ELb0ES3_jPKlN6thrust23THRUST_200600_302600_NS17counting_iteratorIlNSB_11use_defaultESD_SD_EEPNS0_10empty_typeENS0_5tupleIJPlSF_EEENSH_IJSI_SG_EEENS0_18inequality_wrapperIN6hipcub16HIPCUB_304000_NS8EqualityEEESI_JSF_EEE10hipError_tPvRmT3_T4_T5_T6_T7_T9_mT8_P12ihipStream_tbDpT10_ENKUlT_T0_E_clISt17integral_constantIbLb0EES18_IbLb1EEEEDaS14_S15_EUlS14_E_NS1_11comp_targetILNS1_3genE4ELNS1_11target_archE910ELNS1_3gpuE8ELNS1_3repE0EEENS1_30default_config_static_selectorELNS0_4arch9wavefront6targetE0EEEvT1_.num_agpr, 0
	.set _ZN7rocprim17ROCPRIM_400000_NS6detail17trampoline_kernelINS0_14default_configENS1_25partition_config_selectorILNS1_17partition_subalgoE9EllbEEZZNS1_14partition_implILS5_9ELb0ES3_jPKlN6thrust23THRUST_200600_302600_NS17counting_iteratorIlNSB_11use_defaultESD_SD_EEPNS0_10empty_typeENS0_5tupleIJPlSF_EEENSH_IJSI_SG_EEENS0_18inequality_wrapperIN6hipcub16HIPCUB_304000_NS8EqualityEEESI_JSF_EEE10hipError_tPvRmT3_T4_T5_T6_T7_T9_mT8_P12ihipStream_tbDpT10_ENKUlT_T0_E_clISt17integral_constantIbLb0EES18_IbLb1EEEEDaS14_S15_EUlS14_E_NS1_11comp_targetILNS1_3genE4ELNS1_11target_archE910ELNS1_3gpuE8ELNS1_3repE0EEENS1_30default_config_static_selectorELNS0_4arch9wavefront6targetE0EEEvT1_.numbered_sgpr, 0
	.set _ZN7rocprim17ROCPRIM_400000_NS6detail17trampoline_kernelINS0_14default_configENS1_25partition_config_selectorILNS1_17partition_subalgoE9EllbEEZZNS1_14partition_implILS5_9ELb0ES3_jPKlN6thrust23THRUST_200600_302600_NS17counting_iteratorIlNSB_11use_defaultESD_SD_EEPNS0_10empty_typeENS0_5tupleIJPlSF_EEENSH_IJSI_SG_EEENS0_18inequality_wrapperIN6hipcub16HIPCUB_304000_NS8EqualityEEESI_JSF_EEE10hipError_tPvRmT3_T4_T5_T6_T7_T9_mT8_P12ihipStream_tbDpT10_ENKUlT_T0_E_clISt17integral_constantIbLb0EES18_IbLb1EEEEDaS14_S15_EUlS14_E_NS1_11comp_targetILNS1_3genE4ELNS1_11target_archE910ELNS1_3gpuE8ELNS1_3repE0EEENS1_30default_config_static_selectorELNS0_4arch9wavefront6targetE0EEEvT1_.num_named_barrier, 0
	.set _ZN7rocprim17ROCPRIM_400000_NS6detail17trampoline_kernelINS0_14default_configENS1_25partition_config_selectorILNS1_17partition_subalgoE9EllbEEZZNS1_14partition_implILS5_9ELb0ES3_jPKlN6thrust23THRUST_200600_302600_NS17counting_iteratorIlNSB_11use_defaultESD_SD_EEPNS0_10empty_typeENS0_5tupleIJPlSF_EEENSH_IJSI_SG_EEENS0_18inequality_wrapperIN6hipcub16HIPCUB_304000_NS8EqualityEEESI_JSF_EEE10hipError_tPvRmT3_T4_T5_T6_T7_T9_mT8_P12ihipStream_tbDpT10_ENKUlT_T0_E_clISt17integral_constantIbLb0EES18_IbLb1EEEEDaS14_S15_EUlS14_E_NS1_11comp_targetILNS1_3genE4ELNS1_11target_archE910ELNS1_3gpuE8ELNS1_3repE0EEENS1_30default_config_static_selectorELNS0_4arch9wavefront6targetE0EEEvT1_.private_seg_size, 0
	.set _ZN7rocprim17ROCPRIM_400000_NS6detail17trampoline_kernelINS0_14default_configENS1_25partition_config_selectorILNS1_17partition_subalgoE9EllbEEZZNS1_14partition_implILS5_9ELb0ES3_jPKlN6thrust23THRUST_200600_302600_NS17counting_iteratorIlNSB_11use_defaultESD_SD_EEPNS0_10empty_typeENS0_5tupleIJPlSF_EEENSH_IJSI_SG_EEENS0_18inequality_wrapperIN6hipcub16HIPCUB_304000_NS8EqualityEEESI_JSF_EEE10hipError_tPvRmT3_T4_T5_T6_T7_T9_mT8_P12ihipStream_tbDpT10_ENKUlT_T0_E_clISt17integral_constantIbLb0EES18_IbLb1EEEEDaS14_S15_EUlS14_E_NS1_11comp_targetILNS1_3genE4ELNS1_11target_archE910ELNS1_3gpuE8ELNS1_3repE0EEENS1_30default_config_static_selectorELNS0_4arch9wavefront6targetE0EEEvT1_.uses_vcc, 0
	.set _ZN7rocprim17ROCPRIM_400000_NS6detail17trampoline_kernelINS0_14default_configENS1_25partition_config_selectorILNS1_17partition_subalgoE9EllbEEZZNS1_14partition_implILS5_9ELb0ES3_jPKlN6thrust23THRUST_200600_302600_NS17counting_iteratorIlNSB_11use_defaultESD_SD_EEPNS0_10empty_typeENS0_5tupleIJPlSF_EEENSH_IJSI_SG_EEENS0_18inequality_wrapperIN6hipcub16HIPCUB_304000_NS8EqualityEEESI_JSF_EEE10hipError_tPvRmT3_T4_T5_T6_T7_T9_mT8_P12ihipStream_tbDpT10_ENKUlT_T0_E_clISt17integral_constantIbLb0EES18_IbLb1EEEEDaS14_S15_EUlS14_E_NS1_11comp_targetILNS1_3genE4ELNS1_11target_archE910ELNS1_3gpuE8ELNS1_3repE0EEENS1_30default_config_static_selectorELNS0_4arch9wavefront6targetE0EEEvT1_.uses_flat_scratch, 0
	.set _ZN7rocprim17ROCPRIM_400000_NS6detail17trampoline_kernelINS0_14default_configENS1_25partition_config_selectorILNS1_17partition_subalgoE9EllbEEZZNS1_14partition_implILS5_9ELb0ES3_jPKlN6thrust23THRUST_200600_302600_NS17counting_iteratorIlNSB_11use_defaultESD_SD_EEPNS0_10empty_typeENS0_5tupleIJPlSF_EEENSH_IJSI_SG_EEENS0_18inequality_wrapperIN6hipcub16HIPCUB_304000_NS8EqualityEEESI_JSF_EEE10hipError_tPvRmT3_T4_T5_T6_T7_T9_mT8_P12ihipStream_tbDpT10_ENKUlT_T0_E_clISt17integral_constantIbLb0EES18_IbLb1EEEEDaS14_S15_EUlS14_E_NS1_11comp_targetILNS1_3genE4ELNS1_11target_archE910ELNS1_3gpuE8ELNS1_3repE0EEENS1_30default_config_static_selectorELNS0_4arch9wavefront6targetE0EEEvT1_.has_dyn_sized_stack, 0
	.set _ZN7rocprim17ROCPRIM_400000_NS6detail17trampoline_kernelINS0_14default_configENS1_25partition_config_selectorILNS1_17partition_subalgoE9EllbEEZZNS1_14partition_implILS5_9ELb0ES3_jPKlN6thrust23THRUST_200600_302600_NS17counting_iteratorIlNSB_11use_defaultESD_SD_EEPNS0_10empty_typeENS0_5tupleIJPlSF_EEENSH_IJSI_SG_EEENS0_18inequality_wrapperIN6hipcub16HIPCUB_304000_NS8EqualityEEESI_JSF_EEE10hipError_tPvRmT3_T4_T5_T6_T7_T9_mT8_P12ihipStream_tbDpT10_ENKUlT_T0_E_clISt17integral_constantIbLb0EES18_IbLb1EEEEDaS14_S15_EUlS14_E_NS1_11comp_targetILNS1_3genE4ELNS1_11target_archE910ELNS1_3gpuE8ELNS1_3repE0EEENS1_30default_config_static_selectorELNS0_4arch9wavefront6targetE0EEEvT1_.has_recursion, 0
	.set _ZN7rocprim17ROCPRIM_400000_NS6detail17trampoline_kernelINS0_14default_configENS1_25partition_config_selectorILNS1_17partition_subalgoE9EllbEEZZNS1_14partition_implILS5_9ELb0ES3_jPKlN6thrust23THRUST_200600_302600_NS17counting_iteratorIlNSB_11use_defaultESD_SD_EEPNS0_10empty_typeENS0_5tupleIJPlSF_EEENSH_IJSI_SG_EEENS0_18inequality_wrapperIN6hipcub16HIPCUB_304000_NS8EqualityEEESI_JSF_EEE10hipError_tPvRmT3_T4_T5_T6_T7_T9_mT8_P12ihipStream_tbDpT10_ENKUlT_T0_E_clISt17integral_constantIbLb0EES18_IbLb1EEEEDaS14_S15_EUlS14_E_NS1_11comp_targetILNS1_3genE4ELNS1_11target_archE910ELNS1_3gpuE8ELNS1_3repE0EEENS1_30default_config_static_selectorELNS0_4arch9wavefront6targetE0EEEvT1_.has_indirect_call, 0
	.section	.AMDGPU.csdata,"",@progbits
; Kernel info:
; codeLenInByte = 0
; TotalNumSgprs: 0
; NumVgprs: 0
; ScratchSize: 0
; MemoryBound: 0
; FloatMode: 240
; IeeeMode: 1
; LDSByteSize: 0 bytes/workgroup (compile time only)
; SGPRBlocks: 0
; VGPRBlocks: 0
; NumSGPRsForWavesPerEU: 1
; NumVGPRsForWavesPerEU: 1
; NamedBarCnt: 0
; Occupancy: 16
; WaveLimiterHint : 0
; COMPUTE_PGM_RSRC2:SCRATCH_EN: 0
; COMPUTE_PGM_RSRC2:USER_SGPR: 2
; COMPUTE_PGM_RSRC2:TRAP_HANDLER: 0
; COMPUTE_PGM_RSRC2:TGID_X_EN: 1
; COMPUTE_PGM_RSRC2:TGID_Y_EN: 0
; COMPUTE_PGM_RSRC2:TGID_Z_EN: 0
; COMPUTE_PGM_RSRC2:TIDIG_COMP_CNT: 0
	.section	.text._ZN7rocprim17ROCPRIM_400000_NS6detail17trampoline_kernelINS0_14default_configENS1_25partition_config_selectorILNS1_17partition_subalgoE9EllbEEZZNS1_14partition_implILS5_9ELb0ES3_jPKlN6thrust23THRUST_200600_302600_NS17counting_iteratorIlNSB_11use_defaultESD_SD_EEPNS0_10empty_typeENS0_5tupleIJPlSF_EEENSH_IJSI_SG_EEENS0_18inequality_wrapperIN6hipcub16HIPCUB_304000_NS8EqualityEEESI_JSF_EEE10hipError_tPvRmT3_T4_T5_T6_T7_T9_mT8_P12ihipStream_tbDpT10_ENKUlT_T0_E_clISt17integral_constantIbLb0EES18_IbLb1EEEEDaS14_S15_EUlS14_E_NS1_11comp_targetILNS1_3genE3ELNS1_11target_archE908ELNS1_3gpuE7ELNS1_3repE0EEENS1_30default_config_static_selectorELNS0_4arch9wavefront6targetE0EEEvT1_,"axG",@progbits,_ZN7rocprim17ROCPRIM_400000_NS6detail17trampoline_kernelINS0_14default_configENS1_25partition_config_selectorILNS1_17partition_subalgoE9EllbEEZZNS1_14partition_implILS5_9ELb0ES3_jPKlN6thrust23THRUST_200600_302600_NS17counting_iteratorIlNSB_11use_defaultESD_SD_EEPNS0_10empty_typeENS0_5tupleIJPlSF_EEENSH_IJSI_SG_EEENS0_18inequality_wrapperIN6hipcub16HIPCUB_304000_NS8EqualityEEESI_JSF_EEE10hipError_tPvRmT3_T4_T5_T6_T7_T9_mT8_P12ihipStream_tbDpT10_ENKUlT_T0_E_clISt17integral_constantIbLb0EES18_IbLb1EEEEDaS14_S15_EUlS14_E_NS1_11comp_targetILNS1_3genE3ELNS1_11target_archE908ELNS1_3gpuE7ELNS1_3repE0EEENS1_30default_config_static_selectorELNS0_4arch9wavefront6targetE0EEEvT1_,comdat
	.protected	_ZN7rocprim17ROCPRIM_400000_NS6detail17trampoline_kernelINS0_14default_configENS1_25partition_config_selectorILNS1_17partition_subalgoE9EllbEEZZNS1_14partition_implILS5_9ELb0ES3_jPKlN6thrust23THRUST_200600_302600_NS17counting_iteratorIlNSB_11use_defaultESD_SD_EEPNS0_10empty_typeENS0_5tupleIJPlSF_EEENSH_IJSI_SG_EEENS0_18inequality_wrapperIN6hipcub16HIPCUB_304000_NS8EqualityEEESI_JSF_EEE10hipError_tPvRmT3_T4_T5_T6_T7_T9_mT8_P12ihipStream_tbDpT10_ENKUlT_T0_E_clISt17integral_constantIbLb0EES18_IbLb1EEEEDaS14_S15_EUlS14_E_NS1_11comp_targetILNS1_3genE3ELNS1_11target_archE908ELNS1_3gpuE7ELNS1_3repE0EEENS1_30default_config_static_selectorELNS0_4arch9wavefront6targetE0EEEvT1_ ; -- Begin function _ZN7rocprim17ROCPRIM_400000_NS6detail17trampoline_kernelINS0_14default_configENS1_25partition_config_selectorILNS1_17partition_subalgoE9EllbEEZZNS1_14partition_implILS5_9ELb0ES3_jPKlN6thrust23THRUST_200600_302600_NS17counting_iteratorIlNSB_11use_defaultESD_SD_EEPNS0_10empty_typeENS0_5tupleIJPlSF_EEENSH_IJSI_SG_EEENS0_18inequality_wrapperIN6hipcub16HIPCUB_304000_NS8EqualityEEESI_JSF_EEE10hipError_tPvRmT3_T4_T5_T6_T7_T9_mT8_P12ihipStream_tbDpT10_ENKUlT_T0_E_clISt17integral_constantIbLb0EES18_IbLb1EEEEDaS14_S15_EUlS14_E_NS1_11comp_targetILNS1_3genE3ELNS1_11target_archE908ELNS1_3gpuE7ELNS1_3repE0EEENS1_30default_config_static_selectorELNS0_4arch9wavefront6targetE0EEEvT1_
	.globl	_ZN7rocprim17ROCPRIM_400000_NS6detail17trampoline_kernelINS0_14default_configENS1_25partition_config_selectorILNS1_17partition_subalgoE9EllbEEZZNS1_14partition_implILS5_9ELb0ES3_jPKlN6thrust23THRUST_200600_302600_NS17counting_iteratorIlNSB_11use_defaultESD_SD_EEPNS0_10empty_typeENS0_5tupleIJPlSF_EEENSH_IJSI_SG_EEENS0_18inequality_wrapperIN6hipcub16HIPCUB_304000_NS8EqualityEEESI_JSF_EEE10hipError_tPvRmT3_T4_T5_T6_T7_T9_mT8_P12ihipStream_tbDpT10_ENKUlT_T0_E_clISt17integral_constantIbLb0EES18_IbLb1EEEEDaS14_S15_EUlS14_E_NS1_11comp_targetILNS1_3genE3ELNS1_11target_archE908ELNS1_3gpuE7ELNS1_3repE0EEENS1_30default_config_static_selectorELNS0_4arch9wavefront6targetE0EEEvT1_
	.p2align	8
	.type	_ZN7rocprim17ROCPRIM_400000_NS6detail17trampoline_kernelINS0_14default_configENS1_25partition_config_selectorILNS1_17partition_subalgoE9EllbEEZZNS1_14partition_implILS5_9ELb0ES3_jPKlN6thrust23THRUST_200600_302600_NS17counting_iteratorIlNSB_11use_defaultESD_SD_EEPNS0_10empty_typeENS0_5tupleIJPlSF_EEENSH_IJSI_SG_EEENS0_18inequality_wrapperIN6hipcub16HIPCUB_304000_NS8EqualityEEESI_JSF_EEE10hipError_tPvRmT3_T4_T5_T6_T7_T9_mT8_P12ihipStream_tbDpT10_ENKUlT_T0_E_clISt17integral_constantIbLb0EES18_IbLb1EEEEDaS14_S15_EUlS14_E_NS1_11comp_targetILNS1_3genE3ELNS1_11target_archE908ELNS1_3gpuE7ELNS1_3repE0EEENS1_30default_config_static_selectorELNS0_4arch9wavefront6targetE0EEEvT1_,@function
_ZN7rocprim17ROCPRIM_400000_NS6detail17trampoline_kernelINS0_14default_configENS1_25partition_config_selectorILNS1_17partition_subalgoE9EllbEEZZNS1_14partition_implILS5_9ELb0ES3_jPKlN6thrust23THRUST_200600_302600_NS17counting_iteratorIlNSB_11use_defaultESD_SD_EEPNS0_10empty_typeENS0_5tupleIJPlSF_EEENSH_IJSI_SG_EEENS0_18inequality_wrapperIN6hipcub16HIPCUB_304000_NS8EqualityEEESI_JSF_EEE10hipError_tPvRmT3_T4_T5_T6_T7_T9_mT8_P12ihipStream_tbDpT10_ENKUlT_T0_E_clISt17integral_constantIbLb0EES18_IbLb1EEEEDaS14_S15_EUlS14_E_NS1_11comp_targetILNS1_3genE3ELNS1_11target_archE908ELNS1_3gpuE7ELNS1_3repE0EEENS1_30default_config_static_selectorELNS0_4arch9wavefront6targetE0EEEvT1_: ; @_ZN7rocprim17ROCPRIM_400000_NS6detail17trampoline_kernelINS0_14default_configENS1_25partition_config_selectorILNS1_17partition_subalgoE9EllbEEZZNS1_14partition_implILS5_9ELb0ES3_jPKlN6thrust23THRUST_200600_302600_NS17counting_iteratorIlNSB_11use_defaultESD_SD_EEPNS0_10empty_typeENS0_5tupleIJPlSF_EEENSH_IJSI_SG_EEENS0_18inequality_wrapperIN6hipcub16HIPCUB_304000_NS8EqualityEEESI_JSF_EEE10hipError_tPvRmT3_T4_T5_T6_T7_T9_mT8_P12ihipStream_tbDpT10_ENKUlT_T0_E_clISt17integral_constantIbLb0EES18_IbLb1EEEEDaS14_S15_EUlS14_E_NS1_11comp_targetILNS1_3genE3ELNS1_11target_archE908ELNS1_3gpuE7ELNS1_3repE0EEENS1_30default_config_static_selectorELNS0_4arch9wavefront6targetE0EEEvT1_
; %bb.0:
	.section	.rodata,"a",@progbits
	.p2align	6, 0x0
	.amdhsa_kernel _ZN7rocprim17ROCPRIM_400000_NS6detail17trampoline_kernelINS0_14default_configENS1_25partition_config_selectorILNS1_17partition_subalgoE9EllbEEZZNS1_14partition_implILS5_9ELb0ES3_jPKlN6thrust23THRUST_200600_302600_NS17counting_iteratorIlNSB_11use_defaultESD_SD_EEPNS0_10empty_typeENS0_5tupleIJPlSF_EEENSH_IJSI_SG_EEENS0_18inequality_wrapperIN6hipcub16HIPCUB_304000_NS8EqualityEEESI_JSF_EEE10hipError_tPvRmT3_T4_T5_T6_T7_T9_mT8_P12ihipStream_tbDpT10_ENKUlT_T0_E_clISt17integral_constantIbLb0EES18_IbLb1EEEEDaS14_S15_EUlS14_E_NS1_11comp_targetILNS1_3genE3ELNS1_11target_archE908ELNS1_3gpuE7ELNS1_3repE0EEENS1_30default_config_static_selectorELNS0_4arch9wavefront6targetE0EEEvT1_
		.amdhsa_group_segment_fixed_size 0
		.amdhsa_private_segment_fixed_size 0
		.amdhsa_kernarg_size 128
		.amdhsa_user_sgpr_count 2
		.amdhsa_user_sgpr_dispatch_ptr 0
		.amdhsa_user_sgpr_queue_ptr 0
		.amdhsa_user_sgpr_kernarg_segment_ptr 1
		.amdhsa_user_sgpr_dispatch_id 0
		.amdhsa_user_sgpr_kernarg_preload_length 0
		.amdhsa_user_sgpr_kernarg_preload_offset 0
		.amdhsa_user_sgpr_private_segment_size 0
		.amdhsa_wavefront_size32 1
		.amdhsa_uses_dynamic_stack 0
		.amdhsa_enable_private_segment 0
		.amdhsa_system_sgpr_workgroup_id_x 1
		.amdhsa_system_sgpr_workgroup_id_y 0
		.amdhsa_system_sgpr_workgroup_id_z 0
		.amdhsa_system_sgpr_workgroup_info 0
		.amdhsa_system_vgpr_workitem_id 0
		.amdhsa_next_free_vgpr 1
		.amdhsa_next_free_sgpr 1
		.amdhsa_named_barrier_count 0
		.amdhsa_reserve_vcc 0
		.amdhsa_float_round_mode_32 0
		.amdhsa_float_round_mode_16_64 0
		.amdhsa_float_denorm_mode_32 3
		.amdhsa_float_denorm_mode_16_64 3
		.amdhsa_fp16_overflow 0
		.amdhsa_memory_ordered 1
		.amdhsa_forward_progress 1
		.amdhsa_inst_pref_size 0
		.amdhsa_round_robin_scheduling 0
		.amdhsa_exception_fp_ieee_invalid_op 0
		.amdhsa_exception_fp_denorm_src 0
		.amdhsa_exception_fp_ieee_div_zero 0
		.amdhsa_exception_fp_ieee_overflow 0
		.amdhsa_exception_fp_ieee_underflow 0
		.amdhsa_exception_fp_ieee_inexact 0
		.amdhsa_exception_int_div_zero 0
	.end_amdhsa_kernel
	.section	.text._ZN7rocprim17ROCPRIM_400000_NS6detail17trampoline_kernelINS0_14default_configENS1_25partition_config_selectorILNS1_17partition_subalgoE9EllbEEZZNS1_14partition_implILS5_9ELb0ES3_jPKlN6thrust23THRUST_200600_302600_NS17counting_iteratorIlNSB_11use_defaultESD_SD_EEPNS0_10empty_typeENS0_5tupleIJPlSF_EEENSH_IJSI_SG_EEENS0_18inequality_wrapperIN6hipcub16HIPCUB_304000_NS8EqualityEEESI_JSF_EEE10hipError_tPvRmT3_T4_T5_T6_T7_T9_mT8_P12ihipStream_tbDpT10_ENKUlT_T0_E_clISt17integral_constantIbLb0EES18_IbLb1EEEEDaS14_S15_EUlS14_E_NS1_11comp_targetILNS1_3genE3ELNS1_11target_archE908ELNS1_3gpuE7ELNS1_3repE0EEENS1_30default_config_static_selectorELNS0_4arch9wavefront6targetE0EEEvT1_,"axG",@progbits,_ZN7rocprim17ROCPRIM_400000_NS6detail17trampoline_kernelINS0_14default_configENS1_25partition_config_selectorILNS1_17partition_subalgoE9EllbEEZZNS1_14partition_implILS5_9ELb0ES3_jPKlN6thrust23THRUST_200600_302600_NS17counting_iteratorIlNSB_11use_defaultESD_SD_EEPNS0_10empty_typeENS0_5tupleIJPlSF_EEENSH_IJSI_SG_EEENS0_18inequality_wrapperIN6hipcub16HIPCUB_304000_NS8EqualityEEESI_JSF_EEE10hipError_tPvRmT3_T4_T5_T6_T7_T9_mT8_P12ihipStream_tbDpT10_ENKUlT_T0_E_clISt17integral_constantIbLb0EES18_IbLb1EEEEDaS14_S15_EUlS14_E_NS1_11comp_targetILNS1_3genE3ELNS1_11target_archE908ELNS1_3gpuE7ELNS1_3repE0EEENS1_30default_config_static_selectorELNS0_4arch9wavefront6targetE0EEEvT1_,comdat
.Lfunc_end71:
	.size	_ZN7rocprim17ROCPRIM_400000_NS6detail17trampoline_kernelINS0_14default_configENS1_25partition_config_selectorILNS1_17partition_subalgoE9EllbEEZZNS1_14partition_implILS5_9ELb0ES3_jPKlN6thrust23THRUST_200600_302600_NS17counting_iteratorIlNSB_11use_defaultESD_SD_EEPNS0_10empty_typeENS0_5tupleIJPlSF_EEENSH_IJSI_SG_EEENS0_18inequality_wrapperIN6hipcub16HIPCUB_304000_NS8EqualityEEESI_JSF_EEE10hipError_tPvRmT3_T4_T5_T6_T7_T9_mT8_P12ihipStream_tbDpT10_ENKUlT_T0_E_clISt17integral_constantIbLb0EES18_IbLb1EEEEDaS14_S15_EUlS14_E_NS1_11comp_targetILNS1_3genE3ELNS1_11target_archE908ELNS1_3gpuE7ELNS1_3repE0EEENS1_30default_config_static_selectorELNS0_4arch9wavefront6targetE0EEEvT1_, .Lfunc_end71-_ZN7rocprim17ROCPRIM_400000_NS6detail17trampoline_kernelINS0_14default_configENS1_25partition_config_selectorILNS1_17partition_subalgoE9EllbEEZZNS1_14partition_implILS5_9ELb0ES3_jPKlN6thrust23THRUST_200600_302600_NS17counting_iteratorIlNSB_11use_defaultESD_SD_EEPNS0_10empty_typeENS0_5tupleIJPlSF_EEENSH_IJSI_SG_EEENS0_18inequality_wrapperIN6hipcub16HIPCUB_304000_NS8EqualityEEESI_JSF_EEE10hipError_tPvRmT3_T4_T5_T6_T7_T9_mT8_P12ihipStream_tbDpT10_ENKUlT_T0_E_clISt17integral_constantIbLb0EES18_IbLb1EEEEDaS14_S15_EUlS14_E_NS1_11comp_targetILNS1_3genE3ELNS1_11target_archE908ELNS1_3gpuE7ELNS1_3repE0EEENS1_30default_config_static_selectorELNS0_4arch9wavefront6targetE0EEEvT1_
                                        ; -- End function
	.set _ZN7rocprim17ROCPRIM_400000_NS6detail17trampoline_kernelINS0_14default_configENS1_25partition_config_selectorILNS1_17partition_subalgoE9EllbEEZZNS1_14partition_implILS5_9ELb0ES3_jPKlN6thrust23THRUST_200600_302600_NS17counting_iteratorIlNSB_11use_defaultESD_SD_EEPNS0_10empty_typeENS0_5tupleIJPlSF_EEENSH_IJSI_SG_EEENS0_18inequality_wrapperIN6hipcub16HIPCUB_304000_NS8EqualityEEESI_JSF_EEE10hipError_tPvRmT3_T4_T5_T6_T7_T9_mT8_P12ihipStream_tbDpT10_ENKUlT_T0_E_clISt17integral_constantIbLb0EES18_IbLb1EEEEDaS14_S15_EUlS14_E_NS1_11comp_targetILNS1_3genE3ELNS1_11target_archE908ELNS1_3gpuE7ELNS1_3repE0EEENS1_30default_config_static_selectorELNS0_4arch9wavefront6targetE0EEEvT1_.num_vgpr, 0
	.set _ZN7rocprim17ROCPRIM_400000_NS6detail17trampoline_kernelINS0_14default_configENS1_25partition_config_selectorILNS1_17partition_subalgoE9EllbEEZZNS1_14partition_implILS5_9ELb0ES3_jPKlN6thrust23THRUST_200600_302600_NS17counting_iteratorIlNSB_11use_defaultESD_SD_EEPNS0_10empty_typeENS0_5tupleIJPlSF_EEENSH_IJSI_SG_EEENS0_18inequality_wrapperIN6hipcub16HIPCUB_304000_NS8EqualityEEESI_JSF_EEE10hipError_tPvRmT3_T4_T5_T6_T7_T9_mT8_P12ihipStream_tbDpT10_ENKUlT_T0_E_clISt17integral_constantIbLb0EES18_IbLb1EEEEDaS14_S15_EUlS14_E_NS1_11comp_targetILNS1_3genE3ELNS1_11target_archE908ELNS1_3gpuE7ELNS1_3repE0EEENS1_30default_config_static_selectorELNS0_4arch9wavefront6targetE0EEEvT1_.num_agpr, 0
	.set _ZN7rocprim17ROCPRIM_400000_NS6detail17trampoline_kernelINS0_14default_configENS1_25partition_config_selectorILNS1_17partition_subalgoE9EllbEEZZNS1_14partition_implILS5_9ELb0ES3_jPKlN6thrust23THRUST_200600_302600_NS17counting_iteratorIlNSB_11use_defaultESD_SD_EEPNS0_10empty_typeENS0_5tupleIJPlSF_EEENSH_IJSI_SG_EEENS0_18inequality_wrapperIN6hipcub16HIPCUB_304000_NS8EqualityEEESI_JSF_EEE10hipError_tPvRmT3_T4_T5_T6_T7_T9_mT8_P12ihipStream_tbDpT10_ENKUlT_T0_E_clISt17integral_constantIbLb0EES18_IbLb1EEEEDaS14_S15_EUlS14_E_NS1_11comp_targetILNS1_3genE3ELNS1_11target_archE908ELNS1_3gpuE7ELNS1_3repE0EEENS1_30default_config_static_selectorELNS0_4arch9wavefront6targetE0EEEvT1_.numbered_sgpr, 0
	.set _ZN7rocprim17ROCPRIM_400000_NS6detail17trampoline_kernelINS0_14default_configENS1_25partition_config_selectorILNS1_17partition_subalgoE9EllbEEZZNS1_14partition_implILS5_9ELb0ES3_jPKlN6thrust23THRUST_200600_302600_NS17counting_iteratorIlNSB_11use_defaultESD_SD_EEPNS0_10empty_typeENS0_5tupleIJPlSF_EEENSH_IJSI_SG_EEENS0_18inequality_wrapperIN6hipcub16HIPCUB_304000_NS8EqualityEEESI_JSF_EEE10hipError_tPvRmT3_T4_T5_T6_T7_T9_mT8_P12ihipStream_tbDpT10_ENKUlT_T0_E_clISt17integral_constantIbLb0EES18_IbLb1EEEEDaS14_S15_EUlS14_E_NS1_11comp_targetILNS1_3genE3ELNS1_11target_archE908ELNS1_3gpuE7ELNS1_3repE0EEENS1_30default_config_static_selectorELNS0_4arch9wavefront6targetE0EEEvT1_.num_named_barrier, 0
	.set _ZN7rocprim17ROCPRIM_400000_NS6detail17trampoline_kernelINS0_14default_configENS1_25partition_config_selectorILNS1_17partition_subalgoE9EllbEEZZNS1_14partition_implILS5_9ELb0ES3_jPKlN6thrust23THRUST_200600_302600_NS17counting_iteratorIlNSB_11use_defaultESD_SD_EEPNS0_10empty_typeENS0_5tupleIJPlSF_EEENSH_IJSI_SG_EEENS0_18inequality_wrapperIN6hipcub16HIPCUB_304000_NS8EqualityEEESI_JSF_EEE10hipError_tPvRmT3_T4_T5_T6_T7_T9_mT8_P12ihipStream_tbDpT10_ENKUlT_T0_E_clISt17integral_constantIbLb0EES18_IbLb1EEEEDaS14_S15_EUlS14_E_NS1_11comp_targetILNS1_3genE3ELNS1_11target_archE908ELNS1_3gpuE7ELNS1_3repE0EEENS1_30default_config_static_selectorELNS0_4arch9wavefront6targetE0EEEvT1_.private_seg_size, 0
	.set _ZN7rocprim17ROCPRIM_400000_NS6detail17trampoline_kernelINS0_14default_configENS1_25partition_config_selectorILNS1_17partition_subalgoE9EllbEEZZNS1_14partition_implILS5_9ELb0ES3_jPKlN6thrust23THRUST_200600_302600_NS17counting_iteratorIlNSB_11use_defaultESD_SD_EEPNS0_10empty_typeENS0_5tupleIJPlSF_EEENSH_IJSI_SG_EEENS0_18inequality_wrapperIN6hipcub16HIPCUB_304000_NS8EqualityEEESI_JSF_EEE10hipError_tPvRmT3_T4_T5_T6_T7_T9_mT8_P12ihipStream_tbDpT10_ENKUlT_T0_E_clISt17integral_constantIbLb0EES18_IbLb1EEEEDaS14_S15_EUlS14_E_NS1_11comp_targetILNS1_3genE3ELNS1_11target_archE908ELNS1_3gpuE7ELNS1_3repE0EEENS1_30default_config_static_selectorELNS0_4arch9wavefront6targetE0EEEvT1_.uses_vcc, 0
	.set _ZN7rocprim17ROCPRIM_400000_NS6detail17trampoline_kernelINS0_14default_configENS1_25partition_config_selectorILNS1_17partition_subalgoE9EllbEEZZNS1_14partition_implILS5_9ELb0ES3_jPKlN6thrust23THRUST_200600_302600_NS17counting_iteratorIlNSB_11use_defaultESD_SD_EEPNS0_10empty_typeENS0_5tupleIJPlSF_EEENSH_IJSI_SG_EEENS0_18inequality_wrapperIN6hipcub16HIPCUB_304000_NS8EqualityEEESI_JSF_EEE10hipError_tPvRmT3_T4_T5_T6_T7_T9_mT8_P12ihipStream_tbDpT10_ENKUlT_T0_E_clISt17integral_constantIbLb0EES18_IbLb1EEEEDaS14_S15_EUlS14_E_NS1_11comp_targetILNS1_3genE3ELNS1_11target_archE908ELNS1_3gpuE7ELNS1_3repE0EEENS1_30default_config_static_selectorELNS0_4arch9wavefront6targetE0EEEvT1_.uses_flat_scratch, 0
	.set _ZN7rocprim17ROCPRIM_400000_NS6detail17trampoline_kernelINS0_14default_configENS1_25partition_config_selectorILNS1_17partition_subalgoE9EllbEEZZNS1_14partition_implILS5_9ELb0ES3_jPKlN6thrust23THRUST_200600_302600_NS17counting_iteratorIlNSB_11use_defaultESD_SD_EEPNS0_10empty_typeENS0_5tupleIJPlSF_EEENSH_IJSI_SG_EEENS0_18inequality_wrapperIN6hipcub16HIPCUB_304000_NS8EqualityEEESI_JSF_EEE10hipError_tPvRmT3_T4_T5_T6_T7_T9_mT8_P12ihipStream_tbDpT10_ENKUlT_T0_E_clISt17integral_constantIbLb0EES18_IbLb1EEEEDaS14_S15_EUlS14_E_NS1_11comp_targetILNS1_3genE3ELNS1_11target_archE908ELNS1_3gpuE7ELNS1_3repE0EEENS1_30default_config_static_selectorELNS0_4arch9wavefront6targetE0EEEvT1_.has_dyn_sized_stack, 0
	.set _ZN7rocprim17ROCPRIM_400000_NS6detail17trampoline_kernelINS0_14default_configENS1_25partition_config_selectorILNS1_17partition_subalgoE9EllbEEZZNS1_14partition_implILS5_9ELb0ES3_jPKlN6thrust23THRUST_200600_302600_NS17counting_iteratorIlNSB_11use_defaultESD_SD_EEPNS0_10empty_typeENS0_5tupleIJPlSF_EEENSH_IJSI_SG_EEENS0_18inequality_wrapperIN6hipcub16HIPCUB_304000_NS8EqualityEEESI_JSF_EEE10hipError_tPvRmT3_T4_T5_T6_T7_T9_mT8_P12ihipStream_tbDpT10_ENKUlT_T0_E_clISt17integral_constantIbLb0EES18_IbLb1EEEEDaS14_S15_EUlS14_E_NS1_11comp_targetILNS1_3genE3ELNS1_11target_archE908ELNS1_3gpuE7ELNS1_3repE0EEENS1_30default_config_static_selectorELNS0_4arch9wavefront6targetE0EEEvT1_.has_recursion, 0
	.set _ZN7rocprim17ROCPRIM_400000_NS6detail17trampoline_kernelINS0_14default_configENS1_25partition_config_selectorILNS1_17partition_subalgoE9EllbEEZZNS1_14partition_implILS5_9ELb0ES3_jPKlN6thrust23THRUST_200600_302600_NS17counting_iteratorIlNSB_11use_defaultESD_SD_EEPNS0_10empty_typeENS0_5tupleIJPlSF_EEENSH_IJSI_SG_EEENS0_18inequality_wrapperIN6hipcub16HIPCUB_304000_NS8EqualityEEESI_JSF_EEE10hipError_tPvRmT3_T4_T5_T6_T7_T9_mT8_P12ihipStream_tbDpT10_ENKUlT_T0_E_clISt17integral_constantIbLb0EES18_IbLb1EEEEDaS14_S15_EUlS14_E_NS1_11comp_targetILNS1_3genE3ELNS1_11target_archE908ELNS1_3gpuE7ELNS1_3repE0EEENS1_30default_config_static_selectorELNS0_4arch9wavefront6targetE0EEEvT1_.has_indirect_call, 0
	.section	.AMDGPU.csdata,"",@progbits
; Kernel info:
; codeLenInByte = 0
; TotalNumSgprs: 0
; NumVgprs: 0
; ScratchSize: 0
; MemoryBound: 0
; FloatMode: 240
; IeeeMode: 1
; LDSByteSize: 0 bytes/workgroup (compile time only)
; SGPRBlocks: 0
; VGPRBlocks: 0
; NumSGPRsForWavesPerEU: 1
; NumVGPRsForWavesPerEU: 1
; NamedBarCnt: 0
; Occupancy: 16
; WaveLimiterHint : 0
; COMPUTE_PGM_RSRC2:SCRATCH_EN: 0
; COMPUTE_PGM_RSRC2:USER_SGPR: 2
; COMPUTE_PGM_RSRC2:TRAP_HANDLER: 0
; COMPUTE_PGM_RSRC2:TGID_X_EN: 1
; COMPUTE_PGM_RSRC2:TGID_Y_EN: 0
; COMPUTE_PGM_RSRC2:TGID_Z_EN: 0
; COMPUTE_PGM_RSRC2:TIDIG_COMP_CNT: 0
	.section	.text._ZN7rocprim17ROCPRIM_400000_NS6detail17trampoline_kernelINS0_14default_configENS1_25partition_config_selectorILNS1_17partition_subalgoE9EllbEEZZNS1_14partition_implILS5_9ELb0ES3_jPKlN6thrust23THRUST_200600_302600_NS17counting_iteratorIlNSB_11use_defaultESD_SD_EEPNS0_10empty_typeENS0_5tupleIJPlSF_EEENSH_IJSI_SG_EEENS0_18inequality_wrapperIN6hipcub16HIPCUB_304000_NS8EqualityEEESI_JSF_EEE10hipError_tPvRmT3_T4_T5_T6_T7_T9_mT8_P12ihipStream_tbDpT10_ENKUlT_T0_E_clISt17integral_constantIbLb0EES18_IbLb1EEEEDaS14_S15_EUlS14_E_NS1_11comp_targetILNS1_3genE2ELNS1_11target_archE906ELNS1_3gpuE6ELNS1_3repE0EEENS1_30default_config_static_selectorELNS0_4arch9wavefront6targetE0EEEvT1_,"axG",@progbits,_ZN7rocprim17ROCPRIM_400000_NS6detail17trampoline_kernelINS0_14default_configENS1_25partition_config_selectorILNS1_17partition_subalgoE9EllbEEZZNS1_14partition_implILS5_9ELb0ES3_jPKlN6thrust23THRUST_200600_302600_NS17counting_iteratorIlNSB_11use_defaultESD_SD_EEPNS0_10empty_typeENS0_5tupleIJPlSF_EEENSH_IJSI_SG_EEENS0_18inequality_wrapperIN6hipcub16HIPCUB_304000_NS8EqualityEEESI_JSF_EEE10hipError_tPvRmT3_T4_T5_T6_T7_T9_mT8_P12ihipStream_tbDpT10_ENKUlT_T0_E_clISt17integral_constantIbLb0EES18_IbLb1EEEEDaS14_S15_EUlS14_E_NS1_11comp_targetILNS1_3genE2ELNS1_11target_archE906ELNS1_3gpuE6ELNS1_3repE0EEENS1_30default_config_static_selectorELNS0_4arch9wavefront6targetE0EEEvT1_,comdat
	.protected	_ZN7rocprim17ROCPRIM_400000_NS6detail17trampoline_kernelINS0_14default_configENS1_25partition_config_selectorILNS1_17partition_subalgoE9EllbEEZZNS1_14partition_implILS5_9ELb0ES3_jPKlN6thrust23THRUST_200600_302600_NS17counting_iteratorIlNSB_11use_defaultESD_SD_EEPNS0_10empty_typeENS0_5tupleIJPlSF_EEENSH_IJSI_SG_EEENS0_18inequality_wrapperIN6hipcub16HIPCUB_304000_NS8EqualityEEESI_JSF_EEE10hipError_tPvRmT3_T4_T5_T6_T7_T9_mT8_P12ihipStream_tbDpT10_ENKUlT_T0_E_clISt17integral_constantIbLb0EES18_IbLb1EEEEDaS14_S15_EUlS14_E_NS1_11comp_targetILNS1_3genE2ELNS1_11target_archE906ELNS1_3gpuE6ELNS1_3repE0EEENS1_30default_config_static_selectorELNS0_4arch9wavefront6targetE0EEEvT1_ ; -- Begin function _ZN7rocprim17ROCPRIM_400000_NS6detail17trampoline_kernelINS0_14default_configENS1_25partition_config_selectorILNS1_17partition_subalgoE9EllbEEZZNS1_14partition_implILS5_9ELb0ES3_jPKlN6thrust23THRUST_200600_302600_NS17counting_iteratorIlNSB_11use_defaultESD_SD_EEPNS0_10empty_typeENS0_5tupleIJPlSF_EEENSH_IJSI_SG_EEENS0_18inequality_wrapperIN6hipcub16HIPCUB_304000_NS8EqualityEEESI_JSF_EEE10hipError_tPvRmT3_T4_T5_T6_T7_T9_mT8_P12ihipStream_tbDpT10_ENKUlT_T0_E_clISt17integral_constantIbLb0EES18_IbLb1EEEEDaS14_S15_EUlS14_E_NS1_11comp_targetILNS1_3genE2ELNS1_11target_archE906ELNS1_3gpuE6ELNS1_3repE0EEENS1_30default_config_static_selectorELNS0_4arch9wavefront6targetE0EEEvT1_
	.globl	_ZN7rocprim17ROCPRIM_400000_NS6detail17trampoline_kernelINS0_14default_configENS1_25partition_config_selectorILNS1_17partition_subalgoE9EllbEEZZNS1_14partition_implILS5_9ELb0ES3_jPKlN6thrust23THRUST_200600_302600_NS17counting_iteratorIlNSB_11use_defaultESD_SD_EEPNS0_10empty_typeENS0_5tupleIJPlSF_EEENSH_IJSI_SG_EEENS0_18inequality_wrapperIN6hipcub16HIPCUB_304000_NS8EqualityEEESI_JSF_EEE10hipError_tPvRmT3_T4_T5_T6_T7_T9_mT8_P12ihipStream_tbDpT10_ENKUlT_T0_E_clISt17integral_constantIbLb0EES18_IbLb1EEEEDaS14_S15_EUlS14_E_NS1_11comp_targetILNS1_3genE2ELNS1_11target_archE906ELNS1_3gpuE6ELNS1_3repE0EEENS1_30default_config_static_selectorELNS0_4arch9wavefront6targetE0EEEvT1_
	.p2align	8
	.type	_ZN7rocprim17ROCPRIM_400000_NS6detail17trampoline_kernelINS0_14default_configENS1_25partition_config_selectorILNS1_17partition_subalgoE9EllbEEZZNS1_14partition_implILS5_9ELb0ES3_jPKlN6thrust23THRUST_200600_302600_NS17counting_iteratorIlNSB_11use_defaultESD_SD_EEPNS0_10empty_typeENS0_5tupleIJPlSF_EEENSH_IJSI_SG_EEENS0_18inequality_wrapperIN6hipcub16HIPCUB_304000_NS8EqualityEEESI_JSF_EEE10hipError_tPvRmT3_T4_T5_T6_T7_T9_mT8_P12ihipStream_tbDpT10_ENKUlT_T0_E_clISt17integral_constantIbLb0EES18_IbLb1EEEEDaS14_S15_EUlS14_E_NS1_11comp_targetILNS1_3genE2ELNS1_11target_archE906ELNS1_3gpuE6ELNS1_3repE0EEENS1_30default_config_static_selectorELNS0_4arch9wavefront6targetE0EEEvT1_,@function
_ZN7rocprim17ROCPRIM_400000_NS6detail17trampoline_kernelINS0_14default_configENS1_25partition_config_selectorILNS1_17partition_subalgoE9EllbEEZZNS1_14partition_implILS5_9ELb0ES3_jPKlN6thrust23THRUST_200600_302600_NS17counting_iteratorIlNSB_11use_defaultESD_SD_EEPNS0_10empty_typeENS0_5tupleIJPlSF_EEENSH_IJSI_SG_EEENS0_18inequality_wrapperIN6hipcub16HIPCUB_304000_NS8EqualityEEESI_JSF_EEE10hipError_tPvRmT3_T4_T5_T6_T7_T9_mT8_P12ihipStream_tbDpT10_ENKUlT_T0_E_clISt17integral_constantIbLb0EES18_IbLb1EEEEDaS14_S15_EUlS14_E_NS1_11comp_targetILNS1_3genE2ELNS1_11target_archE906ELNS1_3gpuE6ELNS1_3repE0EEENS1_30default_config_static_selectorELNS0_4arch9wavefront6targetE0EEEvT1_: ; @_ZN7rocprim17ROCPRIM_400000_NS6detail17trampoline_kernelINS0_14default_configENS1_25partition_config_selectorILNS1_17partition_subalgoE9EllbEEZZNS1_14partition_implILS5_9ELb0ES3_jPKlN6thrust23THRUST_200600_302600_NS17counting_iteratorIlNSB_11use_defaultESD_SD_EEPNS0_10empty_typeENS0_5tupleIJPlSF_EEENSH_IJSI_SG_EEENS0_18inequality_wrapperIN6hipcub16HIPCUB_304000_NS8EqualityEEESI_JSF_EEE10hipError_tPvRmT3_T4_T5_T6_T7_T9_mT8_P12ihipStream_tbDpT10_ENKUlT_T0_E_clISt17integral_constantIbLb0EES18_IbLb1EEEEDaS14_S15_EUlS14_E_NS1_11comp_targetILNS1_3genE2ELNS1_11target_archE906ELNS1_3gpuE6ELNS1_3repE0EEENS1_30default_config_static_selectorELNS0_4arch9wavefront6targetE0EEEvT1_
; %bb.0:
	.section	.rodata,"a",@progbits
	.p2align	6, 0x0
	.amdhsa_kernel _ZN7rocprim17ROCPRIM_400000_NS6detail17trampoline_kernelINS0_14default_configENS1_25partition_config_selectorILNS1_17partition_subalgoE9EllbEEZZNS1_14partition_implILS5_9ELb0ES3_jPKlN6thrust23THRUST_200600_302600_NS17counting_iteratorIlNSB_11use_defaultESD_SD_EEPNS0_10empty_typeENS0_5tupleIJPlSF_EEENSH_IJSI_SG_EEENS0_18inequality_wrapperIN6hipcub16HIPCUB_304000_NS8EqualityEEESI_JSF_EEE10hipError_tPvRmT3_T4_T5_T6_T7_T9_mT8_P12ihipStream_tbDpT10_ENKUlT_T0_E_clISt17integral_constantIbLb0EES18_IbLb1EEEEDaS14_S15_EUlS14_E_NS1_11comp_targetILNS1_3genE2ELNS1_11target_archE906ELNS1_3gpuE6ELNS1_3repE0EEENS1_30default_config_static_selectorELNS0_4arch9wavefront6targetE0EEEvT1_
		.amdhsa_group_segment_fixed_size 0
		.amdhsa_private_segment_fixed_size 0
		.amdhsa_kernarg_size 128
		.amdhsa_user_sgpr_count 2
		.amdhsa_user_sgpr_dispatch_ptr 0
		.amdhsa_user_sgpr_queue_ptr 0
		.amdhsa_user_sgpr_kernarg_segment_ptr 1
		.amdhsa_user_sgpr_dispatch_id 0
		.amdhsa_user_sgpr_kernarg_preload_length 0
		.amdhsa_user_sgpr_kernarg_preload_offset 0
		.amdhsa_user_sgpr_private_segment_size 0
		.amdhsa_wavefront_size32 1
		.amdhsa_uses_dynamic_stack 0
		.amdhsa_enable_private_segment 0
		.amdhsa_system_sgpr_workgroup_id_x 1
		.amdhsa_system_sgpr_workgroup_id_y 0
		.amdhsa_system_sgpr_workgroup_id_z 0
		.amdhsa_system_sgpr_workgroup_info 0
		.amdhsa_system_vgpr_workitem_id 0
		.amdhsa_next_free_vgpr 1
		.amdhsa_next_free_sgpr 1
		.amdhsa_named_barrier_count 0
		.amdhsa_reserve_vcc 0
		.amdhsa_float_round_mode_32 0
		.amdhsa_float_round_mode_16_64 0
		.amdhsa_float_denorm_mode_32 3
		.amdhsa_float_denorm_mode_16_64 3
		.amdhsa_fp16_overflow 0
		.amdhsa_memory_ordered 1
		.amdhsa_forward_progress 1
		.amdhsa_inst_pref_size 0
		.amdhsa_round_robin_scheduling 0
		.amdhsa_exception_fp_ieee_invalid_op 0
		.amdhsa_exception_fp_denorm_src 0
		.amdhsa_exception_fp_ieee_div_zero 0
		.amdhsa_exception_fp_ieee_overflow 0
		.amdhsa_exception_fp_ieee_underflow 0
		.amdhsa_exception_fp_ieee_inexact 0
		.amdhsa_exception_int_div_zero 0
	.end_amdhsa_kernel
	.section	.text._ZN7rocprim17ROCPRIM_400000_NS6detail17trampoline_kernelINS0_14default_configENS1_25partition_config_selectorILNS1_17partition_subalgoE9EllbEEZZNS1_14partition_implILS5_9ELb0ES3_jPKlN6thrust23THRUST_200600_302600_NS17counting_iteratorIlNSB_11use_defaultESD_SD_EEPNS0_10empty_typeENS0_5tupleIJPlSF_EEENSH_IJSI_SG_EEENS0_18inequality_wrapperIN6hipcub16HIPCUB_304000_NS8EqualityEEESI_JSF_EEE10hipError_tPvRmT3_T4_T5_T6_T7_T9_mT8_P12ihipStream_tbDpT10_ENKUlT_T0_E_clISt17integral_constantIbLb0EES18_IbLb1EEEEDaS14_S15_EUlS14_E_NS1_11comp_targetILNS1_3genE2ELNS1_11target_archE906ELNS1_3gpuE6ELNS1_3repE0EEENS1_30default_config_static_selectorELNS0_4arch9wavefront6targetE0EEEvT1_,"axG",@progbits,_ZN7rocprim17ROCPRIM_400000_NS6detail17trampoline_kernelINS0_14default_configENS1_25partition_config_selectorILNS1_17partition_subalgoE9EllbEEZZNS1_14partition_implILS5_9ELb0ES3_jPKlN6thrust23THRUST_200600_302600_NS17counting_iteratorIlNSB_11use_defaultESD_SD_EEPNS0_10empty_typeENS0_5tupleIJPlSF_EEENSH_IJSI_SG_EEENS0_18inequality_wrapperIN6hipcub16HIPCUB_304000_NS8EqualityEEESI_JSF_EEE10hipError_tPvRmT3_T4_T5_T6_T7_T9_mT8_P12ihipStream_tbDpT10_ENKUlT_T0_E_clISt17integral_constantIbLb0EES18_IbLb1EEEEDaS14_S15_EUlS14_E_NS1_11comp_targetILNS1_3genE2ELNS1_11target_archE906ELNS1_3gpuE6ELNS1_3repE0EEENS1_30default_config_static_selectorELNS0_4arch9wavefront6targetE0EEEvT1_,comdat
.Lfunc_end72:
	.size	_ZN7rocprim17ROCPRIM_400000_NS6detail17trampoline_kernelINS0_14default_configENS1_25partition_config_selectorILNS1_17partition_subalgoE9EllbEEZZNS1_14partition_implILS5_9ELb0ES3_jPKlN6thrust23THRUST_200600_302600_NS17counting_iteratorIlNSB_11use_defaultESD_SD_EEPNS0_10empty_typeENS0_5tupleIJPlSF_EEENSH_IJSI_SG_EEENS0_18inequality_wrapperIN6hipcub16HIPCUB_304000_NS8EqualityEEESI_JSF_EEE10hipError_tPvRmT3_T4_T5_T6_T7_T9_mT8_P12ihipStream_tbDpT10_ENKUlT_T0_E_clISt17integral_constantIbLb0EES18_IbLb1EEEEDaS14_S15_EUlS14_E_NS1_11comp_targetILNS1_3genE2ELNS1_11target_archE906ELNS1_3gpuE6ELNS1_3repE0EEENS1_30default_config_static_selectorELNS0_4arch9wavefront6targetE0EEEvT1_, .Lfunc_end72-_ZN7rocprim17ROCPRIM_400000_NS6detail17trampoline_kernelINS0_14default_configENS1_25partition_config_selectorILNS1_17partition_subalgoE9EllbEEZZNS1_14partition_implILS5_9ELb0ES3_jPKlN6thrust23THRUST_200600_302600_NS17counting_iteratorIlNSB_11use_defaultESD_SD_EEPNS0_10empty_typeENS0_5tupleIJPlSF_EEENSH_IJSI_SG_EEENS0_18inequality_wrapperIN6hipcub16HIPCUB_304000_NS8EqualityEEESI_JSF_EEE10hipError_tPvRmT3_T4_T5_T6_T7_T9_mT8_P12ihipStream_tbDpT10_ENKUlT_T0_E_clISt17integral_constantIbLb0EES18_IbLb1EEEEDaS14_S15_EUlS14_E_NS1_11comp_targetILNS1_3genE2ELNS1_11target_archE906ELNS1_3gpuE6ELNS1_3repE0EEENS1_30default_config_static_selectorELNS0_4arch9wavefront6targetE0EEEvT1_
                                        ; -- End function
	.set _ZN7rocprim17ROCPRIM_400000_NS6detail17trampoline_kernelINS0_14default_configENS1_25partition_config_selectorILNS1_17partition_subalgoE9EllbEEZZNS1_14partition_implILS5_9ELb0ES3_jPKlN6thrust23THRUST_200600_302600_NS17counting_iteratorIlNSB_11use_defaultESD_SD_EEPNS0_10empty_typeENS0_5tupleIJPlSF_EEENSH_IJSI_SG_EEENS0_18inequality_wrapperIN6hipcub16HIPCUB_304000_NS8EqualityEEESI_JSF_EEE10hipError_tPvRmT3_T4_T5_T6_T7_T9_mT8_P12ihipStream_tbDpT10_ENKUlT_T0_E_clISt17integral_constantIbLb0EES18_IbLb1EEEEDaS14_S15_EUlS14_E_NS1_11comp_targetILNS1_3genE2ELNS1_11target_archE906ELNS1_3gpuE6ELNS1_3repE0EEENS1_30default_config_static_selectorELNS0_4arch9wavefront6targetE0EEEvT1_.num_vgpr, 0
	.set _ZN7rocprim17ROCPRIM_400000_NS6detail17trampoline_kernelINS0_14default_configENS1_25partition_config_selectorILNS1_17partition_subalgoE9EllbEEZZNS1_14partition_implILS5_9ELb0ES3_jPKlN6thrust23THRUST_200600_302600_NS17counting_iteratorIlNSB_11use_defaultESD_SD_EEPNS0_10empty_typeENS0_5tupleIJPlSF_EEENSH_IJSI_SG_EEENS0_18inequality_wrapperIN6hipcub16HIPCUB_304000_NS8EqualityEEESI_JSF_EEE10hipError_tPvRmT3_T4_T5_T6_T7_T9_mT8_P12ihipStream_tbDpT10_ENKUlT_T0_E_clISt17integral_constantIbLb0EES18_IbLb1EEEEDaS14_S15_EUlS14_E_NS1_11comp_targetILNS1_3genE2ELNS1_11target_archE906ELNS1_3gpuE6ELNS1_3repE0EEENS1_30default_config_static_selectorELNS0_4arch9wavefront6targetE0EEEvT1_.num_agpr, 0
	.set _ZN7rocprim17ROCPRIM_400000_NS6detail17trampoline_kernelINS0_14default_configENS1_25partition_config_selectorILNS1_17partition_subalgoE9EllbEEZZNS1_14partition_implILS5_9ELb0ES3_jPKlN6thrust23THRUST_200600_302600_NS17counting_iteratorIlNSB_11use_defaultESD_SD_EEPNS0_10empty_typeENS0_5tupleIJPlSF_EEENSH_IJSI_SG_EEENS0_18inequality_wrapperIN6hipcub16HIPCUB_304000_NS8EqualityEEESI_JSF_EEE10hipError_tPvRmT3_T4_T5_T6_T7_T9_mT8_P12ihipStream_tbDpT10_ENKUlT_T0_E_clISt17integral_constantIbLb0EES18_IbLb1EEEEDaS14_S15_EUlS14_E_NS1_11comp_targetILNS1_3genE2ELNS1_11target_archE906ELNS1_3gpuE6ELNS1_3repE0EEENS1_30default_config_static_selectorELNS0_4arch9wavefront6targetE0EEEvT1_.numbered_sgpr, 0
	.set _ZN7rocprim17ROCPRIM_400000_NS6detail17trampoline_kernelINS0_14default_configENS1_25partition_config_selectorILNS1_17partition_subalgoE9EllbEEZZNS1_14partition_implILS5_9ELb0ES3_jPKlN6thrust23THRUST_200600_302600_NS17counting_iteratorIlNSB_11use_defaultESD_SD_EEPNS0_10empty_typeENS0_5tupleIJPlSF_EEENSH_IJSI_SG_EEENS0_18inequality_wrapperIN6hipcub16HIPCUB_304000_NS8EqualityEEESI_JSF_EEE10hipError_tPvRmT3_T4_T5_T6_T7_T9_mT8_P12ihipStream_tbDpT10_ENKUlT_T0_E_clISt17integral_constantIbLb0EES18_IbLb1EEEEDaS14_S15_EUlS14_E_NS1_11comp_targetILNS1_3genE2ELNS1_11target_archE906ELNS1_3gpuE6ELNS1_3repE0EEENS1_30default_config_static_selectorELNS0_4arch9wavefront6targetE0EEEvT1_.num_named_barrier, 0
	.set _ZN7rocprim17ROCPRIM_400000_NS6detail17trampoline_kernelINS0_14default_configENS1_25partition_config_selectorILNS1_17partition_subalgoE9EllbEEZZNS1_14partition_implILS5_9ELb0ES3_jPKlN6thrust23THRUST_200600_302600_NS17counting_iteratorIlNSB_11use_defaultESD_SD_EEPNS0_10empty_typeENS0_5tupleIJPlSF_EEENSH_IJSI_SG_EEENS0_18inequality_wrapperIN6hipcub16HIPCUB_304000_NS8EqualityEEESI_JSF_EEE10hipError_tPvRmT3_T4_T5_T6_T7_T9_mT8_P12ihipStream_tbDpT10_ENKUlT_T0_E_clISt17integral_constantIbLb0EES18_IbLb1EEEEDaS14_S15_EUlS14_E_NS1_11comp_targetILNS1_3genE2ELNS1_11target_archE906ELNS1_3gpuE6ELNS1_3repE0EEENS1_30default_config_static_selectorELNS0_4arch9wavefront6targetE0EEEvT1_.private_seg_size, 0
	.set _ZN7rocprim17ROCPRIM_400000_NS6detail17trampoline_kernelINS0_14default_configENS1_25partition_config_selectorILNS1_17partition_subalgoE9EllbEEZZNS1_14partition_implILS5_9ELb0ES3_jPKlN6thrust23THRUST_200600_302600_NS17counting_iteratorIlNSB_11use_defaultESD_SD_EEPNS0_10empty_typeENS0_5tupleIJPlSF_EEENSH_IJSI_SG_EEENS0_18inequality_wrapperIN6hipcub16HIPCUB_304000_NS8EqualityEEESI_JSF_EEE10hipError_tPvRmT3_T4_T5_T6_T7_T9_mT8_P12ihipStream_tbDpT10_ENKUlT_T0_E_clISt17integral_constantIbLb0EES18_IbLb1EEEEDaS14_S15_EUlS14_E_NS1_11comp_targetILNS1_3genE2ELNS1_11target_archE906ELNS1_3gpuE6ELNS1_3repE0EEENS1_30default_config_static_selectorELNS0_4arch9wavefront6targetE0EEEvT1_.uses_vcc, 0
	.set _ZN7rocprim17ROCPRIM_400000_NS6detail17trampoline_kernelINS0_14default_configENS1_25partition_config_selectorILNS1_17partition_subalgoE9EllbEEZZNS1_14partition_implILS5_9ELb0ES3_jPKlN6thrust23THRUST_200600_302600_NS17counting_iteratorIlNSB_11use_defaultESD_SD_EEPNS0_10empty_typeENS0_5tupleIJPlSF_EEENSH_IJSI_SG_EEENS0_18inequality_wrapperIN6hipcub16HIPCUB_304000_NS8EqualityEEESI_JSF_EEE10hipError_tPvRmT3_T4_T5_T6_T7_T9_mT8_P12ihipStream_tbDpT10_ENKUlT_T0_E_clISt17integral_constantIbLb0EES18_IbLb1EEEEDaS14_S15_EUlS14_E_NS1_11comp_targetILNS1_3genE2ELNS1_11target_archE906ELNS1_3gpuE6ELNS1_3repE0EEENS1_30default_config_static_selectorELNS0_4arch9wavefront6targetE0EEEvT1_.uses_flat_scratch, 0
	.set _ZN7rocprim17ROCPRIM_400000_NS6detail17trampoline_kernelINS0_14default_configENS1_25partition_config_selectorILNS1_17partition_subalgoE9EllbEEZZNS1_14partition_implILS5_9ELb0ES3_jPKlN6thrust23THRUST_200600_302600_NS17counting_iteratorIlNSB_11use_defaultESD_SD_EEPNS0_10empty_typeENS0_5tupleIJPlSF_EEENSH_IJSI_SG_EEENS0_18inequality_wrapperIN6hipcub16HIPCUB_304000_NS8EqualityEEESI_JSF_EEE10hipError_tPvRmT3_T4_T5_T6_T7_T9_mT8_P12ihipStream_tbDpT10_ENKUlT_T0_E_clISt17integral_constantIbLb0EES18_IbLb1EEEEDaS14_S15_EUlS14_E_NS1_11comp_targetILNS1_3genE2ELNS1_11target_archE906ELNS1_3gpuE6ELNS1_3repE0EEENS1_30default_config_static_selectorELNS0_4arch9wavefront6targetE0EEEvT1_.has_dyn_sized_stack, 0
	.set _ZN7rocprim17ROCPRIM_400000_NS6detail17trampoline_kernelINS0_14default_configENS1_25partition_config_selectorILNS1_17partition_subalgoE9EllbEEZZNS1_14partition_implILS5_9ELb0ES3_jPKlN6thrust23THRUST_200600_302600_NS17counting_iteratorIlNSB_11use_defaultESD_SD_EEPNS0_10empty_typeENS0_5tupleIJPlSF_EEENSH_IJSI_SG_EEENS0_18inequality_wrapperIN6hipcub16HIPCUB_304000_NS8EqualityEEESI_JSF_EEE10hipError_tPvRmT3_T4_T5_T6_T7_T9_mT8_P12ihipStream_tbDpT10_ENKUlT_T0_E_clISt17integral_constantIbLb0EES18_IbLb1EEEEDaS14_S15_EUlS14_E_NS1_11comp_targetILNS1_3genE2ELNS1_11target_archE906ELNS1_3gpuE6ELNS1_3repE0EEENS1_30default_config_static_selectorELNS0_4arch9wavefront6targetE0EEEvT1_.has_recursion, 0
	.set _ZN7rocprim17ROCPRIM_400000_NS6detail17trampoline_kernelINS0_14default_configENS1_25partition_config_selectorILNS1_17partition_subalgoE9EllbEEZZNS1_14partition_implILS5_9ELb0ES3_jPKlN6thrust23THRUST_200600_302600_NS17counting_iteratorIlNSB_11use_defaultESD_SD_EEPNS0_10empty_typeENS0_5tupleIJPlSF_EEENSH_IJSI_SG_EEENS0_18inequality_wrapperIN6hipcub16HIPCUB_304000_NS8EqualityEEESI_JSF_EEE10hipError_tPvRmT3_T4_T5_T6_T7_T9_mT8_P12ihipStream_tbDpT10_ENKUlT_T0_E_clISt17integral_constantIbLb0EES18_IbLb1EEEEDaS14_S15_EUlS14_E_NS1_11comp_targetILNS1_3genE2ELNS1_11target_archE906ELNS1_3gpuE6ELNS1_3repE0EEENS1_30default_config_static_selectorELNS0_4arch9wavefront6targetE0EEEvT1_.has_indirect_call, 0
	.section	.AMDGPU.csdata,"",@progbits
; Kernel info:
; codeLenInByte = 0
; TotalNumSgprs: 0
; NumVgprs: 0
; ScratchSize: 0
; MemoryBound: 0
; FloatMode: 240
; IeeeMode: 1
; LDSByteSize: 0 bytes/workgroup (compile time only)
; SGPRBlocks: 0
; VGPRBlocks: 0
; NumSGPRsForWavesPerEU: 1
; NumVGPRsForWavesPerEU: 1
; NamedBarCnt: 0
; Occupancy: 16
; WaveLimiterHint : 0
; COMPUTE_PGM_RSRC2:SCRATCH_EN: 0
; COMPUTE_PGM_RSRC2:USER_SGPR: 2
; COMPUTE_PGM_RSRC2:TRAP_HANDLER: 0
; COMPUTE_PGM_RSRC2:TGID_X_EN: 1
; COMPUTE_PGM_RSRC2:TGID_Y_EN: 0
; COMPUTE_PGM_RSRC2:TGID_Z_EN: 0
; COMPUTE_PGM_RSRC2:TIDIG_COMP_CNT: 0
	.section	.text._ZN7rocprim17ROCPRIM_400000_NS6detail17trampoline_kernelINS0_14default_configENS1_25partition_config_selectorILNS1_17partition_subalgoE9EllbEEZZNS1_14partition_implILS5_9ELb0ES3_jPKlN6thrust23THRUST_200600_302600_NS17counting_iteratorIlNSB_11use_defaultESD_SD_EEPNS0_10empty_typeENS0_5tupleIJPlSF_EEENSH_IJSI_SG_EEENS0_18inequality_wrapperIN6hipcub16HIPCUB_304000_NS8EqualityEEESI_JSF_EEE10hipError_tPvRmT3_T4_T5_T6_T7_T9_mT8_P12ihipStream_tbDpT10_ENKUlT_T0_E_clISt17integral_constantIbLb0EES18_IbLb1EEEEDaS14_S15_EUlS14_E_NS1_11comp_targetILNS1_3genE10ELNS1_11target_archE1200ELNS1_3gpuE4ELNS1_3repE0EEENS1_30default_config_static_selectorELNS0_4arch9wavefront6targetE0EEEvT1_,"axG",@progbits,_ZN7rocprim17ROCPRIM_400000_NS6detail17trampoline_kernelINS0_14default_configENS1_25partition_config_selectorILNS1_17partition_subalgoE9EllbEEZZNS1_14partition_implILS5_9ELb0ES3_jPKlN6thrust23THRUST_200600_302600_NS17counting_iteratorIlNSB_11use_defaultESD_SD_EEPNS0_10empty_typeENS0_5tupleIJPlSF_EEENSH_IJSI_SG_EEENS0_18inequality_wrapperIN6hipcub16HIPCUB_304000_NS8EqualityEEESI_JSF_EEE10hipError_tPvRmT3_T4_T5_T6_T7_T9_mT8_P12ihipStream_tbDpT10_ENKUlT_T0_E_clISt17integral_constantIbLb0EES18_IbLb1EEEEDaS14_S15_EUlS14_E_NS1_11comp_targetILNS1_3genE10ELNS1_11target_archE1200ELNS1_3gpuE4ELNS1_3repE0EEENS1_30default_config_static_selectorELNS0_4arch9wavefront6targetE0EEEvT1_,comdat
	.protected	_ZN7rocprim17ROCPRIM_400000_NS6detail17trampoline_kernelINS0_14default_configENS1_25partition_config_selectorILNS1_17partition_subalgoE9EllbEEZZNS1_14partition_implILS5_9ELb0ES3_jPKlN6thrust23THRUST_200600_302600_NS17counting_iteratorIlNSB_11use_defaultESD_SD_EEPNS0_10empty_typeENS0_5tupleIJPlSF_EEENSH_IJSI_SG_EEENS0_18inequality_wrapperIN6hipcub16HIPCUB_304000_NS8EqualityEEESI_JSF_EEE10hipError_tPvRmT3_T4_T5_T6_T7_T9_mT8_P12ihipStream_tbDpT10_ENKUlT_T0_E_clISt17integral_constantIbLb0EES18_IbLb1EEEEDaS14_S15_EUlS14_E_NS1_11comp_targetILNS1_3genE10ELNS1_11target_archE1200ELNS1_3gpuE4ELNS1_3repE0EEENS1_30default_config_static_selectorELNS0_4arch9wavefront6targetE0EEEvT1_ ; -- Begin function _ZN7rocprim17ROCPRIM_400000_NS6detail17trampoline_kernelINS0_14default_configENS1_25partition_config_selectorILNS1_17partition_subalgoE9EllbEEZZNS1_14partition_implILS5_9ELb0ES3_jPKlN6thrust23THRUST_200600_302600_NS17counting_iteratorIlNSB_11use_defaultESD_SD_EEPNS0_10empty_typeENS0_5tupleIJPlSF_EEENSH_IJSI_SG_EEENS0_18inequality_wrapperIN6hipcub16HIPCUB_304000_NS8EqualityEEESI_JSF_EEE10hipError_tPvRmT3_T4_T5_T6_T7_T9_mT8_P12ihipStream_tbDpT10_ENKUlT_T0_E_clISt17integral_constantIbLb0EES18_IbLb1EEEEDaS14_S15_EUlS14_E_NS1_11comp_targetILNS1_3genE10ELNS1_11target_archE1200ELNS1_3gpuE4ELNS1_3repE0EEENS1_30default_config_static_selectorELNS0_4arch9wavefront6targetE0EEEvT1_
	.globl	_ZN7rocprim17ROCPRIM_400000_NS6detail17trampoline_kernelINS0_14default_configENS1_25partition_config_selectorILNS1_17partition_subalgoE9EllbEEZZNS1_14partition_implILS5_9ELb0ES3_jPKlN6thrust23THRUST_200600_302600_NS17counting_iteratorIlNSB_11use_defaultESD_SD_EEPNS0_10empty_typeENS0_5tupleIJPlSF_EEENSH_IJSI_SG_EEENS0_18inequality_wrapperIN6hipcub16HIPCUB_304000_NS8EqualityEEESI_JSF_EEE10hipError_tPvRmT3_T4_T5_T6_T7_T9_mT8_P12ihipStream_tbDpT10_ENKUlT_T0_E_clISt17integral_constantIbLb0EES18_IbLb1EEEEDaS14_S15_EUlS14_E_NS1_11comp_targetILNS1_3genE10ELNS1_11target_archE1200ELNS1_3gpuE4ELNS1_3repE0EEENS1_30default_config_static_selectorELNS0_4arch9wavefront6targetE0EEEvT1_
	.p2align	8
	.type	_ZN7rocprim17ROCPRIM_400000_NS6detail17trampoline_kernelINS0_14default_configENS1_25partition_config_selectorILNS1_17partition_subalgoE9EllbEEZZNS1_14partition_implILS5_9ELb0ES3_jPKlN6thrust23THRUST_200600_302600_NS17counting_iteratorIlNSB_11use_defaultESD_SD_EEPNS0_10empty_typeENS0_5tupleIJPlSF_EEENSH_IJSI_SG_EEENS0_18inequality_wrapperIN6hipcub16HIPCUB_304000_NS8EqualityEEESI_JSF_EEE10hipError_tPvRmT3_T4_T5_T6_T7_T9_mT8_P12ihipStream_tbDpT10_ENKUlT_T0_E_clISt17integral_constantIbLb0EES18_IbLb1EEEEDaS14_S15_EUlS14_E_NS1_11comp_targetILNS1_3genE10ELNS1_11target_archE1200ELNS1_3gpuE4ELNS1_3repE0EEENS1_30default_config_static_selectorELNS0_4arch9wavefront6targetE0EEEvT1_,@function
_ZN7rocprim17ROCPRIM_400000_NS6detail17trampoline_kernelINS0_14default_configENS1_25partition_config_selectorILNS1_17partition_subalgoE9EllbEEZZNS1_14partition_implILS5_9ELb0ES3_jPKlN6thrust23THRUST_200600_302600_NS17counting_iteratorIlNSB_11use_defaultESD_SD_EEPNS0_10empty_typeENS0_5tupleIJPlSF_EEENSH_IJSI_SG_EEENS0_18inequality_wrapperIN6hipcub16HIPCUB_304000_NS8EqualityEEESI_JSF_EEE10hipError_tPvRmT3_T4_T5_T6_T7_T9_mT8_P12ihipStream_tbDpT10_ENKUlT_T0_E_clISt17integral_constantIbLb0EES18_IbLb1EEEEDaS14_S15_EUlS14_E_NS1_11comp_targetILNS1_3genE10ELNS1_11target_archE1200ELNS1_3gpuE4ELNS1_3repE0EEENS1_30default_config_static_selectorELNS0_4arch9wavefront6targetE0EEEvT1_: ; @_ZN7rocprim17ROCPRIM_400000_NS6detail17trampoline_kernelINS0_14default_configENS1_25partition_config_selectorILNS1_17partition_subalgoE9EllbEEZZNS1_14partition_implILS5_9ELb0ES3_jPKlN6thrust23THRUST_200600_302600_NS17counting_iteratorIlNSB_11use_defaultESD_SD_EEPNS0_10empty_typeENS0_5tupleIJPlSF_EEENSH_IJSI_SG_EEENS0_18inequality_wrapperIN6hipcub16HIPCUB_304000_NS8EqualityEEESI_JSF_EEE10hipError_tPvRmT3_T4_T5_T6_T7_T9_mT8_P12ihipStream_tbDpT10_ENKUlT_T0_E_clISt17integral_constantIbLb0EES18_IbLb1EEEEDaS14_S15_EUlS14_E_NS1_11comp_targetILNS1_3genE10ELNS1_11target_archE1200ELNS1_3gpuE4ELNS1_3repE0EEENS1_30default_config_static_selectorELNS0_4arch9wavefront6targetE0EEEvT1_
; %bb.0:
	.section	.rodata,"a",@progbits
	.p2align	6, 0x0
	.amdhsa_kernel _ZN7rocprim17ROCPRIM_400000_NS6detail17trampoline_kernelINS0_14default_configENS1_25partition_config_selectorILNS1_17partition_subalgoE9EllbEEZZNS1_14partition_implILS5_9ELb0ES3_jPKlN6thrust23THRUST_200600_302600_NS17counting_iteratorIlNSB_11use_defaultESD_SD_EEPNS0_10empty_typeENS0_5tupleIJPlSF_EEENSH_IJSI_SG_EEENS0_18inequality_wrapperIN6hipcub16HIPCUB_304000_NS8EqualityEEESI_JSF_EEE10hipError_tPvRmT3_T4_T5_T6_T7_T9_mT8_P12ihipStream_tbDpT10_ENKUlT_T0_E_clISt17integral_constantIbLb0EES18_IbLb1EEEEDaS14_S15_EUlS14_E_NS1_11comp_targetILNS1_3genE10ELNS1_11target_archE1200ELNS1_3gpuE4ELNS1_3repE0EEENS1_30default_config_static_selectorELNS0_4arch9wavefront6targetE0EEEvT1_
		.amdhsa_group_segment_fixed_size 0
		.amdhsa_private_segment_fixed_size 0
		.amdhsa_kernarg_size 128
		.amdhsa_user_sgpr_count 2
		.amdhsa_user_sgpr_dispatch_ptr 0
		.amdhsa_user_sgpr_queue_ptr 0
		.amdhsa_user_sgpr_kernarg_segment_ptr 1
		.amdhsa_user_sgpr_dispatch_id 0
		.amdhsa_user_sgpr_kernarg_preload_length 0
		.amdhsa_user_sgpr_kernarg_preload_offset 0
		.amdhsa_user_sgpr_private_segment_size 0
		.amdhsa_wavefront_size32 1
		.amdhsa_uses_dynamic_stack 0
		.amdhsa_enable_private_segment 0
		.amdhsa_system_sgpr_workgroup_id_x 1
		.amdhsa_system_sgpr_workgroup_id_y 0
		.amdhsa_system_sgpr_workgroup_id_z 0
		.amdhsa_system_sgpr_workgroup_info 0
		.amdhsa_system_vgpr_workitem_id 0
		.amdhsa_next_free_vgpr 1
		.amdhsa_next_free_sgpr 1
		.amdhsa_named_barrier_count 0
		.amdhsa_reserve_vcc 0
		.amdhsa_float_round_mode_32 0
		.amdhsa_float_round_mode_16_64 0
		.amdhsa_float_denorm_mode_32 3
		.amdhsa_float_denorm_mode_16_64 3
		.amdhsa_fp16_overflow 0
		.amdhsa_memory_ordered 1
		.amdhsa_forward_progress 1
		.amdhsa_inst_pref_size 0
		.amdhsa_round_robin_scheduling 0
		.amdhsa_exception_fp_ieee_invalid_op 0
		.amdhsa_exception_fp_denorm_src 0
		.amdhsa_exception_fp_ieee_div_zero 0
		.amdhsa_exception_fp_ieee_overflow 0
		.amdhsa_exception_fp_ieee_underflow 0
		.amdhsa_exception_fp_ieee_inexact 0
		.amdhsa_exception_int_div_zero 0
	.end_amdhsa_kernel
	.section	.text._ZN7rocprim17ROCPRIM_400000_NS6detail17trampoline_kernelINS0_14default_configENS1_25partition_config_selectorILNS1_17partition_subalgoE9EllbEEZZNS1_14partition_implILS5_9ELb0ES3_jPKlN6thrust23THRUST_200600_302600_NS17counting_iteratorIlNSB_11use_defaultESD_SD_EEPNS0_10empty_typeENS0_5tupleIJPlSF_EEENSH_IJSI_SG_EEENS0_18inequality_wrapperIN6hipcub16HIPCUB_304000_NS8EqualityEEESI_JSF_EEE10hipError_tPvRmT3_T4_T5_T6_T7_T9_mT8_P12ihipStream_tbDpT10_ENKUlT_T0_E_clISt17integral_constantIbLb0EES18_IbLb1EEEEDaS14_S15_EUlS14_E_NS1_11comp_targetILNS1_3genE10ELNS1_11target_archE1200ELNS1_3gpuE4ELNS1_3repE0EEENS1_30default_config_static_selectorELNS0_4arch9wavefront6targetE0EEEvT1_,"axG",@progbits,_ZN7rocprim17ROCPRIM_400000_NS6detail17trampoline_kernelINS0_14default_configENS1_25partition_config_selectorILNS1_17partition_subalgoE9EllbEEZZNS1_14partition_implILS5_9ELb0ES3_jPKlN6thrust23THRUST_200600_302600_NS17counting_iteratorIlNSB_11use_defaultESD_SD_EEPNS0_10empty_typeENS0_5tupleIJPlSF_EEENSH_IJSI_SG_EEENS0_18inequality_wrapperIN6hipcub16HIPCUB_304000_NS8EqualityEEESI_JSF_EEE10hipError_tPvRmT3_T4_T5_T6_T7_T9_mT8_P12ihipStream_tbDpT10_ENKUlT_T0_E_clISt17integral_constantIbLb0EES18_IbLb1EEEEDaS14_S15_EUlS14_E_NS1_11comp_targetILNS1_3genE10ELNS1_11target_archE1200ELNS1_3gpuE4ELNS1_3repE0EEENS1_30default_config_static_selectorELNS0_4arch9wavefront6targetE0EEEvT1_,comdat
.Lfunc_end73:
	.size	_ZN7rocprim17ROCPRIM_400000_NS6detail17trampoline_kernelINS0_14default_configENS1_25partition_config_selectorILNS1_17partition_subalgoE9EllbEEZZNS1_14partition_implILS5_9ELb0ES3_jPKlN6thrust23THRUST_200600_302600_NS17counting_iteratorIlNSB_11use_defaultESD_SD_EEPNS0_10empty_typeENS0_5tupleIJPlSF_EEENSH_IJSI_SG_EEENS0_18inequality_wrapperIN6hipcub16HIPCUB_304000_NS8EqualityEEESI_JSF_EEE10hipError_tPvRmT3_T4_T5_T6_T7_T9_mT8_P12ihipStream_tbDpT10_ENKUlT_T0_E_clISt17integral_constantIbLb0EES18_IbLb1EEEEDaS14_S15_EUlS14_E_NS1_11comp_targetILNS1_3genE10ELNS1_11target_archE1200ELNS1_3gpuE4ELNS1_3repE0EEENS1_30default_config_static_selectorELNS0_4arch9wavefront6targetE0EEEvT1_, .Lfunc_end73-_ZN7rocprim17ROCPRIM_400000_NS6detail17trampoline_kernelINS0_14default_configENS1_25partition_config_selectorILNS1_17partition_subalgoE9EllbEEZZNS1_14partition_implILS5_9ELb0ES3_jPKlN6thrust23THRUST_200600_302600_NS17counting_iteratorIlNSB_11use_defaultESD_SD_EEPNS0_10empty_typeENS0_5tupleIJPlSF_EEENSH_IJSI_SG_EEENS0_18inequality_wrapperIN6hipcub16HIPCUB_304000_NS8EqualityEEESI_JSF_EEE10hipError_tPvRmT3_T4_T5_T6_T7_T9_mT8_P12ihipStream_tbDpT10_ENKUlT_T0_E_clISt17integral_constantIbLb0EES18_IbLb1EEEEDaS14_S15_EUlS14_E_NS1_11comp_targetILNS1_3genE10ELNS1_11target_archE1200ELNS1_3gpuE4ELNS1_3repE0EEENS1_30default_config_static_selectorELNS0_4arch9wavefront6targetE0EEEvT1_
                                        ; -- End function
	.set _ZN7rocprim17ROCPRIM_400000_NS6detail17trampoline_kernelINS0_14default_configENS1_25partition_config_selectorILNS1_17partition_subalgoE9EllbEEZZNS1_14partition_implILS5_9ELb0ES3_jPKlN6thrust23THRUST_200600_302600_NS17counting_iteratorIlNSB_11use_defaultESD_SD_EEPNS0_10empty_typeENS0_5tupleIJPlSF_EEENSH_IJSI_SG_EEENS0_18inequality_wrapperIN6hipcub16HIPCUB_304000_NS8EqualityEEESI_JSF_EEE10hipError_tPvRmT3_T4_T5_T6_T7_T9_mT8_P12ihipStream_tbDpT10_ENKUlT_T0_E_clISt17integral_constantIbLb0EES18_IbLb1EEEEDaS14_S15_EUlS14_E_NS1_11comp_targetILNS1_3genE10ELNS1_11target_archE1200ELNS1_3gpuE4ELNS1_3repE0EEENS1_30default_config_static_selectorELNS0_4arch9wavefront6targetE0EEEvT1_.num_vgpr, 0
	.set _ZN7rocprim17ROCPRIM_400000_NS6detail17trampoline_kernelINS0_14default_configENS1_25partition_config_selectorILNS1_17partition_subalgoE9EllbEEZZNS1_14partition_implILS5_9ELb0ES3_jPKlN6thrust23THRUST_200600_302600_NS17counting_iteratorIlNSB_11use_defaultESD_SD_EEPNS0_10empty_typeENS0_5tupleIJPlSF_EEENSH_IJSI_SG_EEENS0_18inequality_wrapperIN6hipcub16HIPCUB_304000_NS8EqualityEEESI_JSF_EEE10hipError_tPvRmT3_T4_T5_T6_T7_T9_mT8_P12ihipStream_tbDpT10_ENKUlT_T0_E_clISt17integral_constantIbLb0EES18_IbLb1EEEEDaS14_S15_EUlS14_E_NS1_11comp_targetILNS1_3genE10ELNS1_11target_archE1200ELNS1_3gpuE4ELNS1_3repE0EEENS1_30default_config_static_selectorELNS0_4arch9wavefront6targetE0EEEvT1_.num_agpr, 0
	.set _ZN7rocprim17ROCPRIM_400000_NS6detail17trampoline_kernelINS0_14default_configENS1_25partition_config_selectorILNS1_17partition_subalgoE9EllbEEZZNS1_14partition_implILS5_9ELb0ES3_jPKlN6thrust23THRUST_200600_302600_NS17counting_iteratorIlNSB_11use_defaultESD_SD_EEPNS0_10empty_typeENS0_5tupleIJPlSF_EEENSH_IJSI_SG_EEENS0_18inequality_wrapperIN6hipcub16HIPCUB_304000_NS8EqualityEEESI_JSF_EEE10hipError_tPvRmT3_T4_T5_T6_T7_T9_mT8_P12ihipStream_tbDpT10_ENKUlT_T0_E_clISt17integral_constantIbLb0EES18_IbLb1EEEEDaS14_S15_EUlS14_E_NS1_11comp_targetILNS1_3genE10ELNS1_11target_archE1200ELNS1_3gpuE4ELNS1_3repE0EEENS1_30default_config_static_selectorELNS0_4arch9wavefront6targetE0EEEvT1_.numbered_sgpr, 0
	.set _ZN7rocprim17ROCPRIM_400000_NS6detail17trampoline_kernelINS0_14default_configENS1_25partition_config_selectorILNS1_17partition_subalgoE9EllbEEZZNS1_14partition_implILS5_9ELb0ES3_jPKlN6thrust23THRUST_200600_302600_NS17counting_iteratorIlNSB_11use_defaultESD_SD_EEPNS0_10empty_typeENS0_5tupleIJPlSF_EEENSH_IJSI_SG_EEENS0_18inequality_wrapperIN6hipcub16HIPCUB_304000_NS8EqualityEEESI_JSF_EEE10hipError_tPvRmT3_T4_T5_T6_T7_T9_mT8_P12ihipStream_tbDpT10_ENKUlT_T0_E_clISt17integral_constantIbLb0EES18_IbLb1EEEEDaS14_S15_EUlS14_E_NS1_11comp_targetILNS1_3genE10ELNS1_11target_archE1200ELNS1_3gpuE4ELNS1_3repE0EEENS1_30default_config_static_selectorELNS0_4arch9wavefront6targetE0EEEvT1_.num_named_barrier, 0
	.set _ZN7rocprim17ROCPRIM_400000_NS6detail17trampoline_kernelINS0_14default_configENS1_25partition_config_selectorILNS1_17partition_subalgoE9EllbEEZZNS1_14partition_implILS5_9ELb0ES3_jPKlN6thrust23THRUST_200600_302600_NS17counting_iteratorIlNSB_11use_defaultESD_SD_EEPNS0_10empty_typeENS0_5tupleIJPlSF_EEENSH_IJSI_SG_EEENS0_18inequality_wrapperIN6hipcub16HIPCUB_304000_NS8EqualityEEESI_JSF_EEE10hipError_tPvRmT3_T4_T5_T6_T7_T9_mT8_P12ihipStream_tbDpT10_ENKUlT_T0_E_clISt17integral_constantIbLb0EES18_IbLb1EEEEDaS14_S15_EUlS14_E_NS1_11comp_targetILNS1_3genE10ELNS1_11target_archE1200ELNS1_3gpuE4ELNS1_3repE0EEENS1_30default_config_static_selectorELNS0_4arch9wavefront6targetE0EEEvT1_.private_seg_size, 0
	.set _ZN7rocprim17ROCPRIM_400000_NS6detail17trampoline_kernelINS0_14default_configENS1_25partition_config_selectorILNS1_17partition_subalgoE9EllbEEZZNS1_14partition_implILS5_9ELb0ES3_jPKlN6thrust23THRUST_200600_302600_NS17counting_iteratorIlNSB_11use_defaultESD_SD_EEPNS0_10empty_typeENS0_5tupleIJPlSF_EEENSH_IJSI_SG_EEENS0_18inequality_wrapperIN6hipcub16HIPCUB_304000_NS8EqualityEEESI_JSF_EEE10hipError_tPvRmT3_T4_T5_T6_T7_T9_mT8_P12ihipStream_tbDpT10_ENKUlT_T0_E_clISt17integral_constantIbLb0EES18_IbLb1EEEEDaS14_S15_EUlS14_E_NS1_11comp_targetILNS1_3genE10ELNS1_11target_archE1200ELNS1_3gpuE4ELNS1_3repE0EEENS1_30default_config_static_selectorELNS0_4arch9wavefront6targetE0EEEvT1_.uses_vcc, 0
	.set _ZN7rocprim17ROCPRIM_400000_NS6detail17trampoline_kernelINS0_14default_configENS1_25partition_config_selectorILNS1_17partition_subalgoE9EllbEEZZNS1_14partition_implILS5_9ELb0ES3_jPKlN6thrust23THRUST_200600_302600_NS17counting_iteratorIlNSB_11use_defaultESD_SD_EEPNS0_10empty_typeENS0_5tupleIJPlSF_EEENSH_IJSI_SG_EEENS0_18inequality_wrapperIN6hipcub16HIPCUB_304000_NS8EqualityEEESI_JSF_EEE10hipError_tPvRmT3_T4_T5_T6_T7_T9_mT8_P12ihipStream_tbDpT10_ENKUlT_T0_E_clISt17integral_constantIbLb0EES18_IbLb1EEEEDaS14_S15_EUlS14_E_NS1_11comp_targetILNS1_3genE10ELNS1_11target_archE1200ELNS1_3gpuE4ELNS1_3repE0EEENS1_30default_config_static_selectorELNS0_4arch9wavefront6targetE0EEEvT1_.uses_flat_scratch, 0
	.set _ZN7rocprim17ROCPRIM_400000_NS6detail17trampoline_kernelINS0_14default_configENS1_25partition_config_selectorILNS1_17partition_subalgoE9EllbEEZZNS1_14partition_implILS5_9ELb0ES3_jPKlN6thrust23THRUST_200600_302600_NS17counting_iteratorIlNSB_11use_defaultESD_SD_EEPNS0_10empty_typeENS0_5tupleIJPlSF_EEENSH_IJSI_SG_EEENS0_18inequality_wrapperIN6hipcub16HIPCUB_304000_NS8EqualityEEESI_JSF_EEE10hipError_tPvRmT3_T4_T5_T6_T7_T9_mT8_P12ihipStream_tbDpT10_ENKUlT_T0_E_clISt17integral_constantIbLb0EES18_IbLb1EEEEDaS14_S15_EUlS14_E_NS1_11comp_targetILNS1_3genE10ELNS1_11target_archE1200ELNS1_3gpuE4ELNS1_3repE0EEENS1_30default_config_static_selectorELNS0_4arch9wavefront6targetE0EEEvT1_.has_dyn_sized_stack, 0
	.set _ZN7rocprim17ROCPRIM_400000_NS6detail17trampoline_kernelINS0_14default_configENS1_25partition_config_selectorILNS1_17partition_subalgoE9EllbEEZZNS1_14partition_implILS5_9ELb0ES3_jPKlN6thrust23THRUST_200600_302600_NS17counting_iteratorIlNSB_11use_defaultESD_SD_EEPNS0_10empty_typeENS0_5tupleIJPlSF_EEENSH_IJSI_SG_EEENS0_18inequality_wrapperIN6hipcub16HIPCUB_304000_NS8EqualityEEESI_JSF_EEE10hipError_tPvRmT3_T4_T5_T6_T7_T9_mT8_P12ihipStream_tbDpT10_ENKUlT_T0_E_clISt17integral_constantIbLb0EES18_IbLb1EEEEDaS14_S15_EUlS14_E_NS1_11comp_targetILNS1_3genE10ELNS1_11target_archE1200ELNS1_3gpuE4ELNS1_3repE0EEENS1_30default_config_static_selectorELNS0_4arch9wavefront6targetE0EEEvT1_.has_recursion, 0
	.set _ZN7rocprim17ROCPRIM_400000_NS6detail17trampoline_kernelINS0_14default_configENS1_25partition_config_selectorILNS1_17partition_subalgoE9EllbEEZZNS1_14partition_implILS5_9ELb0ES3_jPKlN6thrust23THRUST_200600_302600_NS17counting_iteratorIlNSB_11use_defaultESD_SD_EEPNS0_10empty_typeENS0_5tupleIJPlSF_EEENSH_IJSI_SG_EEENS0_18inequality_wrapperIN6hipcub16HIPCUB_304000_NS8EqualityEEESI_JSF_EEE10hipError_tPvRmT3_T4_T5_T6_T7_T9_mT8_P12ihipStream_tbDpT10_ENKUlT_T0_E_clISt17integral_constantIbLb0EES18_IbLb1EEEEDaS14_S15_EUlS14_E_NS1_11comp_targetILNS1_3genE10ELNS1_11target_archE1200ELNS1_3gpuE4ELNS1_3repE0EEENS1_30default_config_static_selectorELNS0_4arch9wavefront6targetE0EEEvT1_.has_indirect_call, 0
	.section	.AMDGPU.csdata,"",@progbits
; Kernel info:
; codeLenInByte = 0
; TotalNumSgprs: 0
; NumVgprs: 0
; ScratchSize: 0
; MemoryBound: 0
; FloatMode: 240
; IeeeMode: 1
; LDSByteSize: 0 bytes/workgroup (compile time only)
; SGPRBlocks: 0
; VGPRBlocks: 0
; NumSGPRsForWavesPerEU: 1
; NumVGPRsForWavesPerEU: 1
; NamedBarCnt: 0
; Occupancy: 16
; WaveLimiterHint : 0
; COMPUTE_PGM_RSRC2:SCRATCH_EN: 0
; COMPUTE_PGM_RSRC2:USER_SGPR: 2
; COMPUTE_PGM_RSRC2:TRAP_HANDLER: 0
; COMPUTE_PGM_RSRC2:TGID_X_EN: 1
; COMPUTE_PGM_RSRC2:TGID_Y_EN: 0
; COMPUTE_PGM_RSRC2:TGID_Z_EN: 0
; COMPUTE_PGM_RSRC2:TIDIG_COMP_CNT: 0
	.section	.text._ZN7rocprim17ROCPRIM_400000_NS6detail17trampoline_kernelINS0_14default_configENS1_25partition_config_selectorILNS1_17partition_subalgoE9EllbEEZZNS1_14partition_implILS5_9ELb0ES3_jPKlN6thrust23THRUST_200600_302600_NS17counting_iteratorIlNSB_11use_defaultESD_SD_EEPNS0_10empty_typeENS0_5tupleIJPlSF_EEENSH_IJSI_SG_EEENS0_18inequality_wrapperIN6hipcub16HIPCUB_304000_NS8EqualityEEESI_JSF_EEE10hipError_tPvRmT3_T4_T5_T6_T7_T9_mT8_P12ihipStream_tbDpT10_ENKUlT_T0_E_clISt17integral_constantIbLb0EES18_IbLb1EEEEDaS14_S15_EUlS14_E_NS1_11comp_targetILNS1_3genE9ELNS1_11target_archE1100ELNS1_3gpuE3ELNS1_3repE0EEENS1_30default_config_static_selectorELNS0_4arch9wavefront6targetE0EEEvT1_,"axG",@progbits,_ZN7rocprim17ROCPRIM_400000_NS6detail17trampoline_kernelINS0_14default_configENS1_25partition_config_selectorILNS1_17partition_subalgoE9EllbEEZZNS1_14partition_implILS5_9ELb0ES3_jPKlN6thrust23THRUST_200600_302600_NS17counting_iteratorIlNSB_11use_defaultESD_SD_EEPNS0_10empty_typeENS0_5tupleIJPlSF_EEENSH_IJSI_SG_EEENS0_18inequality_wrapperIN6hipcub16HIPCUB_304000_NS8EqualityEEESI_JSF_EEE10hipError_tPvRmT3_T4_T5_T6_T7_T9_mT8_P12ihipStream_tbDpT10_ENKUlT_T0_E_clISt17integral_constantIbLb0EES18_IbLb1EEEEDaS14_S15_EUlS14_E_NS1_11comp_targetILNS1_3genE9ELNS1_11target_archE1100ELNS1_3gpuE3ELNS1_3repE0EEENS1_30default_config_static_selectorELNS0_4arch9wavefront6targetE0EEEvT1_,comdat
	.protected	_ZN7rocprim17ROCPRIM_400000_NS6detail17trampoline_kernelINS0_14default_configENS1_25partition_config_selectorILNS1_17partition_subalgoE9EllbEEZZNS1_14partition_implILS5_9ELb0ES3_jPKlN6thrust23THRUST_200600_302600_NS17counting_iteratorIlNSB_11use_defaultESD_SD_EEPNS0_10empty_typeENS0_5tupleIJPlSF_EEENSH_IJSI_SG_EEENS0_18inequality_wrapperIN6hipcub16HIPCUB_304000_NS8EqualityEEESI_JSF_EEE10hipError_tPvRmT3_T4_T5_T6_T7_T9_mT8_P12ihipStream_tbDpT10_ENKUlT_T0_E_clISt17integral_constantIbLb0EES18_IbLb1EEEEDaS14_S15_EUlS14_E_NS1_11comp_targetILNS1_3genE9ELNS1_11target_archE1100ELNS1_3gpuE3ELNS1_3repE0EEENS1_30default_config_static_selectorELNS0_4arch9wavefront6targetE0EEEvT1_ ; -- Begin function _ZN7rocprim17ROCPRIM_400000_NS6detail17trampoline_kernelINS0_14default_configENS1_25partition_config_selectorILNS1_17partition_subalgoE9EllbEEZZNS1_14partition_implILS5_9ELb0ES3_jPKlN6thrust23THRUST_200600_302600_NS17counting_iteratorIlNSB_11use_defaultESD_SD_EEPNS0_10empty_typeENS0_5tupleIJPlSF_EEENSH_IJSI_SG_EEENS0_18inequality_wrapperIN6hipcub16HIPCUB_304000_NS8EqualityEEESI_JSF_EEE10hipError_tPvRmT3_T4_T5_T6_T7_T9_mT8_P12ihipStream_tbDpT10_ENKUlT_T0_E_clISt17integral_constantIbLb0EES18_IbLb1EEEEDaS14_S15_EUlS14_E_NS1_11comp_targetILNS1_3genE9ELNS1_11target_archE1100ELNS1_3gpuE3ELNS1_3repE0EEENS1_30default_config_static_selectorELNS0_4arch9wavefront6targetE0EEEvT1_
	.globl	_ZN7rocprim17ROCPRIM_400000_NS6detail17trampoline_kernelINS0_14default_configENS1_25partition_config_selectorILNS1_17partition_subalgoE9EllbEEZZNS1_14partition_implILS5_9ELb0ES3_jPKlN6thrust23THRUST_200600_302600_NS17counting_iteratorIlNSB_11use_defaultESD_SD_EEPNS0_10empty_typeENS0_5tupleIJPlSF_EEENSH_IJSI_SG_EEENS0_18inequality_wrapperIN6hipcub16HIPCUB_304000_NS8EqualityEEESI_JSF_EEE10hipError_tPvRmT3_T4_T5_T6_T7_T9_mT8_P12ihipStream_tbDpT10_ENKUlT_T0_E_clISt17integral_constantIbLb0EES18_IbLb1EEEEDaS14_S15_EUlS14_E_NS1_11comp_targetILNS1_3genE9ELNS1_11target_archE1100ELNS1_3gpuE3ELNS1_3repE0EEENS1_30default_config_static_selectorELNS0_4arch9wavefront6targetE0EEEvT1_
	.p2align	8
	.type	_ZN7rocprim17ROCPRIM_400000_NS6detail17trampoline_kernelINS0_14default_configENS1_25partition_config_selectorILNS1_17partition_subalgoE9EllbEEZZNS1_14partition_implILS5_9ELb0ES3_jPKlN6thrust23THRUST_200600_302600_NS17counting_iteratorIlNSB_11use_defaultESD_SD_EEPNS0_10empty_typeENS0_5tupleIJPlSF_EEENSH_IJSI_SG_EEENS0_18inequality_wrapperIN6hipcub16HIPCUB_304000_NS8EqualityEEESI_JSF_EEE10hipError_tPvRmT3_T4_T5_T6_T7_T9_mT8_P12ihipStream_tbDpT10_ENKUlT_T0_E_clISt17integral_constantIbLb0EES18_IbLb1EEEEDaS14_S15_EUlS14_E_NS1_11comp_targetILNS1_3genE9ELNS1_11target_archE1100ELNS1_3gpuE3ELNS1_3repE0EEENS1_30default_config_static_selectorELNS0_4arch9wavefront6targetE0EEEvT1_,@function
_ZN7rocprim17ROCPRIM_400000_NS6detail17trampoline_kernelINS0_14default_configENS1_25partition_config_selectorILNS1_17partition_subalgoE9EllbEEZZNS1_14partition_implILS5_9ELb0ES3_jPKlN6thrust23THRUST_200600_302600_NS17counting_iteratorIlNSB_11use_defaultESD_SD_EEPNS0_10empty_typeENS0_5tupleIJPlSF_EEENSH_IJSI_SG_EEENS0_18inequality_wrapperIN6hipcub16HIPCUB_304000_NS8EqualityEEESI_JSF_EEE10hipError_tPvRmT3_T4_T5_T6_T7_T9_mT8_P12ihipStream_tbDpT10_ENKUlT_T0_E_clISt17integral_constantIbLb0EES18_IbLb1EEEEDaS14_S15_EUlS14_E_NS1_11comp_targetILNS1_3genE9ELNS1_11target_archE1100ELNS1_3gpuE3ELNS1_3repE0EEENS1_30default_config_static_selectorELNS0_4arch9wavefront6targetE0EEEvT1_: ; @_ZN7rocprim17ROCPRIM_400000_NS6detail17trampoline_kernelINS0_14default_configENS1_25partition_config_selectorILNS1_17partition_subalgoE9EllbEEZZNS1_14partition_implILS5_9ELb0ES3_jPKlN6thrust23THRUST_200600_302600_NS17counting_iteratorIlNSB_11use_defaultESD_SD_EEPNS0_10empty_typeENS0_5tupleIJPlSF_EEENSH_IJSI_SG_EEENS0_18inequality_wrapperIN6hipcub16HIPCUB_304000_NS8EqualityEEESI_JSF_EEE10hipError_tPvRmT3_T4_T5_T6_T7_T9_mT8_P12ihipStream_tbDpT10_ENKUlT_T0_E_clISt17integral_constantIbLb0EES18_IbLb1EEEEDaS14_S15_EUlS14_E_NS1_11comp_targetILNS1_3genE9ELNS1_11target_archE1100ELNS1_3gpuE3ELNS1_3repE0EEENS1_30default_config_static_selectorELNS0_4arch9wavefront6targetE0EEEvT1_
; %bb.0:
	.section	.rodata,"a",@progbits
	.p2align	6, 0x0
	.amdhsa_kernel _ZN7rocprim17ROCPRIM_400000_NS6detail17trampoline_kernelINS0_14default_configENS1_25partition_config_selectorILNS1_17partition_subalgoE9EllbEEZZNS1_14partition_implILS5_9ELb0ES3_jPKlN6thrust23THRUST_200600_302600_NS17counting_iteratorIlNSB_11use_defaultESD_SD_EEPNS0_10empty_typeENS0_5tupleIJPlSF_EEENSH_IJSI_SG_EEENS0_18inequality_wrapperIN6hipcub16HIPCUB_304000_NS8EqualityEEESI_JSF_EEE10hipError_tPvRmT3_T4_T5_T6_T7_T9_mT8_P12ihipStream_tbDpT10_ENKUlT_T0_E_clISt17integral_constantIbLb0EES18_IbLb1EEEEDaS14_S15_EUlS14_E_NS1_11comp_targetILNS1_3genE9ELNS1_11target_archE1100ELNS1_3gpuE3ELNS1_3repE0EEENS1_30default_config_static_selectorELNS0_4arch9wavefront6targetE0EEEvT1_
		.amdhsa_group_segment_fixed_size 0
		.amdhsa_private_segment_fixed_size 0
		.amdhsa_kernarg_size 128
		.amdhsa_user_sgpr_count 2
		.amdhsa_user_sgpr_dispatch_ptr 0
		.amdhsa_user_sgpr_queue_ptr 0
		.amdhsa_user_sgpr_kernarg_segment_ptr 1
		.amdhsa_user_sgpr_dispatch_id 0
		.amdhsa_user_sgpr_kernarg_preload_length 0
		.amdhsa_user_sgpr_kernarg_preload_offset 0
		.amdhsa_user_sgpr_private_segment_size 0
		.amdhsa_wavefront_size32 1
		.amdhsa_uses_dynamic_stack 0
		.amdhsa_enable_private_segment 0
		.amdhsa_system_sgpr_workgroup_id_x 1
		.amdhsa_system_sgpr_workgroup_id_y 0
		.amdhsa_system_sgpr_workgroup_id_z 0
		.amdhsa_system_sgpr_workgroup_info 0
		.amdhsa_system_vgpr_workitem_id 0
		.amdhsa_next_free_vgpr 1
		.amdhsa_next_free_sgpr 1
		.amdhsa_named_barrier_count 0
		.amdhsa_reserve_vcc 0
		.amdhsa_float_round_mode_32 0
		.amdhsa_float_round_mode_16_64 0
		.amdhsa_float_denorm_mode_32 3
		.amdhsa_float_denorm_mode_16_64 3
		.amdhsa_fp16_overflow 0
		.amdhsa_memory_ordered 1
		.amdhsa_forward_progress 1
		.amdhsa_inst_pref_size 0
		.amdhsa_round_robin_scheduling 0
		.amdhsa_exception_fp_ieee_invalid_op 0
		.amdhsa_exception_fp_denorm_src 0
		.amdhsa_exception_fp_ieee_div_zero 0
		.amdhsa_exception_fp_ieee_overflow 0
		.amdhsa_exception_fp_ieee_underflow 0
		.amdhsa_exception_fp_ieee_inexact 0
		.amdhsa_exception_int_div_zero 0
	.end_amdhsa_kernel
	.section	.text._ZN7rocprim17ROCPRIM_400000_NS6detail17trampoline_kernelINS0_14default_configENS1_25partition_config_selectorILNS1_17partition_subalgoE9EllbEEZZNS1_14partition_implILS5_9ELb0ES3_jPKlN6thrust23THRUST_200600_302600_NS17counting_iteratorIlNSB_11use_defaultESD_SD_EEPNS0_10empty_typeENS0_5tupleIJPlSF_EEENSH_IJSI_SG_EEENS0_18inequality_wrapperIN6hipcub16HIPCUB_304000_NS8EqualityEEESI_JSF_EEE10hipError_tPvRmT3_T4_T5_T6_T7_T9_mT8_P12ihipStream_tbDpT10_ENKUlT_T0_E_clISt17integral_constantIbLb0EES18_IbLb1EEEEDaS14_S15_EUlS14_E_NS1_11comp_targetILNS1_3genE9ELNS1_11target_archE1100ELNS1_3gpuE3ELNS1_3repE0EEENS1_30default_config_static_selectorELNS0_4arch9wavefront6targetE0EEEvT1_,"axG",@progbits,_ZN7rocprim17ROCPRIM_400000_NS6detail17trampoline_kernelINS0_14default_configENS1_25partition_config_selectorILNS1_17partition_subalgoE9EllbEEZZNS1_14partition_implILS5_9ELb0ES3_jPKlN6thrust23THRUST_200600_302600_NS17counting_iteratorIlNSB_11use_defaultESD_SD_EEPNS0_10empty_typeENS0_5tupleIJPlSF_EEENSH_IJSI_SG_EEENS0_18inequality_wrapperIN6hipcub16HIPCUB_304000_NS8EqualityEEESI_JSF_EEE10hipError_tPvRmT3_T4_T5_T6_T7_T9_mT8_P12ihipStream_tbDpT10_ENKUlT_T0_E_clISt17integral_constantIbLb0EES18_IbLb1EEEEDaS14_S15_EUlS14_E_NS1_11comp_targetILNS1_3genE9ELNS1_11target_archE1100ELNS1_3gpuE3ELNS1_3repE0EEENS1_30default_config_static_selectorELNS0_4arch9wavefront6targetE0EEEvT1_,comdat
.Lfunc_end74:
	.size	_ZN7rocprim17ROCPRIM_400000_NS6detail17trampoline_kernelINS0_14default_configENS1_25partition_config_selectorILNS1_17partition_subalgoE9EllbEEZZNS1_14partition_implILS5_9ELb0ES3_jPKlN6thrust23THRUST_200600_302600_NS17counting_iteratorIlNSB_11use_defaultESD_SD_EEPNS0_10empty_typeENS0_5tupleIJPlSF_EEENSH_IJSI_SG_EEENS0_18inequality_wrapperIN6hipcub16HIPCUB_304000_NS8EqualityEEESI_JSF_EEE10hipError_tPvRmT3_T4_T5_T6_T7_T9_mT8_P12ihipStream_tbDpT10_ENKUlT_T0_E_clISt17integral_constantIbLb0EES18_IbLb1EEEEDaS14_S15_EUlS14_E_NS1_11comp_targetILNS1_3genE9ELNS1_11target_archE1100ELNS1_3gpuE3ELNS1_3repE0EEENS1_30default_config_static_selectorELNS0_4arch9wavefront6targetE0EEEvT1_, .Lfunc_end74-_ZN7rocprim17ROCPRIM_400000_NS6detail17trampoline_kernelINS0_14default_configENS1_25partition_config_selectorILNS1_17partition_subalgoE9EllbEEZZNS1_14partition_implILS5_9ELb0ES3_jPKlN6thrust23THRUST_200600_302600_NS17counting_iteratorIlNSB_11use_defaultESD_SD_EEPNS0_10empty_typeENS0_5tupleIJPlSF_EEENSH_IJSI_SG_EEENS0_18inequality_wrapperIN6hipcub16HIPCUB_304000_NS8EqualityEEESI_JSF_EEE10hipError_tPvRmT3_T4_T5_T6_T7_T9_mT8_P12ihipStream_tbDpT10_ENKUlT_T0_E_clISt17integral_constantIbLb0EES18_IbLb1EEEEDaS14_S15_EUlS14_E_NS1_11comp_targetILNS1_3genE9ELNS1_11target_archE1100ELNS1_3gpuE3ELNS1_3repE0EEENS1_30default_config_static_selectorELNS0_4arch9wavefront6targetE0EEEvT1_
                                        ; -- End function
	.set _ZN7rocprim17ROCPRIM_400000_NS6detail17trampoline_kernelINS0_14default_configENS1_25partition_config_selectorILNS1_17partition_subalgoE9EllbEEZZNS1_14partition_implILS5_9ELb0ES3_jPKlN6thrust23THRUST_200600_302600_NS17counting_iteratorIlNSB_11use_defaultESD_SD_EEPNS0_10empty_typeENS0_5tupleIJPlSF_EEENSH_IJSI_SG_EEENS0_18inequality_wrapperIN6hipcub16HIPCUB_304000_NS8EqualityEEESI_JSF_EEE10hipError_tPvRmT3_T4_T5_T6_T7_T9_mT8_P12ihipStream_tbDpT10_ENKUlT_T0_E_clISt17integral_constantIbLb0EES18_IbLb1EEEEDaS14_S15_EUlS14_E_NS1_11comp_targetILNS1_3genE9ELNS1_11target_archE1100ELNS1_3gpuE3ELNS1_3repE0EEENS1_30default_config_static_selectorELNS0_4arch9wavefront6targetE0EEEvT1_.num_vgpr, 0
	.set _ZN7rocprim17ROCPRIM_400000_NS6detail17trampoline_kernelINS0_14default_configENS1_25partition_config_selectorILNS1_17partition_subalgoE9EllbEEZZNS1_14partition_implILS5_9ELb0ES3_jPKlN6thrust23THRUST_200600_302600_NS17counting_iteratorIlNSB_11use_defaultESD_SD_EEPNS0_10empty_typeENS0_5tupleIJPlSF_EEENSH_IJSI_SG_EEENS0_18inequality_wrapperIN6hipcub16HIPCUB_304000_NS8EqualityEEESI_JSF_EEE10hipError_tPvRmT3_T4_T5_T6_T7_T9_mT8_P12ihipStream_tbDpT10_ENKUlT_T0_E_clISt17integral_constantIbLb0EES18_IbLb1EEEEDaS14_S15_EUlS14_E_NS1_11comp_targetILNS1_3genE9ELNS1_11target_archE1100ELNS1_3gpuE3ELNS1_3repE0EEENS1_30default_config_static_selectorELNS0_4arch9wavefront6targetE0EEEvT1_.num_agpr, 0
	.set _ZN7rocprim17ROCPRIM_400000_NS6detail17trampoline_kernelINS0_14default_configENS1_25partition_config_selectorILNS1_17partition_subalgoE9EllbEEZZNS1_14partition_implILS5_9ELb0ES3_jPKlN6thrust23THRUST_200600_302600_NS17counting_iteratorIlNSB_11use_defaultESD_SD_EEPNS0_10empty_typeENS0_5tupleIJPlSF_EEENSH_IJSI_SG_EEENS0_18inequality_wrapperIN6hipcub16HIPCUB_304000_NS8EqualityEEESI_JSF_EEE10hipError_tPvRmT3_T4_T5_T6_T7_T9_mT8_P12ihipStream_tbDpT10_ENKUlT_T0_E_clISt17integral_constantIbLb0EES18_IbLb1EEEEDaS14_S15_EUlS14_E_NS1_11comp_targetILNS1_3genE9ELNS1_11target_archE1100ELNS1_3gpuE3ELNS1_3repE0EEENS1_30default_config_static_selectorELNS0_4arch9wavefront6targetE0EEEvT1_.numbered_sgpr, 0
	.set _ZN7rocprim17ROCPRIM_400000_NS6detail17trampoline_kernelINS0_14default_configENS1_25partition_config_selectorILNS1_17partition_subalgoE9EllbEEZZNS1_14partition_implILS5_9ELb0ES3_jPKlN6thrust23THRUST_200600_302600_NS17counting_iteratorIlNSB_11use_defaultESD_SD_EEPNS0_10empty_typeENS0_5tupleIJPlSF_EEENSH_IJSI_SG_EEENS0_18inequality_wrapperIN6hipcub16HIPCUB_304000_NS8EqualityEEESI_JSF_EEE10hipError_tPvRmT3_T4_T5_T6_T7_T9_mT8_P12ihipStream_tbDpT10_ENKUlT_T0_E_clISt17integral_constantIbLb0EES18_IbLb1EEEEDaS14_S15_EUlS14_E_NS1_11comp_targetILNS1_3genE9ELNS1_11target_archE1100ELNS1_3gpuE3ELNS1_3repE0EEENS1_30default_config_static_selectorELNS0_4arch9wavefront6targetE0EEEvT1_.num_named_barrier, 0
	.set _ZN7rocprim17ROCPRIM_400000_NS6detail17trampoline_kernelINS0_14default_configENS1_25partition_config_selectorILNS1_17partition_subalgoE9EllbEEZZNS1_14partition_implILS5_9ELb0ES3_jPKlN6thrust23THRUST_200600_302600_NS17counting_iteratorIlNSB_11use_defaultESD_SD_EEPNS0_10empty_typeENS0_5tupleIJPlSF_EEENSH_IJSI_SG_EEENS0_18inequality_wrapperIN6hipcub16HIPCUB_304000_NS8EqualityEEESI_JSF_EEE10hipError_tPvRmT3_T4_T5_T6_T7_T9_mT8_P12ihipStream_tbDpT10_ENKUlT_T0_E_clISt17integral_constantIbLb0EES18_IbLb1EEEEDaS14_S15_EUlS14_E_NS1_11comp_targetILNS1_3genE9ELNS1_11target_archE1100ELNS1_3gpuE3ELNS1_3repE0EEENS1_30default_config_static_selectorELNS0_4arch9wavefront6targetE0EEEvT1_.private_seg_size, 0
	.set _ZN7rocprim17ROCPRIM_400000_NS6detail17trampoline_kernelINS0_14default_configENS1_25partition_config_selectorILNS1_17partition_subalgoE9EllbEEZZNS1_14partition_implILS5_9ELb0ES3_jPKlN6thrust23THRUST_200600_302600_NS17counting_iteratorIlNSB_11use_defaultESD_SD_EEPNS0_10empty_typeENS0_5tupleIJPlSF_EEENSH_IJSI_SG_EEENS0_18inequality_wrapperIN6hipcub16HIPCUB_304000_NS8EqualityEEESI_JSF_EEE10hipError_tPvRmT3_T4_T5_T6_T7_T9_mT8_P12ihipStream_tbDpT10_ENKUlT_T0_E_clISt17integral_constantIbLb0EES18_IbLb1EEEEDaS14_S15_EUlS14_E_NS1_11comp_targetILNS1_3genE9ELNS1_11target_archE1100ELNS1_3gpuE3ELNS1_3repE0EEENS1_30default_config_static_selectorELNS0_4arch9wavefront6targetE0EEEvT1_.uses_vcc, 0
	.set _ZN7rocprim17ROCPRIM_400000_NS6detail17trampoline_kernelINS0_14default_configENS1_25partition_config_selectorILNS1_17partition_subalgoE9EllbEEZZNS1_14partition_implILS5_9ELb0ES3_jPKlN6thrust23THRUST_200600_302600_NS17counting_iteratorIlNSB_11use_defaultESD_SD_EEPNS0_10empty_typeENS0_5tupleIJPlSF_EEENSH_IJSI_SG_EEENS0_18inequality_wrapperIN6hipcub16HIPCUB_304000_NS8EqualityEEESI_JSF_EEE10hipError_tPvRmT3_T4_T5_T6_T7_T9_mT8_P12ihipStream_tbDpT10_ENKUlT_T0_E_clISt17integral_constantIbLb0EES18_IbLb1EEEEDaS14_S15_EUlS14_E_NS1_11comp_targetILNS1_3genE9ELNS1_11target_archE1100ELNS1_3gpuE3ELNS1_3repE0EEENS1_30default_config_static_selectorELNS0_4arch9wavefront6targetE0EEEvT1_.uses_flat_scratch, 0
	.set _ZN7rocprim17ROCPRIM_400000_NS6detail17trampoline_kernelINS0_14default_configENS1_25partition_config_selectorILNS1_17partition_subalgoE9EllbEEZZNS1_14partition_implILS5_9ELb0ES3_jPKlN6thrust23THRUST_200600_302600_NS17counting_iteratorIlNSB_11use_defaultESD_SD_EEPNS0_10empty_typeENS0_5tupleIJPlSF_EEENSH_IJSI_SG_EEENS0_18inequality_wrapperIN6hipcub16HIPCUB_304000_NS8EqualityEEESI_JSF_EEE10hipError_tPvRmT3_T4_T5_T6_T7_T9_mT8_P12ihipStream_tbDpT10_ENKUlT_T0_E_clISt17integral_constantIbLb0EES18_IbLb1EEEEDaS14_S15_EUlS14_E_NS1_11comp_targetILNS1_3genE9ELNS1_11target_archE1100ELNS1_3gpuE3ELNS1_3repE0EEENS1_30default_config_static_selectorELNS0_4arch9wavefront6targetE0EEEvT1_.has_dyn_sized_stack, 0
	.set _ZN7rocprim17ROCPRIM_400000_NS6detail17trampoline_kernelINS0_14default_configENS1_25partition_config_selectorILNS1_17partition_subalgoE9EllbEEZZNS1_14partition_implILS5_9ELb0ES3_jPKlN6thrust23THRUST_200600_302600_NS17counting_iteratorIlNSB_11use_defaultESD_SD_EEPNS0_10empty_typeENS0_5tupleIJPlSF_EEENSH_IJSI_SG_EEENS0_18inequality_wrapperIN6hipcub16HIPCUB_304000_NS8EqualityEEESI_JSF_EEE10hipError_tPvRmT3_T4_T5_T6_T7_T9_mT8_P12ihipStream_tbDpT10_ENKUlT_T0_E_clISt17integral_constantIbLb0EES18_IbLb1EEEEDaS14_S15_EUlS14_E_NS1_11comp_targetILNS1_3genE9ELNS1_11target_archE1100ELNS1_3gpuE3ELNS1_3repE0EEENS1_30default_config_static_selectorELNS0_4arch9wavefront6targetE0EEEvT1_.has_recursion, 0
	.set _ZN7rocprim17ROCPRIM_400000_NS6detail17trampoline_kernelINS0_14default_configENS1_25partition_config_selectorILNS1_17partition_subalgoE9EllbEEZZNS1_14partition_implILS5_9ELb0ES3_jPKlN6thrust23THRUST_200600_302600_NS17counting_iteratorIlNSB_11use_defaultESD_SD_EEPNS0_10empty_typeENS0_5tupleIJPlSF_EEENSH_IJSI_SG_EEENS0_18inequality_wrapperIN6hipcub16HIPCUB_304000_NS8EqualityEEESI_JSF_EEE10hipError_tPvRmT3_T4_T5_T6_T7_T9_mT8_P12ihipStream_tbDpT10_ENKUlT_T0_E_clISt17integral_constantIbLb0EES18_IbLb1EEEEDaS14_S15_EUlS14_E_NS1_11comp_targetILNS1_3genE9ELNS1_11target_archE1100ELNS1_3gpuE3ELNS1_3repE0EEENS1_30default_config_static_selectorELNS0_4arch9wavefront6targetE0EEEvT1_.has_indirect_call, 0
	.section	.AMDGPU.csdata,"",@progbits
; Kernel info:
; codeLenInByte = 0
; TotalNumSgprs: 0
; NumVgprs: 0
; ScratchSize: 0
; MemoryBound: 0
; FloatMode: 240
; IeeeMode: 1
; LDSByteSize: 0 bytes/workgroup (compile time only)
; SGPRBlocks: 0
; VGPRBlocks: 0
; NumSGPRsForWavesPerEU: 1
; NumVGPRsForWavesPerEU: 1
; NamedBarCnt: 0
; Occupancy: 16
; WaveLimiterHint : 0
; COMPUTE_PGM_RSRC2:SCRATCH_EN: 0
; COMPUTE_PGM_RSRC2:USER_SGPR: 2
; COMPUTE_PGM_RSRC2:TRAP_HANDLER: 0
; COMPUTE_PGM_RSRC2:TGID_X_EN: 1
; COMPUTE_PGM_RSRC2:TGID_Y_EN: 0
; COMPUTE_PGM_RSRC2:TGID_Z_EN: 0
; COMPUTE_PGM_RSRC2:TIDIG_COMP_CNT: 0
	.section	.text._ZN7rocprim17ROCPRIM_400000_NS6detail17trampoline_kernelINS0_14default_configENS1_25partition_config_selectorILNS1_17partition_subalgoE9EllbEEZZNS1_14partition_implILS5_9ELb0ES3_jPKlN6thrust23THRUST_200600_302600_NS17counting_iteratorIlNSB_11use_defaultESD_SD_EEPNS0_10empty_typeENS0_5tupleIJPlSF_EEENSH_IJSI_SG_EEENS0_18inequality_wrapperIN6hipcub16HIPCUB_304000_NS8EqualityEEESI_JSF_EEE10hipError_tPvRmT3_T4_T5_T6_T7_T9_mT8_P12ihipStream_tbDpT10_ENKUlT_T0_E_clISt17integral_constantIbLb0EES18_IbLb1EEEEDaS14_S15_EUlS14_E_NS1_11comp_targetILNS1_3genE8ELNS1_11target_archE1030ELNS1_3gpuE2ELNS1_3repE0EEENS1_30default_config_static_selectorELNS0_4arch9wavefront6targetE0EEEvT1_,"axG",@progbits,_ZN7rocprim17ROCPRIM_400000_NS6detail17trampoline_kernelINS0_14default_configENS1_25partition_config_selectorILNS1_17partition_subalgoE9EllbEEZZNS1_14partition_implILS5_9ELb0ES3_jPKlN6thrust23THRUST_200600_302600_NS17counting_iteratorIlNSB_11use_defaultESD_SD_EEPNS0_10empty_typeENS0_5tupleIJPlSF_EEENSH_IJSI_SG_EEENS0_18inequality_wrapperIN6hipcub16HIPCUB_304000_NS8EqualityEEESI_JSF_EEE10hipError_tPvRmT3_T4_T5_T6_T7_T9_mT8_P12ihipStream_tbDpT10_ENKUlT_T0_E_clISt17integral_constantIbLb0EES18_IbLb1EEEEDaS14_S15_EUlS14_E_NS1_11comp_targetILNS1_3genE8ELNS1_11target_archE1030ELNS1_3gpuE2ELNS1_3repE0EEENS1_30default_config_static_selectorELNS0_4arch9wavefront6targetE0EEEvT1_,comdat
	.protected	_ZN7rocprim17ROCPRIM_400000_NS6detail17trampoline_kernelINS0_14default_configENS1_25partition_config_selectorILNS1_17partition_subalgoE9EllbEEZZNS1_14partition_implILS5_9ELb0ES3_jPKlN6thrust23THRUST_200600_302600_NS17counting_iteratorIlNSB_11use_defaultESD_SD_EEPNS0_10empty_typeENS0_5tupleIJPlSF_EEENSH_IJSI_SG_EEENS0_18inequality_wrapperIN6hipcub16HIPCUB_304000_NS8EqualityEEESI_JSF_EEE10hipError_tPvRmT3_T4_T5_T6_T7_T9_mT8_P12ihipStream_tbDpT10_ENKUlT_T0_E_clISt17integral_constantIbLb0EES18_IbLb1EEEEDaS14_S15_EUlS14_E_NS1_11comp_targetILNS1_3genE8ELNS1_11target_archE1030ELNS1_3gpuE2ELNS1_3repE0EEENS1_30default_config_static_selectorELNS0_4arch9wavefront6targetE0EEEvT1_ ; -- Begin function _ZN7rocprim17ROCPRIM_400000_NS6detail17trampoline_kernelINS0_14default_configENS1_25partition_config_selectorILNS1_17partition_subalgoE9EllbEEZZNS1_14partition_implILS5_9ELb0ES3_jPKlN6thrust23THRUST_200600_302600_NS17counting_iteratorIlNSB_11use_defaultESD_SD_EEPNS0_10empty_typeENS0_5tupleIJPlSF_EEENSH_IJSI_SG_EEENS0_18inequality_wrapperIN6hipcub16HIPCUB_304000_NS8EqualityEEESI_JSF_EEE10hipError_tPvRmT3_T4_T5_T6_T7_T9_mT8_P12ihipStream_tbDpT10_ENKUlT_T0_E_clISt17integral_constantIbLb0EES18_IbLb1EEEEDaS14_S15_EUlS14_E_NS1_11comp_targetILNS1_3genE8ELNS1_11target_archE1030ELNS1_3gpuE2ELNS1_3repE0EEENS1_30default_config_static_selectorELNS0_4arch9wavefront6targetE0EEEvT1_
	.globl	_ZN7rocprim17ROCPRIM_400000_NS6detail17trampoline_kernelINS0_14default_configENS1_25partition_config_selectorILNS1_17partition_subalgoE9EllbEEZZNS1_14partition_implILS5_9ELb0ES3_jPKlN6thrust23THRUST_200600_302600_NS17counting_iteratorIlNSB_11use_defaultESD_SD_EEPNS0_10empty_typeENS0_5tupleIJPlSF_EEENSH_IJSI_SG_EEENS0_18inequality_wrapperIN6hipcub16HIPCUB_304000_NS8EqualityEEESI_JSF_EEE10hipError_tPvRmT3_T4_T5_T6_T7_T9_mT8_P12ihipStream_tbDpT10_ENKUlT_T0_E_clISt17integral_constantIbLb0EES18_IbLb1EEEEDaS14_S15_EUlS14_E_NS1_11comp_targetILNS1_3genE8ELNS1_11target_archE1030ELNS1_3gpuE2ELNS1_3repE0EEENS1_30default_config_static_selectorELNS0_4arch9wavefront6targetE0EEEvT1_
	.p2align	8
	.type	_ZN7rocprim17ROCPRIM_400000_NS6detail17trampoline_kernelINS0_14default_configENS1_25partition_config_selectorILNS1_17partition_subalgoE9EllbEEZZNS1_14partition_implILS5_9ELb0ES3_jPKlN6thrust23THRUST_200600_302600_NS17counting_iteratorIlNSB_11use_defaultESD_SD_EEPNS0_10empty_typeENS0_5tupleIJPlSF_EEENSH_IJSI_SG_EEENS0_18inequality_wrapperIN6hipcub16HIPCUB_304000_NS8EqualityEEESI_JSF_EEE10hipError_tPvRmT3_T4_T5_T6_T7_T9_mT8_P12ihipStream_tbDpT10_ENKUlT_T0_E_clISt17integral_constantIbLb0EES18_IbLb1EEEEDaS14_S15_EUlS14_E_NS1_11comp_targetILNS1_3genE8ELNS1_11target_archE1030ELNS1_3gpuE2ELNS1_3repE0EEENS1_30default_config_static_selectorELNS0_4arch9wavefront6targetE0EEEvT1_,@function
_ZN7rocprim17ROCPRIM_400000_NS6detail17trampoline_kernelINS0_14default_configENS1_25partition_config_selectorILNS1_17partition_subalgoE9EllbEEZZNS1_14partition_implILS5_9ELb0ES3_jPKlN6thrust23THRUST_200600_302600_NS17counting_iteratorIlNSB_11use_defaultESD_SD_EEPNS0_10empty_typeENS0_5tupleIJPlSF_EEENSH_IJSI_SG_EEENS0_18inequality_wrapperIN6hipcub16HIPCUB_304000_NS8EqualityEEESI_JSF_EEE10hipError_tPvRmT3_T4_T5_T6_T7_T9_mT8_P12ihipStream_tbDpT10_ENKUlT_T0_E_clISt17integral_constantIbLb0EES18_IbLb1EEEEDaS14_S15_EUlS14_E_NS1_11comp_targetILNS1_3genE8ELNS1_11target_archE1030ELNS1_3gpuE2ELNS1_3repE0EEENS1_30default_config_static_selectorELNS0_4arch9wavefront6targetE0EEEvT1_: ; @_ZN7rocprim17ROCPRIM_400000_NS6detail17trampoline_kernelINS0_14default_configENS1_25partition_config_selectorILNS1_17partition_subalgoE9EllbEEZZNS1_14partition_implILS5_9ELb0ES3_jPKlN6thrust23THRUST_200600_302600_NS17counting_iteratorIlNSB_11use_defaultESD_SD_EEPNS0_10empty_typeENS0_5tupleIJPlSF_EEENSH_IJSI_SG_EEENS0_18inequality_wrapperIN6hipcub16HIPCUB_304000_NS8EqualityEEESI_JSF_EEE10hipError_tPvRmT3_T4_T5_T6_T7_T9_mT8_P12ihipStream_tbDpT10_ENKUlT_T0_E_clISt17integral_constantIbLb0EES18_IbLb1EEEEDaS14_S15_EUlS14_E_NS1_11comp_targetILNS1_3genE8ELNS1_11target_archE1030ELNS1_3gpuE2ELNS1_3repE0EEENS1_30default_config_static_selectorELNS0_4arch9wavefront6targetE0EEEvT1_
; %bb.0:
	.section	.rodata,"a",@progbits
	.p2align	6, 0x0
	.amdhsa_kernel _ZN7rocprim17ROCPRIM_400000_NS6detail17trampoline_kernelINS0_14default_configENS1_25partition_config_selectorILNS1_17partition_subalgoE9EllbEEZZNS1_14partition_implILS5_9ELb0ES3_jPKlN6thrust23THRUST_200600_302600_NS17counting_iteratorIlNSB_11use_defaultESD_SD_EEPNS0_10empty_typeENS0_5tupleIJPlSF_EEENSH_IJSI_SG_EEENS0_18inequality_wrapperIN6hipcub16HIPCUB_304000_NS8EqualityEEESI_JSF_EEE10hipError_tPvRmT3_T4_T5_T6_T7_T9_mT8_P12ihipStream_tbDpT10_ENKUlT_T0_E_clISt17integral_constantIbLb0EES18_IbLb1EEEEDaS14_S15_EUlS14_E_NS1_11comp_targetILNS1_3genE8ELNS1_11target_archE1030ELNS1_3gpuE2ELNS1_3repE0EEENS1_30default_config_static_selectorELNS0_4arch9wavefront6targetE0EEEvT1_
		.amdhsa_group_segment_fixed_size 0
		.amdhsa_private_segment_fixed_size 0
		.amdhsa_kernarg_size 128
		.amdhsa_user_sgpr_count 2
		.amdhsa_user_sgpr_dispatch_ptr 0
		.amdhsa_user_sgpr_queue_ptr 0
		.amdhsa_user_sgpr_kernarg_segment_ptr 1
		.amdhsa_user_sgpr_dispatch_id 0
		.amdhsa_user_sgpr_kernarg_preload_length 0
		.amdhsa_user_sgpr_kernarg_preload_offset 0
		.amdhsa_user_sgpr_private_segment_size 0
		.amdhsa_wavefront_size32 1
		.amdhsa_uses_dynamic_stack 0
		.amdhsa_enable_private_segment 0
		.amdhsa_system_sgpr_workgroup_id_x 1
		.amdhsa_system_sgpr_workgroup_id_y 0
		.amdhsa_system_sgpr_workgroup_id_z 0
		.amdhsa_system_sgpr_workgroup_info 0
		.amdhsa_system_vgpr_workitem_id 0
		.amdhsa_next_free_vgpr 1
		.amdhsa_next_free_sgpr 1
		.amdhsa_named_barrier_count 0
		.amdhsa_reserve_vcc 0
		.amdhsa_float_round_mode_32 0
		.amdhsa_float_round_mode_16_64 0
		.amdhsa_float_denorm_mode_32 3
		.amdhsa_float_denorm_mode_16_64 3
		.amdhsa_fp16_overflow 0
		.amdhsa_memory_ordered 1
		.amdhsa_forward_progress 1
		.amdhsa_inst_pref_size 0
		.amdhsa_round_robin_scheduling 0
		.amdhsa_exception_fp_ieee_invalid_op 0
		.amdhsa_exception_fp_denorm_src 0
		.amdhsa_exception_fp_ieee_div_zero 0
		.amdhsa_exception_fp_ieee_overflow 0
		.amdhsa_exception_fp_ieee_underflow 0
		.amdhsa_exception_fp_ieee_inexact 0
		.amdhsa_exception_int_div_zero 0
	.end_amdhsa_kernel
	.section	.text._ZN7rocprim17ROCPRIM_400000_NS6detail17trampoline_kernelINS0_14default_configENS1_25partition_config_selectorILNS1_17partition_subalgoE9EllbEEZZNS1_14partition_implILS5_9ELb0ES3_jPKlN6thrust23THRUST_200600_302600_NS17counting_iteratorIlNSB_11use_defaultESD_SD_EEPNS0_10empty_typeENS0_5tupleIJPlSF_EEENSH_IJSI_SG_EEENS0_18inequality_wrapperIN6hipcub16HIPCUB_304000_NS8EqualityEEESI_JSF_EEE10hipError_tPvRmT3_T4_T5_T6_T7_T9_mT8_P12ihipStream_tbDpT10_ENKUlT_T0_E_clISt17integral_constantIbLb0EES18_IbLb1EEEEDaS14_S15_EUlS14_E_NS1_11comp_targetILNS1_3genE8ELNS1_11target_archE1030ELNS1_3gpuE2ELNS1_3repE0EEENS1_30default_config_static_selectorELNS0_4arch9wavefront6targetE0EEEvT1_,"axG",@progbits,_ZN7rocprim17ROCPRIM_400000_NS6detail17trampoline_kernelINS0_14default_configENS1_25partition_config_selectorILNS1_17partition_subalgoE9EllbEEZZNS1_14partition_implILS5_9ELb0ES3_jPKlN6thrust23THRUST_200600_302600_NS17counting_iteratorIlNSB_11use_defaultESD_SD_EEPNS0_10empty_typeENS0_5tupleIJPlSF_EEENSH_IJSI_SG_EEENS0_18inequality_wrapperIN6hipcub16HIPCUB_304000_NS8EqualityEEESI_JSF_EEE10hipError_tPvRmT3_T4_T5_T6_T7_T9_mT8_P12ihipStream_tbDpT10_ENKUlT_T0_E_clISt17integral_constantIbLb0EES18_IbLb1EEEEDaS14_S15_EUlS14_E_NS1_11comp_targetILNS1_3genE8ELNS1_11target_archE1030ELNS1_3gpuE2ELNS1_3repE0EEENS1_30default_config_static_selectorELNS0_4arch9wavefront6targetE0EEEvT1_,comdat
.Lfunc_end75:
	.size	_ZN7rocprim17ROCPRIM_400000_NS6detail17trampoline_kernelINS0_14default_configENS1_25partition_config_selectorILNS1_17partition_subalgoE9EllbEEZZNS1_14partition_implILS5_9ELb0ES3_jPKlN6thrust23THRUST_200600_302600_NS17counting_iteratorIlNSB_11use_defaultESD_SD_EEPNS0_10empty_typeENS0_5tupleIJPlSF_EEENSH_IJSI_SG_EEENS0_18inequality_wrapperIN6hipcub16HIPCUB_304000_NS8EqualityEEESI_JSF_EEE10hipError_tPvRmT3_T4_T5_T6_T7_T9_mT8_P12ihipStream_tbDpT10_ENKUlT_T0_E_clISt17integral_constantIbLb0EES18_IbLb1EEEEDaS14_S15_EUlS14_E_NS1_11comp_targetILNS1_3genE8ELNS1_11target_archE1030ELNS1_3gpuE2ELNS1_3repE0EEENS1_30default_config_static_selectorELNS0_4arch9wavefront6targetE0EEEvT1_, .Lfunc_end75-_ZN7rocprim17ROCPRIM_400000_NS6detail17trampoline_kernelINS0_14default_configENS1_25partition_config_selectorILNS1_17partition_subalgoE9EllbEEZZNS1_14partition_implILS5_9ELb0ES3_jPKlN6thrust23THRUST_200600_302600_NS17counting_iteratorIlNSB_11use_defaultESD_SD_EEPNS0_10empty_typeENS0_5tupleIJPlSF_EEENSH_IJSI_SG_EEENS0_18inequality_wrapperIN6hipcub16HIPCUB_304000_NS8EqualityEEESI_JSF_EEE10hipError_tPvRmT3_T4_T5_T6_T7_T9_mT8_P12ihipStream_tbDpT10_ENKUlT_T0_E_clISt17integral_constantIbLb0EES18_IbLb1EEEEDaS14_S15_EUlS14_E_NS1_11comp_targetILNS1_3genE8ELNS1_11target_archE1030ELNS1_3gpuE2ELNS1_3repE0EEENS1_30default_config_static_selectorELNS0_4arch9wavefront6targetE0EEEvT1_
                                        ; -- End function
	.set _ZN7rocprim17ROCPRIM_400000_NS6detail17trampoline_kernelINS0_14default_configENS1_25partition_config_selectorILNS1_17partition_subalgoE9EllbEEZZNS1_14partition_implILS5_9ELb0ES3_jPKlN6thrust23THRUST_200600_302600_NS17counting_iteratorIlNSB_11use_defaultESD_SD_EEPNS0_10empty_typeENS0_5tupleIJPlSF_EEENSH_IJSI_SG_EEENS0_18inequality_wrapperIN6hipcub16HIPCUB_304000_NS8EqualityEEESI_JSF_EEE10hipError_tPvRmT3_T4_T5_T6_T7_T9_mT8_P12ihipStream_tbDpT10_ENKUlT_T0_E_clISt17integral_constantIbLb0EES18_IbLb1EEEEDaS14_S15_EUlS14_E_NS1_11comp_targetILNS1_3genE8ELNS1_11target_archE1030ELNS1_3gpuE2ELNS1_3repE0EEENS1_30default_config_static_selectorELNS0_4arch9wavefront6targetE0EEEvT1_.num_vgpr, 0
	.set _ZN7rocprim17ROCPRIM_400000_NS6detail17trampoline_kernelINS0_14default_configENS1_25partition_config_selectorILNS1_17partition_subalgoE9EllbEEZZNS1_14partition_implILS5_9ELb0ES3_jPKlN6thrust23THRUST_200600_302600_NS17counting_iteratorIlNSB_11use_defaultESD_SD_EEPNS0_10empty_typeENS0_5tupleIJPlSF_EEENSH_IJSI_SG_EEENS0_18inequality_wrapperIN6hipcub16HIPCUB_304000_NS8EqualityEEESI_JSF_EEE10hipError_tPvRmT3_T4_T5_T6_T7_T9_mT8_P12ihipStream_tbDpT10_ENKUlT_T0_E_clISt17integral_constantIbLb0EES18_IbLb1EEEEDaS14_S15_EUlS14_E_NS1_11comp_targetILNS1_3genE8ELNS1_11target_archE1030ELNS1_3gpuE2ELNS1_3repE0EEENS1_30default_config_static_selectorELNS0_4arch9wavefront6targetE0EEEvT1_.num_agpr, 0
	.set _ZN7rocprim17ROCPRIM_400000_NS6detail17trampoline_kernelINS0_14default_configENS1_25partition_config_selectorILNS1_17partition_subalgoE9EllbEEZZNS1_14partition_implILS5_9ELb0ES3_jPKlN6thrust23THRUST_200600_302600_NS17counting_iteratorIlNSB_11use_defaultESD_SD_EEPNS0_10empty_typeENS0_5tupleIJPlSF_EEENSH_IJSI_SG_EEENS0_18inequality_wrapperIN6hipcub16HIPCUB_304000_NS8EqualityEEESI_JSF_EEE10hipError_tPvRmT3_T4_T5_T6_T7_T9_mT8_P12ihipStream_tbDpT10_ENKUlT_T0_E_clISt17integral_constantIbLb0EES18_IbLb1EEEEDaS14_S15_EUlS14_E_NS1_11comp_targetILNS1_3genE8ELNS1_11target_archE1030ELNS1_3gpuE2ELNS1_3repE0EEENS1_30default_config_static_selectorELNS0_4arch9wavefront6targetE0EEEvT1_.numbered_sgpr, 0
	.set _ZN7rocprim17ROCPRIM_400000_NS6detail17trampoline_kernelINS0_14default_configENS1_25partition_config_selectorILNS1_17partition_subalgoE9EllbEEZZNS1_14partition_implILS5_9ELb0ES3_jPKlN6thrust23THRUST_200600_302600_NS17counting_iteratorIlNSB_11use_defaultESD_SD_EEPNS0_10empty_typeENS0_5tupleIJPlSF_EEENSH_IJSI_SG_EEENS0_18inequality_wrapperIN6hipcub16HIPCUB_304000_NS8EqualityEEESI_JSF_EEE10hipError_tPvRmT3_T4_T5_T6_T7_T9_mT8_P12ihipStream_tbDpT10_ENKUlT_T0_E_clISt17integral_constantIbLb0EES18_IbLb1EEEEDaS14_S15_EUlS14_E_NS1_11comp_targetILNS1_3genE8ELNS1_11target_archE1030ELNS1_3gpuE2ELNS1_3repE0EEENS1_30default_config_static_selectorELNS0_4arch9wavefront6targetE0EEEvT1_.num_named_barrier, 0
	.set _ZN7rocprim17ROCPRIM_400000_NS6detail17trampoline_kernelINS0_14default_configENS1_25partition_config_selectorILNS1_17partition_subalgoE9EllbEEZZNS1_14partition_implILS5_9ELb0ES3_jPKlN6thrust23THRUST_200600_302600_NS17counting_iteratorIlNSB_11use_defaultESD_SD_EEPNS0_10empty_typeENS0_5tupleIJPlSF_EEENSH_IJSI_SG_EEENS0_18inequality_wrapperIN6hipcub16HIPCUB_304000_NS8EqualityEEESI_JSF_EEE10hipError_tPvRmT3_T4_T5_T6_T7_T9_mT8_P12ihipStream_tbDpT10_ENKUlT_T0_E_clISt17integral_constantIbLb0EES18_IbLb1EEEEDaS14_S15_EUlS14_E_NS1_11comp_targetILNS1_3genE8ELNS1_11target_archE1030ELNS1_3gpuE2ELNS1_3repE0EEENS1_30default_config_static_selectorELNS0_4arch9wavefront6targetE0EEEvT1_.private_seg_size, 0
	.set _ZN7rocprim17ROCPRIM_400000_NS6detail17trampoline_kernelINS0_14default_configENS1_25partition_config_selectorILNS1_17partition_subalgoE9EllbEEZZNS1_14partition_implILS5_9ELb0ES3_jPKlN6thrust23THRUST_200600_302600_NS17counting_iteratorIlNSB_11use_defaultESD_SD_EEPNS0_10empty_typeENS0_5tupleIJPlSF_EEENSH_IJSI_SG_EEENS0_18inequality_wrapperIN6hipcub16HIPCUB_304000_NS8EqualityEEESI_JSF_EEE10hipError_tPvRmT3_T4_T5_T6_T7_T9_mT8_P12ihipStream_tbDpT10_ENKUlT_T0_E_clISt17integral_constantIbLb0EES18_IbLb1EEEEDaS14_S15_EUlS14_E_NS1_11comp_targetILNS1_3genE8ELNS1_11target_archE1030ELNS1_3gpuE2ELNS1_3repE0EEENS1_30default_config_static_selectorELNS0_4arch9wavefront6targetE0EEEvT1_.uses_vcc, 0
	.set _ZN7rocprim17ROCPRIM_400000_NS6detail17trampoline_kernelINS0_14default_configENS1_25partition_config_selectorILNS1_17partition_subalgoE9EllbEEZZNS1_14partition_implILS5_9ELb0ES3_jPKlN6thrust23THRUST_200600_302600_NS17counting_iteratorIlNSB_11use_defaultESD_SD_EEPNS0_10empty_typeENS0_5tupleIJPlSF_EEENSH_IJSI_SG_EEENS0_18inequality_wrapperIN6hipcub16HIPCUB_304000_NS8EqualityEEESI_JSF_EEE10hipError_tPvRmT3_T4_T5_T6_T7_T9_mT8_P12ihipStream_tbDpT10_ENKUlT_T0_E_clISt17integral_constantIbLb0EES18_IbLb1EEEEDaS14_S15_EUlS14_E_NS1_11comp_targetILNS1_3genE8ELNS1_11target_archE1030ELNS1_3gpuE2ELNS1_3repE0EEENS1_30default_config_static_selectorELNS0_4arch9wavefront6targetE0EEEvT1_.uses_flat_scratch, 0
	.set _ZN7rocprim17ROCPRIM_400000_NS6detail17trampoline_kernelINS0_14default_configENS1_25partition_config_selectorILNS1_17partition_subalgoE9EllbEEZZNS1_14partition_implILS5_9ELb0ES3_jPKlN6thrust23THRUST_200600_302600_NS17counting_iteratorIlNSB_11use_defaultESD_SD_EEPNS0_10empty_typeENS0_5tupleIJPlSF_EEENSH_IJSI_SG_EEENS0_18inequality_wrapperIN6hipcub16HIPCUB_304000_NS8EqualityEEESI_JSF_EEE10hipError_tPvRmT3_T4_T5_T6_T7_T9_mT8_P12ihipStream_tbDpT10_ENKUlT_T0_E_clISt17integral_constantIbLb0EES18_IbLb1EEEEDaS14_S15_EUlS14_E_NS1_11comp_targetILNS1_3genE8ELNS1_11target_archE1030ELNS1_3gpuE2ELNS1_3repE0EEENS1_30default_config_static_selectorELNS0_4arch9wavefront6targetE0EEEvT1_.has_dyn_sized_stack, 0
	.set _ZN7rocprim17ROCPRIM_400000_NS6detail17trampoline_kernelINS0_14default_configENS1_25partition_config_selectorILNS1_17partition_subalgoE9EllbEEZZNS1_14partition_implILS5_9ELb0ES3_jPKlN6thrust23THRUST_200600_302600_NS17counting_iteratorIlNSB_11use_defaultESD_SD_EEPNS0_10empty_typeENS0_5tupleIJPlSF_EEENSH_IJSI_SG_EEENS0_18inequality_wrapperIN6hipcub16HIPCUB_304000_NS8EqualityEEESI_JSF_EEE10hipError_tPvRmT3_T4_T5_T6_T7_T9_mT8_P12ihipStream_tbDpT10_ENKUlT_T0_E_clISt17integral_constantIbLb0EES18_IbLb1EEEEDaS14_S15_EUlS14_E_NS1_11comp_targetILNS1_3genE8ELNS1_11target_archE1030ELNS1_3gpuE2ELNS1_3repE0EEENS1_30default_config_static_selectorELNS0_4arch9wavefront6targetE0EEEvT1_.has_recursion, 0
	.set _ZN7rocprim17ROCPRIM_400000_NS6detail17trampoline_kernelINS0_14default_configENS1_25partition_config_selectorILNS1_17partition_subalgoE9EllbEEZZNS1_14partition_implILS5_9ELb0ES3_jPKlN6thrust23THRUST_200600_302600_NS17counting_iteratorIlNSB_11use_defaultESD_SD_EEPNS0_10empty_typeENS0_5tupleIJPlSF_EEENSH_IJSI_SG_EEENS0_18inequality_wrapperIN6hipcub16HIPCUB_304000_NS8EqualityEEESI_JSF_EEE10hipError_tPvRmT3_T4_T5_T6_T7_T9_mT8_P12ihipStream_tbDpT10_ENKUlT_T0_E_clISt17integral_constantIbLb0EES18_IbLb1EEEEDaS14_S15_EUlS14_E_NS1_11comp_targetILNS1_3genE8ELNS1_11target_archE1030ELNS1_3gpuE2ELNS1_3repE0EEENS1_30default_config_static_selectorELNS0_4arch9wavefront6targetE0EEEvT1_.has_indirect_call, 0
	.section	.AMDGPU.csdata,"",@progbits
; Kernel info:
; codeLenInByte = 0
; TotalNumSgprs: 0
; NumVgprs: 0
; ScratchSize: 0
; MemoryBound: 0
; FloatMode: 240
; IeeeMode: 1
; LDSByteSize: 0 bytes/workgroup (compile time only)
; SGPRBlocks: 0
; VGPRBlocks: 0
; NumSGPRsForWavesPerEU: 1
; NumVGPRsForWavesPerEU: 1
; NamedBarCnt: 0
; Occupancy: 16
; WaveLimiterHint : 0
; COMPUTE_PGM_RSRC2:SCRATCH_EN: 0
; COMPUTE_PGM_RSRC2:USER_SGPR: 2
; COMPUTE_PGM_RSRC2:TRAP_HANDLER: 0
; COMPUTE_PGM_RSRC2:TGID_X_EN: 1
; COMPUTE_PGM_RSRC2:TGID_Y_EN: 0
; COMPUTE_PGM_RSRC2:TGID_Z_EN: 0
; COMPUTE_PGM_RSRC2:TIDIG_COMP_CNT: 0
	.section	.text._ZN2at6native12_GLOBAL__N_124krn_partials_per_segmentIiEEvPT_PKS3_PKll,"axG",@progbits,_ZN2at6native12_GLOBAL__N_124krn_partials_per_segmentIiEEvPT_PKS3_PKll,comdat
	.globl	_ZN2at6native12_GLOBAL__N_124krn_partials_per_segmentIiEEvPT_PKS3_PKll ; -- Begin function _ZN2at6native12_GLOBAL__N_124krn_partials_per_segmentIiEEvPT_PKS3_PKll
	.p2align	8
	.type	_ZN2at6native12_GLOBAL__N_124krn_partials_per_segmentIiEEvPT_PKS3_PKll,@function
_ZN2at6native12_GLOBAL__N_124krn_partials_per_segmentIiEEvPT_PKS3_PKll: ; @_ZN2at6native12_GLOBAL__N_124krn_partials_per_segmentIiEEvPT_PKS3_PKll
; %bb.0:
	s_clause 0x1
	s_load_b256 s[4:11], s[0:1], 0x0
	s_load_b32 s2, s[0:1], 0x2c
	s_wait_xcnt 0x0
	s_bfe_u32 s0, ttmp6, 0x4000c
	s_and_b32 s3, ttmp6, 15
	s_add_co_i32 s0, s0, 1
	s_getreg_b32 s12, hwreg(HW_REG_IB_STS2, 6, 4)
	s_mul_i32 s13, ttmp9, s0
	s_delay_alu instid0(SALU_CYCLE_1)
	s_add_co_i32 s3, s3, s13
	s_wait_kmcnt 0x0
	s_load_b64 s[0:1], s[8:9], 0x0
	s_and_b32 s2, s2, 0xffff
	s_cmp_eq_u32 s12, 0
	s_cselect_b32 s3, ttmp9, s3
	s_delay_alu instid0(SALU_CYCLE_1) | instskip(SKIP_1) | instid1(VALU_DEP_1)
	v_mad_u32 v0, s3, s2, v0
	s_mov_b32 s2, exec_lo
	v_ashrrev_i32_e32 v1, 31, v0
	s_wait_kmcnt 0x0
	s_delay_alu instid0(VALU_DEP_1)
	v_cmpx_gt_i64_e64 s[0:1], v[0:1]
	s_cbranch_execz .LBB76_4
; %bb.1:
	v_lshl_add_u64 v[6:7], v[0:1], 2, s[6:7]
	s_add_nc_u64 s[0:1], s[0:1], -1
	v_mov_b64_e32 v[4:5], s[10:11]
	v_cmp_ne_u64_e32 vcc_lo, s[0:1], v[0:1]
	global_load_b32 v2, v[6:7], off
	s_wait_xcnt 0x0
	s_and_saveexec_b32 s0, vcc_lo
	s_cbranch_execz .LBB76_3
; %bb.2:
	global_load_b32 v4, v[6:7], off offset:4
	s_wait_loadcnt 0x0
	v_ashrrev_i32_e32 v5, 31, v4
.LBB76_3:
	s_or_b32 exec_lo, exec_lo, s0
	s_wait_loadcnt 0x0
	v_ashrrev_i32_e32 v3, 31, v2
	v_lshl_add_u64 v[0:1], v[0:1], 2, s[4:5]
	s_delay_alu instid0(VALU_DEP_2) | instskip(SKIP_1) | instid1(VALU_DEP_1)
	v_sub_nc_u64_e32 v[2:3], v[4:5], v[2:3]
	v_mov_b32_e32 v5, 0
	v_mov_b32_e32 v9, v5
	s_delay_alu instid0(VALU_DEP_3) | instskip(NEXT) | instid1(VALU_DEP_1)
	v_add_nc_u64_e32 v[2:3], 9, v[2:3]
	v_mov_b32_e32 v4, v2
	s_delay_alu instid0(VALU_DEP_1) | instskip(NEXT) | instid1(VALU_DEP_1)
	v_mul_u64_e32 v[6:7], 0x66666667, v[4:5]
	v_mov_b32_e32 v4, v7
	s_delay_alu instid0(VALU_DEP_1) | instskip(NEXT) | instid1(VALU_DEP_1)
	v_mad_nc_u64_u32 v[6:7], 0x66666667, v3, v[4:5]
	v_dual_mov_b32 v4, v7 :: v_dual_mov_b32 v7, v5
	s_delay_alu instid0(VALU_DEP_1) | instskip(NEXT) | instid1(VALU_DEP_1)
	v_mad_nc_u64_u32 v[6:7], 0x66666666, v2, v[6:7]
	v_dual_ashrrev_i32 v6, 31, v3 :: v_dual_mov_b32 v8, v7
	s_delay_alu instid0(VALU_DEP_1) | instskip(NEXT) | instid1(VALU_DEP_1)
	v_add_nc_u64_e32 v[4:5], v[4:5], v[8:9]
	v_mad_nc_u64_u32 v[4:5], 0x66666666, v3, v[4:5]
	s_delay_alu instid0(VALU_DEP_1) | instskip(NEXT) | instid1(VALU_DEP_1)
	v_mad_nc_u64_u32 v[2:3], 0x66666667, v6, v[4:5]
	v_mad_u32 v3, 0x66666667, v6, v3
	s_delay_alu instid0(VALU_DEP_1) | instskip(NEXT) | instid1(VALU_DEP_1)
	v_mad_u32 v3, 0x66666666, v6, v3
	v_alignbit_b32 v2, v3, v2, 2
	v_lshrrev_b32_e32 v3, 31, v3
	s_delay_alu instid0(VALU_DEP_1)
	v_add_nc_u32_e32 v2, v2, v3
	global_store_b32 v[0:1], v2, off
.LBB76_4:
	s_endpgm
	.section	.rodata,"a",@progbits
	.p2align	6, 0x0
	.amdhsa_kernel _ZN2at6native12_GLOBAL__N_124krn_partials_per_segmentIiEEvPT_PKS3_PKll
		.amdhsa_group_segment_fixed_size 0
		.amdhsa_private_segment_fixed_size 0
		.amdhsa_kernarg_size 288
		.amdhsa_user_sgpr_count 2
		.amdhsa_user_sgpr_dispatch_ptr 0
		.amdhsa_user_sgpr_queue_ptr 0
		.amdhsa_user_sgpr_kernarg_segment_ptr 1
		.amdhsa_user_sgpr_dispatch_id 0
		.amdhsa_user_sgpr_kernarg_preload_length 0
		.amdhsa_user_sgpr_kernarg_preload_offset 0
		.amdhsa_user_sgpr_private_segment_size 0
		.amdhsa_wavefront_size32 1
		.amdhsa_uses_dynamic_stack 0
		.amdhsa_enable_private_segment 0
		.amdhsa_system_sgpr_workgroup_id_x 1
		.amdhsa_system_sgpr_workgroup_id_y 0
		.amdhsa_system_sgpr_workgroup_id_z 0
		.amdhsa_system_sgpr_workgroup_info 0
		.amdhsa_system_vgpr_workitem_id 0
		.amdhsa_next_free_vgpr 10
		.amdhsa_next_free_sgpr 14
		.amdhsa_named_barrier_count 0
		.amdhsa_reserve_vcc 1
		.amdhsa_float_round_mode_32 0
		.amdhsa_float_round_mode_16_64 0
		.amdhsa_float_denorm_mode_32 3
		.amdhsa_float_denorm_mode_16_64 3
		.amdhsa_fp16_overflow 0
		.amdhsa_memory_ordered 1
		.amdhsa_forward_progress 1
		.amdhsa_inst_pref_size 4
		.amdhsa_round_robin_scheduling 0
		.amdhsa_exception_fp_ieee_invalid_op 0
		.amdhsa_exception_fp_denorm_src 0
		.amdhsa_exception_fp_ieee_div_zero 0
		.amdhsa_exception_fp_ieee_overflow 0
		.amdhsa_exception_fp_ieee_underflow 0
		.amdhsa_exception_fp_ieee_inexact 0
		.amdhsa_exception_int_div_zero 0
	.end_amdhsa_kernel
	.section	.text._ZN2at6native12_GLOBAL__N_124krn_partials_per_segmentIiEEvPT_PKS3_PKll,"axG",@progbits,_ZN2at6native12_GLOBAL__N_124krn_partials_per_segmentIiEEvPT_PKS3_PKll,comdat
.Lfunc_end76:
	.size	_ZN2at6native12_GLOBAL__N_124krn_partials_per_segmentIiEEvPT_PKS3_PKll, .Lfunc_end76-_ZN2at6native12_GLOBAL__N_124krn_partials_per_segmentIiEEvPT_PKS3_PKll
                                        ; -- End function
	.set _ZN2at6native12_GLOBAL__N_124krn_partials_per_segmentIiEEvPT_PKS3_PKll.num_vgpr, 10
	.set _ZN2at6native12_GLOBAL__N_124krn_partials_per_segmentIiEEvPT_PKS3_PKll.num_agpr, 0
	.set _ZN2at6native12_GLOBAL__N_124krn_partials_per_segmentIiEEvPT_PKS3_PKll.numbered_sgpr, 14
	.set _ZN2at6native12_GLOBAL__N_124krn_partials_per_segmentIiEEvPT_PKS3_PKll.num_named_barrier, 0
	.set _ZN2at6native12_GLOBAL__N_124krn_partials_per_segmentIiEEvPT_PKS3_PKll.private_seg_size, 0
	.set _ZN2at6native12_GLOBAL__N_124krn_partials_per_segmentIiEEvPT_PKS3_PKll.uses_vcc, 1
	.set _ZN2at6native12_GLOBAL__N_124krn_partials_per_segmentIiEEvPT_PKS3_PKll.uses_flat_scratch, 0
	.set _ZN2at6native12_GLOBAL__N_124krn_partials_per_segmentIiEEvPT_PKS3_PKll.has_dyn_sized_stack, 0
	.set _ZN2at6native12_GLOBAL__N_124krn_partials_per_segmentIiEEvPT_PKS3_PKll.has_recursion, 0
	.set _ZN2at6native12_GLOBAL__N_124krn_partials_per_segmentIiEEvPT_PKS3_PKll.has_indirect_call, 0
	.section	.AMDGPU.csdata,"",@progbits
; Kernel info:
; codeLenInByte = 404
; TotalNumSgprs: 16
; NumVgprs: 10
; ScratchSize: 0
; MemoryBound: 0
; FloatMode: 240
; IeeeMode: 1
; LDSByteSize: 0 bytes/workgroup (compile time only)
; SGPRBlocks: 0
; VGPRBlocks: 0
; NumSGPRsForWavesPerEU: 16
; NumVGPRsForWavesPerEU: 10
; NamedBarCnt: 0
; Occupancy: 16
; WaveLimiterHint : 0
; COMPUTE_PGM_RSRC2:SCRATCH_EN: 0
; COMPUTE_PGM_RSRC2:USER_SGPR: 2
; COMPUTE_PGM_RSRC2:TRAP_HANDLER: 0
; COMPUTE_PGM_RSRC2:TGID_X_EN: 1
; COMPUTE_PGM_RSRC2:TGID_Y_EN: 0
; COMPUTE_PGM_RSRC2:TGID_Z_EN: 0
; COMPUTE_PGM_RSRC2:TIDIG_COMP_CNT: 0
	.section	.text._ZN2at6native12_GLOBAL__N_131compute_num_of_partial_segmentsIiEEvPKT_S5_PKlPl,"axG",@progbits,_ZN2at6native12_GLOBAL__N_131compute_num_of_partial_segmentsIiEEvPKT_S5_PKlPl,comdat
	.globl	_ZN2at6native12_GLOBAL__N_131compute_num_of_partial_segmentsIiEEvPKT_S5_PKlPl ; -- Begin function _ZN2at6native12_GLOBAL__N_131compute_num_of_partial_segmentsIiEEvPKT_S5_PKlPl
	.p2align	8
	.type	_ZN2at6native12_GLOBAL__N_131compute_num_of_partial_segmentsIiEEvPKT_S5_PKlPl,@function
_ZN2at6native12_GLOBAL__N_131compute_num_of_partial_segmentsIiEEvPKT_S5_PKlPl: ; @_ZN2at6native12_GLOBAL__N_131compute_num_of_partial_segmentsIiEEvPKT_S5_PKlPl
; %bb.0:
	s_load_b256 s[4:11], s[0:1], 0x0
	s_wait_kmcnt 0x0
	s_load_b64 s[0:1], s[8:9], 0x0
	s_wait_kmcnt 0x0
	s_lshl_b64 s[0:1], s[0:1], 2
	s_delay_alu instid0(SALU_CYCLE_1)
	s_add_nc_u64 s[2:3], s[4:5], s[0:1]
	s_add_nc_u64 s[0:1], s[6:7], s[0:1]
	s_add_nc_u64 s[2:3], s[2:3], -4
	s_add_nc_u64 s[0:1], s[0:1], -4
	s_load_b32 s4, s[2:3], 0x0
	s_load_b32 s5, s[0:1], 0x0
	s_wait_kmcnt 0x0
	s_add_co_i32 s5, s5, s4
	s_delay_alu instid0(SALU_CYCLE_1) | instskip(SKIP_1) | instid1(SALU_CYCLE_1)
	v_dual_mov_b32 v2, 0 :: v_dual_mov_b32 v0, s5
	s_ashr_i32 s0, s5, 31
	v_mov_b32_e32 v1, s0
	global_store_b64 v2, v[0:1], s[10:11]
	s_endpgm
	.section	.rodata,"a",@progbits
	.p2align	6, 0x0
	.amdhsa_kernel _ZN2at6native12_GLOBAL__N_131compute_num_of_partial_segmentsIiEEvPKT_S5_PKlPl
		.amdhsa_group_segment_fixed_size 0
		.amdhsa_private_segment_fixed_size 0
		.amdhsa_kernarg_size 32
		.amdhsa_user_sgpr_count 2
		.amdhsa_user_sgpr_dispatch_ptr 0
		.amdhsa_user_sgpr_queue_ptr 0
		.amdhsa_user_sgpr_kernarg_segment_ptr 1
		.amdhsa_user_sgpr_dispatch_id 0
		.amdhsa_user_sgpr_kernarg_preload_length 0
		.amdhsa_user_sgpr_kernarg_preload_offset 0
		.amdhsa_user_sgpr_private_segment_size 0
		.amdhsa_wavefront_size32 1
		.amdhsa_uses_dynamic_stack 0
		.amdhsa_enable_private_segment 0
		.amdhsa_system_sgpr_workgroup_id_x 1
		.amdhsa_system_sgpr_workgroup_id_y 0
		.amdhsa_system_sgpr_workgroup_id_z 0
		.amdhsa_system_sgpr_workgroup_info 0
		.amdhsa_system_vgpr_workitem_id 0
		.amdhsa_next_free_vgpr 3
		.amdhsa_next_free_sgpr 12
		.amdhsa_named_barrier_count 0
		.amdhsa_reserve_vcc 0
		.amdhsa_float_round_mode_32 0
		.amdhsa_float_round_mode_16_64 0
		.amdhsa_float_denorm_mode_32 3
		.amdhsa_float_denorm_mode_16_64 3
		.amdhsa_fp16_overflow 0
		.amdhsa_memory_ordered 1
		.amdhsa_forward_progress 1
		.amdhsa_inst_pref_size 1
		.amdhsa_round_robin_scheduling 0
		.amdhsa_exception_fp_ieee_invalid_op 0
		.amdhsa_exception_fp_denorm_src 0
		.amdhsa_exception_fp_ieee_div_zero 0
		.amdhsa_exception_fp_ieee_overflow 0
		.amdhsa_exception_fp_ieee_underflow 0
		.amdhsa_exception_fp_ieee_inexact 0
		.amdhsa_exception_int_div_zero 0
	.end_amdhsa_kernel
	.section	.text._ZN2at6native12_GLOBAL__N_131compute_num_of_partial_segmentsIiEEvPKT_S5_PKlPl,"axG",@progbits,_ZN2at6native12_GLOBAL__N_131compute_num_of_partial_segmentsIiEEvPKT_S5_PKlPl,comdat
.Lfunc_end77:
	.size	_ZN2at6native12_GLOBAL__N_131compute_num_of_partial_segmentsIiEEvPKT_S5_PKlPl, .Lfunc_end77-_ZN2at6native12_GLOBAL__N_131compute_num_of_partial_segmentsIiEEvPKT_S5_PKlPl
                                        ; -- End function
	.set _ZN2at6native12_GLOBAL__N_131compute_num_of_partial_segmentsIiEEvPKT_S5_PKlPl.num_vgpr, 3
	.set _ZN2at6native12_GLOBAL__N_131compute_num_of_partial_segmentsIiEEvPKT_S5_PKlPl.num_agpr, 0
	.set _ZN2at6native12_GLOBAL__N_131compute_num_of_partial_segmentsIiEEvPKT_S5_PKlPl.numbered_sgpr, 12
	.set _ZN2at6native12_GLOBAL__N_131compute_num_of_partial_segmentsIiEEvPKT_S5_PKlPl.num_named_barrier, 0
	.set _ZN2at6native12_GLOBAL__N_131compute_num_of_partial_segmentsIiEEvPKT_S5_PKlPl.private_seg_size, 0
	.set _ZN2at6native12_GLOBAL__N_131compute_num_of_partial_segmentsIiEEvPKT_S5_PKlPl.uses_vcc, 0
	.set _ZN2at6native12_GLOBAL__N_131compute_num_of_partial_segmentsIiEEvPKT_S5_PKlPl.uses_flat_scratch, 0
	.set _ZN2at6native12_GLOBAL__N_131compute_num_of_partial_segmentsIiEEvPKT_S5_PKlPl.has_dyn_sized_stack, 0
	.set _ZN2at6native12_GLOBAL__N_131compute_num_of_partial_segmentsIiEEvPKT_S5_PKlPl.has_recursion, 0
	.set _ZN2at6native12_GLOBAL__N_131compute_num_of_partial_segmentsIiEEvPKT_S5_PKlPl.has_indirect_call, 0
	.section	.AMDGPU.csdata,"",@progbits
; Kernel info:
; codeLenInByte = 112
; TotalNumSgprs: 12
; NumVgprs: 3
; ScratchSize: 0
; MemoryBound: 1
; FloatMode: 240
; IeeeMode: 1
; LDSByteSize: 0 bytes/workgroup (compile time only)
; SGPRBlocks: 0
; VGPRBlocks: 0
; NumSGPRsForWavesPerEU: 12
; NumVGPRsForWavesPerEU: 3
; NamedBarCnt: 0
; Occupancy: 16
; WaveLimiterHint : 1
; COMPUTE_PGM_RSRC2:SCRATCH_EN: 0
; COMPUTE_PGM_RSRC2:USER_SGPR: 2
; COMPUTE_PGM_RSRC2:TRAP_HANDLER: 0
; COMPUTE_PGM_RSRC2:TGID_X_EN: 1
; COMPUTE_PGM_RSRC2:TGID_Y_EN: 0
; COMPUTE_PGM_RSRC2:TGID_Z_EN: 0
; COMPUTE_PGM_RSRC2:TIDIG_COMP_CNT: 0
	.section	.text._ZN2at6native12_GLOBAL__N_126krn_partial_segment_offsetIiEEvPT_PKS3_S6_S6_PKl,"axG",@progbits,_ZN2at6native12_GLOBAL__N_126krn_partial_segment_offsetIiEEvPT_PKS3_S6_S6_PKl,comdat
	.globl	_ZN2at6native12_GLOBAL__N_126krn_partial_segment_offsetIiEEvPT_PKS3_S6_S6_PKl ; -- Begin function _ZN2at6native12_GLOBAL__N_126krn_partial_segment_offsetIiEEvPT_PKS3_S6_S6_PKl
	.p2align	8
	.type	_ZN2at6native12_GLOBAL__N_126krn_partial_segment_offsetIiEEvPT_PKS3_S6_S6_PKl,@function
_ZN2at6native12_GLOBAL__N_126krn_partial_segment_offsetIiEEvPT_PKS3_S6_S6_PKl: ; @_ZN2at6native12_GLOBAL__N_126krn_partial_segment_offsetIiEEvPT_PKS3_S6_S6_PKl
; %bb.0:
	s_clause 0x1
	s_load_b64 s[2:3], s[0:1], 0x20
	s_load_b32 s4, s[0:1], 0x34
	s_bfe_u32 s5, ttmp6, 0x4000c
	s_and_b32 s6, ttmp6, 15
	s_add_co_i32 s5, s5, 1
	s_getreg_b32 s7, hwreg(HW_REG_IB_STS2, 6, 4)
	s_mul_i32 s5, ttmp9, s5
	s_delay_alu instid0(SALU_CYCLE_1)
	s_add_co_i32 s6, s6, s5
	s_wait_kmcnt 0x0
	s_load_b64 s[2:3], s[2:3], 0x0
	s_and_b32 s4, s4, 0xffff
	s_cmp_eq_u32 s7, 0
	s_cselect_b32 s5, ttmp9, s6
	s_delay_alu instid0(SALU_CYCLE_1) | instskip(NEXT) | instid1(VALU_DEP_1)
	v_mad_u32 v2, s5, s4, v0
	v_ashrrev_i32_e32 v3, 31, v2
	s_wait_kmcnt 0x0
	s_delay_alu instid0(VALU_DEP_1)
	v_cmp_gt_i64_e32 vcc_lo, s[2:3], v[2:3]
	s_and_saveexec_b32 s2, vcc_lo
	s_cbranch_execz .LBB78_9
; %bb.1:
	s_load_b256 s[4:11], s[0:1], 0x0
	s_wait_kmcnt 0x0
	v_lshl_add_u64 v[0:1], v[2:3], 2, s[6:7]
	global_load_b32 v0, v[0:1], off
	s_wait_loadcnt 0x0
	v_cmp_lt_i32_e32 vcc_lo, 0, v0
	s_and_b32 exec_lo, exec_lo, vcc_lo
	s_cbranch_execz .LBB78_9
; %bb.2:
	v_lshlrev_b64_e32 v[2:3], 2, v[2:3]
	v_ashrrev_i32_e32 v1, 31, v0
	s_mov_b32 s1, 1
	s_mov_b32 s2, -1
	s_mov_b32 s0, exec_lo
	s_delay_alu instid0(VALU_DEP_2)
	v_add_nc_u64_e32 v[6:7], s[10:11], v[2:3]
	v_add_nc_u64_e32 v[8:9], s[8:9], v[2:3]
	global_load_b32 v4, v[6:7], off
	global_load_b32 v2, v[8:9], off
	s_wait_xcnt 0x1
	v_mov_b64_e32 v[6:7], 0
	s_wait_xcnt 0x0
	v_cmpx_ne_u32_e32 1, v0
	s_cbranch_execz .LBB78_6
; %bb.3:
	v_and_b32_e32 v6, 0x7ffffffe, v0
	s_wait_loadcnt 0x1
	v_dual_mov_b32 v7, 0 :: v_dual_mov_b32 v3, v4
	s_wait_loadcnt 0x0
	v_mov_b32_e32 v8, v2
	s_mov_b32 s2, 0
	s_mov_b32 s3, 0
	v_mov_b64_e32 v[10:11], v[6:7]
.LBB78_4:                               ; =>This Inner Loop Header: Depth=1
	s_delay_alu instid0(VALU_DEP_1)
	v_add_nc_u64_e32 v[10:11], -2, v[10:11]
	v_mad_u32 v13, s1, 10, v3
	v_mad_u32 v12, s3, 10, v4
	v_ashrrev_i32_e32 v9, 31, v8
	s_add_co_i32 s3, s3, 2
	s_add_co_i32 s1, s1, 2
	s_delay_alu instid0(VALU_DEP_4) | instskip(NEXT) | instid1(VALU_DEP_2)
	v_cmp_eq_u64_e32 vcc_lo, 0, v[10:11]
	v_lshl_add_u64 v[14:15], v[8:9], 2, s[4:5]
	v_add_nc_u32_e32 v8, 2, v8
	global_store_b64 v[14:15], v[12:13], off
	s_or_b32 s2, vcc_lo, s2
	s_wait_xcnt 0x0
	s_and_not1_b32 exec_lo, exec_lo, s2
	s_cbranch_execnz .LBB78_4
; %bb.5:
	s_or_b32 exec_lo, exec_lo, s2
	v_cmp_ne_u64_e32 vcc_lo, v[6:7], v[0:1]
	v_add_nc_u32_e32 v2, v2, v6
	s_or_not1_b32 s2, vcc_lo, exec_lo
.LBB78_6:
	s_or_b32 exec_lo, exec_lo, s0
	s_delay_alu instid0(SALU_CYCLE_1)
	s_and_b32 exec_lo, exec_lo, s2
	s_cbranch_execz .LBB78_9
; %bb.7:
	s_wait_loadcnt 0x1
	v_mad_u32 v4, v6, 10, v4
	s_wait_loadcnt 0x0
	v_ashrrev_i32_e32 v3, 31, v2
	v_sub_nc_u64_e32 v[0:1], v[0:1], v[6:7]
	s_mov_b32 s0, 0
	s_delay_alu instid0(VALU_DEP_2)
	v_lshl_add_u64 v[2:3], v[2:3], 2, s[4:5]
.LBB78_8:                               ; =>This Inner Loop Header: Depth=1
	s_delay_alu instid0(VALU_DEP_2)
	v_add_nc_u64_e32 v[0:1], -1, v[0:1]
	global_store_b32 v[2:3], v4, off
	s_wait_xcnt 0x0
	v_add_nc_u64_e32 v[2:3], 4, v[2:3]
	v_add_nc_u32_e32 v4, 10, v4
	v_cmp_eq_u64_e32 vcc_lo, 0, v[0:1]
	s_or_b32 s0, vcc_lo, s0
	s_delay_alu instid0(SALU_CYCLE_1)
	s_and_not1_b32 exec_lo, exec_lo, s0
	s_cbranch_execnz .LBB78_8
.LBB78_9:
	s_endpgm
	.section	.rodata,"a",@progbits
	.p2align	6, 0x0
	.amdhsa_kernel _ZN2at6native12_GLOBAL__N_126krn_partial_segment_offsetIiEEvPT_PKS3_S6_S6_PKl
		.amdhsa_group_segment_fixed_size 0
		.amdhsa_private_segment_fixed_size 0
		.amdhsa_kernarg_size 296
		.amdhsa_user_sgpr_count 2
		.amdhsa_user_sgpr_dispatch_ptr 0
		.amdhsa_user_sgpr_queue_ptr 0
		.amdhsa_user_sgpr_kernarg_segment_ptr 1
		.amdhsa_user_sgpr_dispatch_id 0
		.amdhsa_user_sgpr_kernarg_preload_length 0
		.amdhsa_user_sgpr_kernarg_preload_offset 0
		.amdhsa_user_sgpr_private_segment_size 0
		.amdhsa_wavefront_size32 1
		.amdhsa_uses_dynamic_stack 0
		.amdhsa_enable_private_segment 0
		.amdhsa_system_sgpr_workgroup_id_x 1
		.amdhsa_system_sgpr_workgroup_id_y 0
		.amdhsa_system_sgpr_workgroup_id_z 0
		.amdhsa_system_sgpr_workgroup_info 0
		.amdhsa_system_vgpr_workitem_id 0
		.amdhsa_next_free_vgpr 16
		.amdhsa_next_free_sgpr 12
		.amdhsa_named_barrier_count 0
		.amdhsa_reserve_vcc 1
		.amdhsa_float_round_mode_32 0
		.amdhsa_float_round_mode_16_64 0
		.amdhsa_float_denorm_mode_32 3
		.amdhsa_float_denorm_mode_16_64 3
		.amdhsa_fp16_overflow 0
		.amdhsa_memory_ordered 1
		.amdhsa_forward_progress 1
		.amdhsa_inst_pref_size 4
		.amdhsa_round_robin_scheduling 0
		.amdhsa_exception_fp_ieee_invalid_op 0
		.amdhsa_exception_fp_denorm_src 0
		.amdhsa_exception_fp_ieee_div_zero 0
		.amdhsa_exception_fp_ieee_overflow 0
		.amdhsa_exception_fp_ieee_underflow 0
		.amdhsa_exception_fp_ieee_inexact 0
		.amdhsa_exception_int_div_zero 0
	.end_amdhsa_kernel
	.section	.text._ZN2at6native12_GLOBAL__N_126krn_partial_segment_offsetIiEEvPT_PKS3_S6_S6_PKl,"axG",@progbits,_ZN2at6native12_GLOBAL__N_126krn_partial_segment_offsetIiEEvPT_PKS3_S6_S6_PKl,comdat
.Lfunc_end78:
	.size	_ZN2at6native12_GLOBAL__N_126krn_partial_segment_offsetIiEEvPT_PKS3_S6_S6_PKl, .Lfunc_end78-_ZN2at6native12_GLOBAL__N_126krn_partial_segment_offsetIiEEvPT_PKS3_S6_S6_PKl
                                        ; -- End function
	.set _ZN2at6native12_GLOBAL__N_126krn_partial_segment_offsetIiEEvPT_PKS3_S6_S6_PKl.num_vgpr, 16
	.set _ZN2at6native12_GLOBAL__N_126krn_partial_segment_offsetIiEEvPT_PKS3_S6_S6_PKl.num_agpr, 0
	.set _ZN2at6native12_GLOBAL__N_126krn_partial_segment_offsetIiEEvPT_PKS3_S6_S6_PKl.numbered_sgpr, 12
	.set _ZN2at6native12_GLOBAL__N_126krn_partial_segment_offsetIiEEvPT_PKS3_S6_S6_PKl.num_named_barrier, 0
	.set _ZN2at6native12_GLOBAL__N_126krn_partial_segment_offsetIiEEvPT_PKS3_S6_S6_PKl.private_seg_size, 0
	.set _ZN2at6native12_GLOBAL__N_126krn_partial_segment_offsetIiEEvPT_PKS3_S6_S6_PKl.uses_vcc, 1
	.set _ZN2at6native12_GLOBAL__N_126krn_partial_segment_offsetIiEEvPT_PKS3_S6_S6_PKl.uses_flat_scratch, 0
	.set _ZN2at6native12_GLOBAL__N_126krn_partial_segment_offsetIiEEvPT_PKS3_S6_S6_PKl.has_dyn_sized_stack, 0
	.set _ZN2at6native12_GLOBAL__N_126krn_partial_segment_offsetIiEEvPT_PKS3_S6_S6_PKl.has_recursion, 0
	.set _ZN2at6native12_GLOBAL__N_126krn_partial_segment_offsetIiEEvPT_PKS3_S6_S6_PKl.has_indirect_call, 0
	.section	.AMDGPU.csdata,"",@progbits
; Kernel info:
; codeLenInByte = 496
; TotalNumSgprs: 14
; NumVgprs: 16
; ScratchSize: 0
; MemoryBound: 0
; FloatMode: 240
; IeeeMode: 1
; LDSByteSize: 0 bytes/workgroup (compile time only)
; SGPRBlocks: 0
; VGPRBlocks: 0
; NumSGPRsForWavesPerEU: 14
; NumVGPRsForWavesPerEU: 16
; NamedBarCnt: 0
; Occupancy: 16
; WaveLimiterHint : 0
; COMPUTE_PGM_RSRC2:SCRATCH_EN: 0
; COMPUTE_PGM_RSRC2:USER_SGPR: 2
; COMPUTE_PGM_RSRC2:TRAP_HANDLER: 0
; COMPUTE_PGM_RSRC2:TGID_X_EN: 1
; COMPUTE_PGM_RSRC2:TGID_Y_EN: 0
; COMPUTE_PGM_RSRC2:TGID_Z_EN: 0
; COMPUTE_PGM_RSRC2:TIDIG_COMP_CNT: 0
	.section	.text._ZN2at6native12_GLOBAL__N_126krn_partial_to_segment_idxIiEEvPT_PKS3_S6_PKl,"axG",@progbits,_ZN2at6native12_GLOBAL__N_126krn_partial_to_segment_idxIiEEvPT_PKS3_S6_PKl,comdat
	.globl	_ZN2at6native12_GLOBAL__N_126krn_partial_to_segment_idxIiEEvPT_PKS3_S6_PKl ; -- Begin function _ZN2at6native12_GLOBAL__N_126krn_partial_to_segment_idxIiEEvPT_PKS3_S6_PKl
	.p2align	8
	.type	_ZN2at6native12_GLOBAL__N_126krn_partial_to_segment_idxIiEEvPT_PKS3_S6_PKl,@function
_ZN2at6native12_GLOBAL__N_126krn_partial_to_segment_idxIiEEvPT_PKS3_S6_PKl: ; @_ZN2at6native12_GLOBAL__N_126krn_partial_to_segment_idxIiEEvPT_PKS3_S6_PKl
; %bb.0:
	s_clause 0x1
	s_load_b256 s[4:11], s[0:1], 0x0
	s_load_b32 s2, s[0:1], 0x2c
	s_wait_xcnt 0x0
	s_bfe_u32 s0, ttmp6, 0x4000c
	s_and_b32 s3, ttmp6, 15
	s_add_co_i32 s0, s0, 1
	s_getreg_b32 s12, hwreg(HW_REG_IB_STS2, 6, 4)
	s_mul_i32 s13, ttmp9, s0
	s_delay_alu instid0(SALU_CYCLE_1)
	s_add_co_i32 s3, s3, s13
	s_wait_kmcnt 0x0
	s_load_b64 s[0:1], s[10:11], 0x0
	s_and_b32 s2, s2, 0xffff
	s_cmp_eq_u32 s12, 0
	s_cselect_b32 s3, ttmp9, s3
	s_delay_alu instid0(SALU_CYCLE_1) | instskip(NEXT) | instid1(VALU_DEP_1)
	v_mad_u32 v0, s3, s2, v0
	v_ashrrev_i32_e32 v1, 31, v0
	s_wait_kmcnt 0x0
	s_delay_alu instid0(VALU_DEP_1)
	v_cmp_gt_i64_e32 vcc_lo, s[0:1], v[0:1]
	s_and_saveexec_b32 s0, vcc_lo
	s_cbranch_execz .LBB79_9
; %bb.1:
	v_lshl_add_u64 v[2:3], v[0:1], 2, s[6:7]
	global_load_b32 v6, v[2:3], off
	s_wait_loadcnt 0x0
	v_cmp_lt_i32_e32 vcc_lo, 0, v6
	s_and_b32 exec_lo, exec_lo, vcc_lo
	s_cbranch_execz .LBB79_9
; %bb.2:
	v_lshl_add_u64 v[2:3], v[0:1], 2, s[8:9]
	v_mov_b32_e32 v7, 0
	s_mov_b32 s1, -1
	s_mov_b32 s0, exec_lo
	global_load_b32 v2, v[2:3], off
	s_wait_xcnt 0x0
	v_cmpx_ne_u32_e32 1, v6
	s_cbranch_execz .LBB79_6
; %bb.3:
	v_and_b32_e32 v7, 0x7ffffffe, v6
	s_wait_loadcnt 0x0
	v_dual_mov_b32 v1, v0 :: v_dual_mov_b32 v4, v2
	s_mov_b32 s1, 0
	s_delay_alu instid0(VALU_DEP_2)
	v_mov_b32_e32 v3, v7
.LBB79_4:                               ; =>This Inner Loop Header: Depth=1
	s_delay_alu instid0(VALU_DEP_1) | instskip(NEXT) | instid1(VALU_DEP_1)
	v_dual_add_nc_u32 v3, -2, v3 :: v_dual_ashrrev_i32 v5, 31, v4
	v_cmp_eq_u32_e32 vcc_lo, 0, v3
	s_delay_alu instid0(VALU_DEP_2)
	v_lshl_add_u64 v[8:9], v[4:5], 2, s[4:5]
	v_add_nc_u32_e32 v4, 2, v4
	s_or_b32 s1, vcc_lo, s1
	global_store_b64 v[8:9], v[0:1], off
	s_wait_xcnt 0x0
	s_and_not1_b32 exec_lo, exec_lo, s1
	s_cbranch_execnz .LBB79_4
; %bb.5:
	s_or_b32 exec_lo, exec_lo, s1
	v_cmp_ne_u32_e32 vcc_lo, v6, v7
	v_add_nc_u32_e32 v2, v2, v7
	s_or_not1_b32 s1, vcc_lo, exec_lo
.LBB79_6:
	s_or_b32 exec_lo, exec_lo, s0
	s_delay_alu instid0(SALU_CYCLE_1)
	s_and_b32 exec_lo, exec_lo, s1
	s_cbranch_execz .LBB79_9
; %bb.7:
	s_wait_loadcnt 0x0
	v_dual_ashrrev_i32 v3, 31, v2 :: v_dual_sub_nc_u32 v1, v6, v7
	s_mov_b32 s0, 0
	s_delay_alu instid0(VALU_DEP_1)
	v_lshl_add_u64 v[2:3], v[2:3], 2, s[4:5]
.LBB79_8:                               ; =>This Inner Loop Header: Depth=1
	s_delay_alu instid0(VALU_DEP_2)
	v_add_nc_u32_e32 v1, -1, v1
	global_store_b32 v[2:3], v0, off
	s_wait_xcnt 0x0
	v_add_nc_u64_e32 v[2:3], 4, v[2:3]
	v_cmp_eq_u32_e32 vcc_lo, 0, v1
	s_or_b32 s0, vcc_lo, s0
	s_delay_alu instid0(SALU_CYCLE_1)
	s_and_not1_b32 exec_lo, exec_lo, s0
	s_cbranch_execnz .LBB79_8
.LBB79_9:
	s_endpgm
	.section	.rodata,"a",@progbits
	.p2align	6, 0x0
	.amdhsa_kernel _ZN2at6native12_GLOBAL__N_126krn_partial_to_segment_idxIiEEvPT_PKS3_S6_PKl
		.amdhsa_group_segment_fixed_size 0
		.amdhsa_private_segment_fixed_size 0
		.amdhsa_kernarg_size 288
		.amdhsa_user_sgpr_count 2
		.amdhsa_user_sgpr_dispatch_ptr 0
		.amdhsa_user_sgpr_queue_ptr 0
		.amdhsa_user_sgpr_kernarg_segment_ptr 1
		.amdhsa_user_sgpr_dispatch_id 0
		.amdhsa_user_sgpr_kernarg_preload_length 0
		.amdhsa_user_sgpr_kernarg_preload_offset 0
		.amdhsa_user_sgpr_private_segment_size 0
		.amdhsa_wavefront_size32 1
		.amdhsa_uses_dynamic_stack 0
		.amdhsa_enable_private_segment 0
		.amdhsa_system_sgpr_workgroup_id_x 1
		.amdhsa_system_sgpr_workgroup_id_y 0
		.amdhsa_system_sgpr_workgroup_id_z 0
		.amdhsa_system_sgpr_workgroup_info 0
		.amdhsa_system_vgpr_workitem_id 0
		.amdhsa_next_free_vgpr 10
		.amdhsa_next_free_sgpr 14
		.amdhsa_named_barrier_count 0
		.amdhsa_reserve_vcc 1
		.amdhsa_float_round_mode_32 0
		.amdhsa_float_round_mode_16_64 0
		.amdhsa_float_denorm_mode_32 3
		.amdhsa_float_denorm_mode_16_64 3
		.amdhsa_fp16_overflow 0
		.amdhsa_memory_ordered 1
		.amdhsa_forward_progress 1
		.amdhsa_inst_pref_size 4
		.amdhsa_round_robin_scheduling 0
		.amdhsa_exception_fp_ieee_invalid_op 0
		.amdhsa_exception_fp_denorm_src 0
		.amdhsa_exception_fp_ieee_div_zero 0
		.amdhsa_exception_fp_ieee_overflow 0
		.amdhsa_exception_fp_ieee_underflow 0
		.amdhsa_exception_fp_ieee_inexact 0
		.amdhsa_exception_int_div_zero 0
	.end_amdhsa_kernel
	.section	.text._ZN2at6native12_GLOBAL__N_126krn_partial_to_segment_idxIiEEvPT_PKS3_S6_PKl,"axG",@progbits,_ZN2at6native12_GLOBAL__N_126krn_partial_to_segment_idxIiEEvPT_PKS3_S6_PKl,comdat
.Lfunc_end79:
	.size	_ZN2at6native12_GLOBAL__N_126krn_partial_to_segment_idxIiEEvPT_PKS3_S6_PKl, .Lfunc_end79-_ZN2at6native12_GLOBAL__N_126krn_partial_to_segment_idxIiEEvPT_PKS3_S6_PKl
                                        ; -- End function
	.set _ZN2at6native12_GLOBAL__N_126krn_partial_to_segment_idxIiEEvPT_PKS3_S6_PKl.num_vgpr, 10
	.set _ZN2at6native12_GLOBAL__N_126krn_partial_to_segment_idxIiEEvPT_PKS3_S6_PKl.num_agpr, 0
	.set _ZN2at6native12_GLOBAL__N_126krn_partial_to_segment_idxIiEEvPT_PKS3_S6_PKl.numbered_sgpr, 14
	.set _ZN2at6native12_GLOBAL__N_126krn_partial_to_segment_idxIiEEvPT_PKS3_S6_PKl.num_named_barrier, 0
	.set _ZN2at6native12_GLOBAL__N_126krn_partial_to_segment_idxIiEEvPT_PKS3_S6_PKl.private_seg_size, 0
	.set _ZN2at6native12_GLOBAL__N_126krn_partial_to_segment_idxIiEEvPT_PKS3_S6_PKl.uses_vcc, 1
	.set _ZN2at6native12_GLOBAL__N_126krn_partial_to_segment_idxIiEEvPT_PKS3_S6_PKl.uses_flat_scratch, 0
	.set _ZN2at6native12_GLOBAL__N_126krn_partial_to_segment_idxIiEEvPT_PKS3_S6_PKl.has_dyn_sized_stack, 0
	.set _ZN2at6native12_GLOBAL__N_126krn_partial_to_segment_idxIiEEvPT_PKS3_S6_PKl.has_recursion, 0
	.set _ZN2at6native12_GLOBAL__N_126krn_partial_to_segment_idxIiEEvPT_PKS3_S6_PKl.has_indirect_call, 0
	.section	.AMDGPU.csdata,"",@progbits
; Kernel info:
; codeLenInByte = 412
; TotalNumSgprs: 16
; NumVgprs: 10
; ScratchSize: 0
; MemoryBound: 0
; FloatMode: 240
; IeeeMode: 1
; LDSByteSize: 0 bytes/workgroup (compile time only)
; SGPRBlocks: 0
; VGPRBlocks: 0
; NumSGPRsForWavesPerEU: 16
; NumVGPRsForWavesPerEU: 10
; NamedBarCnt: 0
; Occupancy: 16
; WaveLimiterHint : 0
; COMPUTE_PGM_RSRC2:SCRATCH_EN: 0
; COMPUTE_PGM_RSRC2:USER_SGPR: 2
; COMPUTE_PGM_RSRC2:TRAP_HANDLER: 0
; COMPUTE_PGM_RSRC2:TGID_X_EN: 1
; COMPUTE_PGM_RSRC2:TGID_Y_EN: 0
; COMPUTE_PGM_RSRC2:TGID_Z_EN: 0
; COMPUTE_PGM_RSRC2:TIDIG_COMP_CNT: 0
	.section	.text._ZN2at6native12_GLOBAL__N_137compute_grad_weight_atomic_accumulateIddiEEvPKT1_PKT_S5_llS5_PKlS5_S5_S5_PT0_ll,"axG",@progbits,_ZN2at6native12_GLOBAL__N_137compute_grad_weight_atomic_accumulateIddiEEvPKT1_PKT_S5_llS5_PKlS5_S5_S5_PT0_ll,comdat
	.globl	_ZN2at6native12_GLOBAL__N_137compute_grad_weight_atomic_accumulateIddiEEvPKT1_PKT_S5_llS5_PKlS5_S5_S5_PT0_ll ; -- Begin function _ZN2at6native12_GLOBAL__N_137compute_grad_weight_atomic_accumulateIddiEEvPKT1_PKT_S5_llS5_PKlS5_S5_S5_PT0_ll
	.p2align	8
	.type	_ZN2at6native12_GLOBAL__N_137compute_grad_weight_atomic_accumulateIddiEEvPKT1_PKT_S5_llS5_PKlS5_S5_S5_PT0_ll,@function
_ZN2at6native12_GLOBAL__N_137compute_grad_weight_atomic_accumulateIddiEEvPKT1_PKT_S5_llS5_PKlS5_S5_S5_PT0_ll: ; @_ZN2at6native12_GLOBAL__N_137compute_grad_weight_atomic_accumulateIddiEEvPKT1_PKT_S5_llS5_PKlS5_S5_S5_PT0_ll
; %bb.0:
	s_clause 0x1
	s_load_b32 s2, s[0:1], 0x74
	s_load_b64 s[20:21], s[0:1], 0x60
	s_bfe_u32 s3, ttmp6, 0x4000c
	s_and_b32 s4, ttmp6, 15
	s_add_co_i32 s3, s3, 1
	s_getreg_b32 s5, hwreg(HW_REG_IB_STS2, 6, 4)
	s_mul_i32 s3, ttmp9, s3
                                        ; implicit-def: $vgpr2_vgpr3
	v_mov_b32_e32 v4, 0
	s_add_co_i32 s4, s4, s3
	s_wait_kmcnt 0x0
	s_and_b32 s2, s2, 0xffff
	s_cmp_eq_u32 s5, 0
	s_cselect_b32 s3, ttmp9, s4
	s_delay_alu instid0(SALU_CYCLE_1) | instskip(SKIP_2) | instid1(VALU_DEP_1)
	v_mad_u32 v0, s3, s2, v0
	s_mov_b32 s3, 0
	s_mov_b32 s2, exec_lo
	v_ashrrev_i32_e32 v1, 31, v0
	s_delay_alu instid0(VALU_DEP_1) | instskip(NEXT) | instid1(VALU_DEP_1)
	v_or_b32_e32 v5, s21, v1
	v_cmpx_ne_u64_e32 0, v[4:5]
	s_xor_b32 s8, exec_lo, s2
	s_cbranch_execz .LBB80_2
; %bb.1:
	s_ashr_i32 s4, s21, 31
	v_dual_mov_b32 v9, v4 :: v_dual_ashrrev_i32 v2, 31, v1
	s_mov_b32 s5, s4
	v_mov_b32_e32 v11, v4
	s_add_nc_u64 s[6:7], s[20:21], s[4:5]
	s_delay_alu instid0(VALU_DEP_2)
	v_mov_b32_e32 v3, v2
	s_xor_b64 s[6:7], s[6:7], s[4:5]
	v_mov_b32_e32 v17, v4
	s_cvt_f32_u32 s2, s6
	s_cvt_f32_u32 s5, s7
	s_sub_nc_u64 s[12:13], 0, s[6:7]
	v_add_nc_u64_e32 v[6:7], v[0:1], v[2:3]
	v_mov_b32_e32 v5, v4
	s_fmamk_f32 s2, s5, 0x4f800000, s2
	s_delay_alu instid0(SALU_CYCLE_3) | instskip(NEXT) | instid1(VALU_DEP_2)
	v_s_rcp_f32 s2, s2
	v_xor_b32_e32 v8, v6, v2
	s_delay_alu instid0(VALU_DEP_3) | instskip(SKIP_1) | instid1(TRANS32_DEP_1)
	v_xor_b32_e32 v10, v7, v2
	v_xor_b32_e32 v2, s4, v2
	s_mul_f32 s2, s2, 0x5f7ffffc
	s_delay_alu instid0(SALU_CYCLE_3) | instskip(NEXT) | instid1(SALU_CYCLE_3)
	s_mul_f32 s5, s2, 0x2f800000
	s_trunc_f32 s5, s5
	s_delay_alu instid0(SALU_CYCLE_3) | instskip(SKIP_1) | instid1(SALU_CYCLE_2)
	s_fmamk_f32 s2, s5, 0xcf800000, s2
	s_cvt_u32_f32 s11, s5
	s_cvt_u32_f32 s10, s2
	s_delay_alu instid0(SALU_CYCLE_3) | instskip(NEXT) | instid1(SALU_CYCLE_1)
	s_mul_u64 s[14:15], s[12:13], s[10:11]
	s_mul_hi_u32 s17, s10, s15
	s_mul_i32 s16, s10, s15
	s_mul_hi_u32 s2, s10, s14
	s_mul_i32 s9, s11, s14
	s_add_nc_u64 s[16:17], s[2:3], s[16:17]
	s_mul_hi_u32 s5, s11, s14
	s_mul_hi_u32 s18, s11, s15
	s_add_co_u32 s2, s16, s9
	s_add_co_ci_u32 s2, s17, s5
	s_mul_i32 s14, s11, s15
	s_add_co_ci_u32 s15, s18, 0
	s_delay_alu instid0(SALU_CYCLE_1) | instskip(NEXT) | instid1(SALU_CYCLE_1)
	s_add_nc_u64 s[14:15], s[2:3], s[14:15]
	s_add_co_u32 s10, s10, s14
	s_cselect_b32 s2, -1, 0
	s_delay_alu instid0(SALU_CYCLE_1) | instskip(SKIP_1) | instid1(SALU_CYCLE_1)
	s_cmp_lg_u32 s2, 0
	s_add_co_ci_u32 s11, s11, s15
	s_mul_u64 s[12:13], s[12:13], s[10:11]
	s_delay_alu instid0(SALU_CYCLE_1)
	s_mul_hi_u32 s15, s10, s13
	s_mul_i32 s14, s10, s13
	s_mul_hi_u32 s2, s10, s12
	s_mul_i32 s9, s11, s12
	s_add_nc_u64 s[14:15], s[2:3], s[14:15]
	s_mul_hi_u32 s5, s11, s12
	s_mul_hi_u32 s16, s11, s13
	s_add_co_u32 s2, s14, s9
	s_add_co_ci_u32 s2, s15, s5
	s_mul_i32 s12, s11, s13
	s_add_co_ci_u32 s13, s16, 0
	s_delay_alu instid0(SALU_CYCLE_1) | instskip(NEXT) | instid1(SALU_CYCLE_1)
	s_add_nc_u64 s[12:13], s[2:3], s[12:13]
	s_add_co_u32 s10, s10, s12
	s_cselect_b32 s2, -1, 0
	v_mul_hi_u32 v16, v8, s10
	s_cmp_lg_u32 s2, 0
	s_add_co_ci_u32 s2, s11, s13
	s_mov_b64 s[12:13], 0xffffffff
	v_mul_u64_e32 v[12:13], s[2:3], v[8:9]
	s_and_b64 s[12:13], s[10:11], s[12:13]
	v_mul_u64_e32 v[14:15], s[2:3], v[10:11]
	v_mul_u64_e32 v[6:7], s[12:13], v[10:11]
	s_delay_alu instid0(VALU_DEP_3) | instskip(NEXT) | instid1(VALU_DEP_1)
	v_add_nc_u64_e32 v[12:13], v[16:17], v[12:13]
	v_add_co_u32 v3, vcc_lo, v12, v6
	s_delay_alu instid0(VALU_DEP_2) | instskip(SKIP_1) | instid1(VALU_DEP_1)
	v_add_co_ci_u32_e32 v4, vcc_lo, v13, v7, vcc_lo
	v_add_co_ci_u32_e32 v15, vcc_lo, 0, v15, vcc_lo
	v_add_nc_u64_e32 v[4:5], v[4:5], v[14:15]
	s_delay_alu instid0(VALU_DEP_1) | instskip(NEXT) | instid1(VALU_DEP_1)
	v_mul_u64_e32 v[6:7], s[6:7], v[4:5]
	v_sub_nc_u32_e32 v3, v10, v7
	s_delay_alu instid0(VALU_DEP_2) | instskip(NEXT) | instid1(VALU_DEP_1)
	v_sub_co_u32 v6, vcc_lo, v8, v6
	v_sub_co_ci_u32_e64 v10, null, v10, v7, vcc_lo
	s_delay_alu instid0(VALU_DEP_3) | instskip(NEXT) | instid1(VALU_DEP_3)
	v_subrev_co_ci_u32_e64 v3, null, s7, v3, vcc_lo
	v_sub_co_u32 v8, s2, v6, s6
	s_delay_alu instid0(VALU_DEP_1) | instskip(NEXT) | instid1(VALU_DEP_2)
	v_subrev_co_ci_u32_e64 v3, null, 0, v3, s2
	v_cmp_le_u32_e32 vcc_lo, s6, v8
	v_cndmask_b32_e64 v7, 0, -1, vcc_lo
	s_delay_alu instid0(VALU_DEP_3)
	v_cmp_le_u32_e32 vcc_lo, s7, v3
	v_cndmask_b32_e64 v8, 0, -1, vcc_lo
	v_cmp_le_u32_e32 vcc_lo, s6, v6
	v_cndmask_b32_e64 v11, 0, -1, vcc_lo
	v_cmp_le_u32_e32 vcc_lo, s7, v10
	v_cndmask_b32_e64 v12, 0, -1, vcc_lo
	v_cmp_eq_u32_e32 vcc_lo, s7, v3
	v_cndmask_b32_e32 v3, v8, v7, vcc_lo
	v_cmp_eq_u32_e32 vcc_lo, s7, v10
	v_add_nc_u64_e32 v[6:7], 2, v[4:5]
	v_add_nc_u64_e32 v[8:9], 1, v[4:5]
	v_cndmask_b32_e32 v10, v12, v11, vcc_lo
	v_cmp_ne_u32_e32 vcc_lo, 0, v3
	s_delay_alu instid0(VALU_DEP_2) | instskip(NEXT) | instid1(VALU_DEP_4)
	v_cmp_ne_u32_e64 s2, 0, v10
	v_dual_cndmask_b32 v6, v8, v6 :: v_dual_cndmask_b32 v3, v9, v7
	s_delay_alu instid0(VALU_DEP_1) | instskip(NEXT) | instid1(VALU_DEP_1)
	v_dual_cndmask_b32 v4, v4, v6, s2 :: v_dual_cndmask_b32 v5, v5, v3, s2
	v_dual_mov_b32 v3, v2 :: v_dual_bitop2_b32 v4, v4, v2 bitop3:0x14
	s_delay_alu instid0(VALU_DEP_2) | instskip(NEXT) | instid1(VALU_DEP_1)
	v_xor_b32_e32 v5, v5, v2
	v_sub_nc_u64_e32 v[2:3], v[4:5], v[2:3]
.LBB80_2:
	s_or_saveexec_b32 s2, s8
	s_load_b512 s[4:19], s[0:1], 0x0
	s_xor_b32 exec_lo, exec_lo, s2
	s_cbranch_execz .LBB80_4
; %bb.3:
	v_cvt_f32_u32_e32 v2, s20
	s_sub_co_i32 s3, 0, s20
	s_delay_alu instid0(VALU_DEP_1) | instskip(SKIP_1) | instid1(TRANS32_DEP_1)
	v_rcp_iflag_f32_e32 v2, v2
	v_nop
	v_mul_f32_e32 v2, 0x4f7ffffe, v2
	s_delay_alu instid0(VALU_DEP_1) | instskip(NEXT) | instid1(VALU_DEP_1)
	v_cvt_u32_f32_e32 v2, v2
	v_mul_lo_u32 v3, s3, v2
	s_delay_alu instid0(VALU_DEP_1) | instskip(NEXT) | instid1(VALU_DEP_1)
	v_mul_hi_u32 v3, v2, v3
	v_add_nc_u32_e32 v2, v2, v3
	s_delay_alu instid0(VALU_DEP_1) | instskip(NEXT) | instid1(VALU_DEP_1)
	v_mul_hi_u32 v2, v0, v2
	v_mul_lo_u32 v3, v2, s20
	s_delay_alu instid0(VALU_DEP_1) | instskip(NEXT) | instid1(VALU_DEP_1)
	v_dual_add_nc_u32 v4, 1, v2 :: v_dual_sub_nc_u32 v3, v0, v3
	v_subrev_nc_u32_e32 v5, s20, v3
	v_cmp_le_u32_e32 vcc_lo, s20, v3
	s_delay_alu instid0(VALU_DEP_2) | instskip(NEXT) | instid1(VALU_DEP_1)
	v_dual_cndmask_b32 v3, v3, v5 :: v_dual_cndmask_b32 v2, v2, v4
	v_cmp_le_u32_e32 vcc_lo, s20, v3
	s_delay_alu instid0(VALU_DEP_2) | instskip(NEXT) | instid1(VALU_DEP_1)
	v_dual_mov_b32 v3, 0 :: v_dual_add_nc_u32 v4, 1, v2
	v_cndmask_b32_e32 v2, v2, v4, vcc_lo
.LBB80_4:
	s_or_b32 exec_lo, exec_lo, s2
	s_delay_alu instid0(VALU_DEP_1) | instskip(SKIP_1) | instid1(VALU_DEP_1)
	v_mul_u64_e32 v[4:5], s[20:21], v[2:3]
	s_mov_b32 s2, exec_lo
	v_sub_nc_u64_e32 v[0:1], v[0:1], v[4:5]
	s_wait_kmcnt 0x0
	s_delay_alu instid0(VALU_DEP_1)
	v_cmpx_gt_i64_e64 s[12:13], v[0:1]
	s_cbranch_execz .LBB80_19
; %bb.5:
	s_load_b64 s[2:3], s[16:17], 0x0
	v_ashrrev_i32_e32 v3, 31, v2
	s_wait_kmcnt 0x0
	s_delay_alu instid0(VALU_DEP_1)
	v_cmp_gt_i64_e32 vcc_lo, s[2:3], v[2:3]
	s_and_b32 exec_lo, exec_lo, vcc_lo
	s_cbranch_execz .LBB80_19
; %bb.6:
	v_lshl_add_u64 v[4:5], v[2:3], 2, s[14:15]
	s_add_nc_u64 s[2:3], s[2:3], -1
                                        ; implicit-def: $vgpr18
	s_delay_alu instid0(SALU_CYCLE_1) | instskip(SKIP_3) | instid1(SALU_CYCLE_1)
	v_cmp_ne_u64_e32 vcc_lo, s[2:3], v[2:3]
	global_load_b32 v4, v[4:5], off
	s_wait_xcnt 0x0
	s_and_saveexec_b32 s2, vcc_lo
	s_xor_b32 s2, exec_lo, s2
	s_cbranch_execz .LBB80_8
; %bb.7:
	v_dual_mov_b32 v6, 0 :: v_dual_add_nc_u32 v7, 1, v2
	s_delay_alu instid0(VALU_DEP_1) | instskip(NEXT) | instid1(VALU_DEP_1)
	v_ashrrev_i64 v[6:7], 30, v[6:7]
	v_add_nc_u64_e32 v[6:7], s[14:15], v[6:7]
	global_load_b32 v18, v[6:7], off
.LBB80_8:
	s_wait_xcnt 0x0
	s_or_saveexec_b32 s2, s2
	s_load_b256 s[20:27], s[0:1], 0x40
	s_xor_b32 exec_lo, exec_lo, s2
	s_cbranch_execz .LBB80_10
; %bb.9:
	s_wait_loadcnt 0x0
	v_mov_b32_e32 v18, s10
.LBB80_10:
	s_or_b32 exec_lo, exec_lo, s2
	v_mov_b64_e32 v[6:7], 0
	s_wait_xcnt 0x0
	s_mov_b32 s0, exec_lo
	s_wait_loadcnt 0x0
	v_cmpx_lt_i32_e64 v4, v18
	s_cbranch_execz .LBB80_17
; %bb.11:
	v_ashrrev_i32_e32 v5, 31, v4
	v_lshl_add_u64 v[8:9], v[0:1], 3, s[6:7]
	s_cmp_lg_u64 s[8:9], 0
	s_mov_b32 s2, 0
	s_cselect_b32 s1, -1, 0
	v_lshlrev_b64_e32 v[6:7], 2, v[4:5]
	s_delay_alu instid0(VALU_DEP_1)
	v_add_nc_u64_e32 v[10:11], s[4:5], v[6:7]
	v_add_nc_u64_e32 v[12:13], s[8:9], v[6:7]
	v_mov_b64_e32 v[6:7], 0
	s_branch .LBB80_14
.LBB80_12:                              ;   in Loop: Header=BB80_14 Depth=1
	global_load_b32 v5, v[12:13], off
	s_wait_loadcnt 0x0
	v_cvt_f64_i32_e32 v[16:17], v5
	s_delay_alu instid0(VALU_DEP_1) | instskip(NEXT) | instid1(VALU_DEP_1)
	v_div_scale_f64 v[20:21], null, v[16:17], v[16:17], 1.0
	v_rcp_f64_e32 v[22:23], v[20:21]
	v_nop
	s_delay_alu instid0(TRANS32_DEP_1) | instskip(NEXT) | instid1(VALU_DEP_1)
	v_fma_f64 v[24:25], -v[20:21], v[22:23], 1.0
	v_fmac_f64_e32 v[22:23], v[22:23], v[24:25]
	s_delay_alu instid0(VALU_DEP_1) | instskip(NEXT) | instid1(VALU_DEP_1)
	v_fma_f64 v[24:25], -v[20:21], v[22:23], 1.0
	v_fmac_f64_e32 v[22:23], v[22:23], v[24:25]
	v_div_scale_f64 v[24:25], vcc_lo, 1.0, v[16:17], 1.0
	s_delay_alu instid0(VALU_DEP_1) | instskip(NEXT) | instid1(VALU_DEP_1)
	v_mul_f64_e32 v[26:27], v[24:25], v[22:23]
	v_fma_f64 v[20:21], -v[20:21], v[26:27], v[24:25]
	s_delay_alu instid0(VALU_DEP_1) | instskip(NEXT) | instid1(VALU_DEP_1)
	v_div_fmas_f64 v[20:21], v[20:21], v[22:23], v[26:27]
	v_div_fixup_f64 v[16:17], v[20:21], v[16:17], 1.0
.LBB80_13:                              ;   in Loop: Header=BB80_14 Depth=1
	s_wait_loadcnt 0x0
	v_dual_ashrrev_i32 v15, 31, v14 :: v_dual_add_nc_u32 v4, 1, v4
	v_add_nc_u64_e32 v[10:11], 4, v[10:11]
	v_add_nc_u64_e32 v[12:13], 4, v[12:13]
	s_delay_alu instid0(VALU_DEP_3) | instskip(NEXT) | instid1(VALU_DEP_4)
	v_mul_u64_e32 v[14:15], s[12:13], v[14:15]
	v_cmp_ge_i32_e32 vcc_lo, v4, v18
	s_or_b32 s2, vcc_lo, s2
	s_delay_alu instid0(VALU_DEP_2)
	v_lshl_add_u64 v[14:15], v[14:15], 3, v[8:9]
	global_load_b64 v[14:15], v[14:15], off
	s_wait_loadcnt 0x0
	v_fmac_f64_e32 v[6:7], v[16:17], v[14:15]
	s_and_not1_b32 exec_lo, exec_lo, s2
	s_cbranch_execz .LBB80_16
.LBB80_14:                              ; =>This Inner Loop Header: Depth=1
	global_load_b32 v14, v[10:11], off
	s_and_not1_b32 vcc_lo, exec_lo, s1
	s_cbranch_vccz .LBB80_12
; %bb.15:                               ;   in Loop: Header=BB80_14 Depth=1
	v_mov_b64_e32 v[16:17], 1.0
	s_branch .LBB80_13
.LBB80_16:
	s_or_b32 exec_lo, exec_lo, s2
.LBB80_17:
	s_delay_alu instid0(SALU_CYCLE_1)
	s_or_b32 exec_lo, exec_lo, s0
	s_wait_kmcnt 0x0
	v_lshl_add_u64 v[2:3], v[2:3], 2, s[20:21]
	global_load_b32 v2, v[2:3], off
	s_wait_loadcnt 0x0
	global_load_b32 v2, v2, s[22:23] scale_offset
	s_wait_loadcnt 0x0
	global_load_b32 v2, v2, s[18:19] scale_offset
	s_wait_loadcnt 0x0
	v_ashrrev_i32_e32 v3, 31, v2
	s_delay_alu instid0(VALU_DEP_1)
	v_cmp_ne_u64_e32 vcc_lo, s[26:27], v[2:3]
	s_and_b32 exec_lo, exec_lo, vcc_lo
	s_cbranch_execz .LBB80_19
; %bb.18:
	v_mul_u64_e32 v[2:3], s[12:13], v[2:3]
	s_delay_alu instid0(VALU_DEP_1) | instskip(NEXT) | instid1(VALU_DEP_1)
	v_lshl_add_u64 v[2:3], v[2:3], 3, s[24:25]
	v_lshl_add_u64 v[0:1], v[0:1], 3, v[2:3]
	global_atomic_add_f64 v[0:1], v[6:7], off scope:SCOPE_DEV
.LBB80_19:
	s_endpgm
	.section	.rodata,"a",@progbits
	.p2align	6, 0x0
	.amdhsa_kernel _ZN2at6native12_GLOBAL__N_137compute_grad_weight_atomic_accumulateIddiEEvPKT1_PKT_S5_llS5_PKlS5_S5_S5_PT0_ll
		.amdhsa_group_segment_fixed_size 0
		.amdhsa_private_segment_fixed_size 0
		.amdhsa_kernarg_size 360
		.amdhsa_user_sgpr_count 2
		.amdhsa_user_sgpr_dispatch_ptr 0
		.amdhsa_user_sgpr_queue_ptr 0
		.amdhsa_user_sgpr_kernarg_segment_ptr 1
		.amdhsa_user_sgpr_dispatch_id 0
		.amdhsa_user_sgpr_kernarg_preload_length 0
		.amdhsa_user_sgpr_kernarg_preload_offset 0
		.amdhsa_user_sgpr_private_segment_size 0
		.amdhsa_wavefront_size32 1
		.amdhsa_uses_dynamic_stack 0
		.amdhsa_enable_private_segment 0
		.amdhsa_system_sgpr_workgroup_id_x 1
		.amdhsa_system_sgpr_workgroup_id_y 0
		.amdhsa_system_sgpr_workgroup_id_z 0
		.amdhsa_system_sgpr_workgroup_info 0
		.amdhsa_system_vgpr_workitem_id 0
		.amdhsa_next_free_vgpr 28
		.amdhsa_next_free_sgpr 28
		.amdhsa_named_barrier_count 0
		.amdhsa_reserve_vcc 1
		.amdhsa_float_round_mode_32 0
		.amdhsa_float_round_mode_16_64 0
		.amdhsa_float_denorm_mode_32 3
		.amdhsa_float_denorm_mode_16_64 3
		.amdhsa_fp16_overflow 0
		.amdhsa_memory_ordered 1
		.amdhsa_forward_progress 1
		.amdhsa_inst_pref_size 12
		.amdhsa_round_robin_scheduling 0
		.amdhsa_exception_fp_ieee_invalid_op 0
		.amdhsa_exception_fp_denorm_src 0
		.amdhsa_exception_fp_ieee_div_zero 0
		.amdhsa_exception_fp_ieee_overflow 0
		.amdhsa_exception_fp_ieee_underflow 0
		.amdhsa_exception_fp_ieee_inexact 0
		.amdhsa_exception_int_div_zero 0
	.end_amdhsa_kernel
	.section	.text._ZN2at6native12_GLOBAL__N_137compute_grad_weight_atomic_accumulateIddiEEvPKT1_PKT_S5_llS5_PKlS5_S5_S5_PT0_ll,"axG",@progbits,_ZN2at6native12_GLOBAL__N_137compute_grad_weight_atomic_accumulateIddiEEvPKT1_PKT_S5_llS5_PKlS5_S5_S5_PT0_ll,comdat
.Lfunc_end80:
	.size	_ZN2at6native12_GLOBAL__N_137compute_grad_weight_atomic_accumulateIddiEEvPKT1_PKT_S5_llS5_PKlS5_S5_S5_PT0_ll, .Lfunc_end80-_ZN2at6native12_GLOBAL__N_137compute_grad_weight_atomic_accumulateIddiEEvPKT1_PKT_S5_llS5_PKlS5_S5_S5_PT0_ll
                                        ; -- End function
	.set _ZN2at6native12_GLOBAL__N_137compute_grad_weight_atomic_accumulateIddiEEvPKT1_PKT_S5_llS5_PKlS5_S5_S5_PT0_ll.num_vgpr, 28
	.set _ZN2at6native12_GLOBAL__N_137compute_grad_weight_atomic_accumulateIddiEEvPKT1_PKT_S5_llS5_PKlS5_S5_S5_PT0_ll.num_agpr, 0
	.set _ZN2at6native12_GLOBAL__N_137compute_grad_weight_atomic_accumulateIddiEEvPKT1_PKT_S5_llS5_PKlS5_S5_S5_PT0_ll.numbered_sgpr, 28
	.set _ZN2at6native12_GLOBAL__N_137compute_grad_weight_atomic_accumulateIddiEEvPKT1_PKT_S5_llS5_PKlS5_S5_S5_PT0_ll.num_named_barrier, 0
	.set _ZN2at6native12_GLOBAL__N_137compute_grad_weight_atomic_accumulateIddiEEvPKT1_PKT_S5_llS5_PKlS5_S5_S5_PT0_ll.private_seg_size, 0
	.set _ZN2at6native12_GLOBAL__N_137compute_grad_weight_atomic_accumulateIddiEEvPKT1_PKT_S5_llS5_PKlS5_S5_S5_PT0_ll.uses_vcc, 1
	.set _ZN2at6native12_GLOBAL__N_137compute_grad_weight_atomic_accumulateIddiEEvPKT1_PKT_S5_llS5_PKlS5_S5_S5_PT0_ll.uses_flat_scratch, 0
	.set _ZN2at6native12_GLOBAL__N_137compute_grad_weight_atomic_accumulateIddiEEvPKT1_PKT_S5_llS5_PKlS5_S5_S5_PT0_ll.has_dyn_sized_stack, 0
	.set _ZN2at6native12_GLOBAL__N_137compute_grad_weight_atomic_accumulateIddiEEvPKT1_PKT_S5_llS5_PKlS5_S5_S5_PT0_ll.has_recursion, 0
	.set _ZN2at6native12_GLOBAL__N_137compute_grad_weight_atomic_accumulateIddiEEvPKT1_PKT_S5_llS5_PKlS5_S5_S5_PT0_ll.has_indirect_call, 0
	.section	.AMDGPU.csdata,"",@progbits
; Kernel info:
; codeLenInByte = 1460
; TotalNumSgprs: 30
; NumVgprs: 28
; ScratchSize: 0
; MemoryBound: 0
; FloatMode: 240
; IeeeMode: 1
; LDSByteSize: 0 bytes/workgroup (compile time only)
; SGPRBlocks: 0
; VGPRBlocks: 1
; NumSGPRsForWavesPerEU: 30
; NumVGPRsForWavesPerEU: 28
; NamedBarCnt: 0
; Occupancy: 16
; WaveLimiterHint : 1
; COMPUTE_PGM_RSRC2:SCRATCH_EN: 0
; COMPUTE_PGM_RSRC2:USER_SGPR: 2
; COMPUTE_PGM_RSRC2:TRAP_HANDLER: 0
; COMPUTE_PGM_RSRC2:TGID_X_EN: 1
; COMPUTE_PGM_RSRC2:TGID_Y_EN: 0
; COMPUTE_PGM_RSRC2:TGID_Z_EN: 0
; COMPUTE_PGM_RSRC2:TIDIG_COMP_CNT: 0
	.section	.text._ZN2at6native12_GLOBAL__N_124compute_grad_weight_bagsIdiEEvPKT0_PKT_S5_S5_lliS5_S8_lS5_PKlPNS_14AccumulateTypeIS6_Lb1EE4typeEl,"axG",@progbits,_ZN2at6native12_GLOBAL__N_124compute_grad_weight_bagsIdiEEvPKT0_PKT_S5_S5_lliS5_S8_lS5_PKlPNS_14AccumulateTypeIS6_Lb1EE4typeEl,comdat
	.globl	_ZN2at6native12_GLOBAL__N_124compute_grad_weight_bagsIdiEEvPKT0_PKT_S5_S5_lliS5_S8_lS5_PKlPNS_14AccumulateTypeIS6_Lb1EE4typeEl ; -- Begin function _ZN2at6native12_GLOBAL__N_124compute_grad_weight_bagsIdiEEvPKT0_PKT_S5_S5_lliS5_S8_lS5_PKlPNS_14AccumulateTypeIS6_Lb1EE4typeEl
	.p2align	8
	.type	_ZN2at6native12_GLOBAL__N_124compute_grad_weight_bagsIdiEEvPKT0_PKT_S5_S5_lliS5_S8_lS5_PKlPNS_14AccumulateTypeIS6_Lb1EE4typeEl,@function
_ZN2at6native12_GLOBAL__N_124compute_grad_weight_bagsIdiEEvPKT0_PKT_S5_S5_lliS5_S8_lS5_PKlPNS_14AccumulateTypeIS6_Lb1EE4typeEl: ; @_ZN2at6native12_GLOBAL__N_124compute_grad_weight_bagsIdiEEvPKT0_PKT_S5_S5_lliS5_S8_lS5_PKlPNS_14AccumulateTypeIS6_Lb1EE4typeEl
; %bb.0:
	s_load_b32 s2, s[0:1], 0x7c
	s_bfe_u32 s3, ttmp6, 0x4000c
	s_clause 0x1
	s_load_b64 s[4:5], s[0:1], 0x68
	s_load_b128 s[20:23], s[0:1], 0x58
	s_add_co_i32 s3, s3, 1
	s_and_b32 s6, ttmp6, 15
	s_mul_i32 s3, ttmp9, s3
	s_getreg_b32 s7, hwreg(HW_REG_IB_STS2, 6, 4)
	v_mov_b32_e32 v1, 0
	s_add_co_i32 s6, s6, s3
	s_wait_kmcnt 0x0
	s_and_b32 s2, s2, 0xffff
	s_cmp_eq_u32 s7, 0
	s_cselect_b32 s3, ttmp9, s6
	s_delay_alu instid0(SALU_CYCLE_1) | instskip(SKIP_1) | instid1(VALU_DEP_1)
	v_mad_nc_u64_u32 v[2:3], s2, s3, v[0:1]
	s_mov_b32 s3, 0
	v_dual_mov_b32 v4, v1 :: v_dual_bitop2_b32 v5, s5, v3 bitop3:0x54
	s_delay_alu instid0(VALU_DEP_1) | instskip(SKIP_1) | instid1(SALU_CYCLE_1)
	v_cmp_ne_u64_e32 vcc_lo, 0, v[4:5]
                                        ; implicit-def: $vgpr4_vgpr5
	s_and_saveexec_b32 s2, vcc_lo
	s_xor_b32 s10, exec_lo, s2
	s_cbranch_execz .LBB81_2
; %bb.1:
	s_ashr_i32 s6, s5, 31
	v_dual_mov_b32 v9, v1 :: v_dual_ashrrev_i32 v4, 31, v3
	s_mov_b32 s7, s6
	v_mov_b32_e32 v15, v1
	s_add_nc_u64 s[8:9], s[4:5], s[6:7]
	s_delay_alu instid0(VALU_DEP_2) | instskip(SKIP_1) | instid1(SALU_CYCLE_1)
	v_mov_b32_e32 v5, v4
	s_xor_b64 s[8:9], s[8:9], s[6:7]
	s_cvt_f32_u32 s2, s8
	s_cvt_f32_u32 s7, s9
	s_sub_nc_u64 s[14:15], 0, s[8:9]
	v_add_nc_u64_e32 v[6:7], v[2:3], v[4:5]
	s_delay_alu instid0(SALU_CYCLE_1) | instskip(NEXT) | instid1(SALU_CYCLE_3)
	s_fmamk_f32 s2, s7, 0x4f800000, s2
	v_s_rcp_f32 s2, s2
	s_delay_alu instid0(VALU_DEP_1) | instskip(NEXT) | instid1(VALU_DEP_2)
	v_xor_b32_e32 v0, v6, v4
	v_xor_b32_e32 v8, v7, v4
	s_delay_alu instid0(TRANS32_DEP_1) | instskip(NEXT) | instid1(SALU_CYCLE_3)
	s_mul_f32 s2, s2, 0x5f7ffffc
	s_mul_f32 s7, s2, 0x2f800000
	s_delay_alu instid0(SALU_CYCLE_3) | instskip(NEXT) | instid1(SALU_CYCLE_3)
	s_trunc_f32 s7, s7
	s_fmamk_f32 s2, s7, 0xcf800000, s2
	s_cvt_u32_f32 s13, s7
	s_delay_alu instid0(SALU_CYCLE_2) | instskip(NEXT) | instid1(SALU_CYCLE_3)
	s_cvt_u32_f32 s12, s2
	s_mul_u64 s[16:17], s[14:15], s[12:13]
	s_delay_alu instid0(SALU_CYCLE_1)
	s_mul_hi_u32 s19, s12, s17
	s_mul_i32 s18, s12, s17
	s_mul_hi_u32 s2, s12, s16
	s_mul_i32 s11, s13, s16
	s_add_nc_u64 s[18:19], s[2:3], s[18:19]
	s_mul_hi_u32 s7, s13, s16
	s_mul_hi_u32 s24, s13, s17
	s_add_co_u32 s2, s18, s11
	s_add_co_ci_u32 s2, s19, s7
	s_mul_i32 s16, s13, s17
	s_add_co_ci_u32 s17, s24, 0
	s_delay_alu instid0(SALU_CYCLE_1) | instskip(NEXT) | instid1(SALU_CYCLE_1)
	s_add_nc_u64 s[16:17], s[2:3], s[16:17]
	s_add_co_u32 s12, s12, s16
	s_cselect_b32 s2, -1, 0
	s_delay_alu instid0(SALU_CYCLE_1) | instskip(SKIP_1) | instid1(SALU_CYCLE_1)
	s_cmp_lg_u32 s2, 0
	s_add_co_ci_u32 s13, s13, s17
	s_mul_u64 s[14:15], s[14:15], s[12:13]
	s_delay_alu instid0(SALU_CYCLE_1)
	s_mul_hi_u32 s17, s12, s15
	s_mul_i32 s16, s12, s15
	s_mul_hi_u32 s2, s12, s14
	s_mul_i32 s11, s13, s14
	s_add_nc_u64 s[16:17], s[2:3], s[16:17]
	s_mul_hi_u32 s7, s13, s14
	s_mul_hi_u32 s18, s13, s15
	s_add_co_u32 s2, s16, s11
	s_add_co_ci_u32 s2, s17, s7
	s_mul_i32 s14, s13, s15
	s_add_co_ci_u32 s15, s18, 0
	s_delay_alu instid0(SALU_CYCLE_1) | instskip(NEXT) | instid1(SALU_CYCLE_1)
	s_add_nc_u64 s[14:15], s[2:3], s[14:15]
	s_add_co_u32 s12, s12, s14
	s_cselect_b32 s2, -1, 0
	v_mul_hi_u32 v14, v0, s12
	s_cmp_lg_u32 s2, 0
	s_add_co_ci_u32 s2, s13, s15
	s_mov_b64 s[14:15], 0xffffffff
	v_mul_u64_e32 v[10:11], s[2:3], v[0:1]
	s_and_b64 s[14:15], s[12:13], s[14:15]
	v_mul_u64_e32 v[12:13], s[2:3], v[8:9]
	v_mul_u64_e32 v[6:7], s[14:15], v[8:9]
	s_delay_alu instid0(VALU_DEP_3) | instskip(NEXT) | instid1(VALU_DEP_1)
	v_add_nc_u64_e32 v[10:11], v[14:15], v[10:11]
	v_add_co_u32 v1, vcc_lo, v10, v6
	s_delay_alu instid0(VALU_DEP_2) | instskip(SKIP_1) | instid1(VALU_DEP_1)
	v_add_co_ci_u32_e32 v14, vcc_lo, v11, v7, vcc_lo
	v_add_co_ci_u32_e32 v13, vcc_lo, 0, v13, vcc_lo
	v_add_nc_u64_e32 v[6:7], v[14:15], v[12:13]
	s_delay_alu instid0(VALU_DEP_1) | instskip(NEXT) | instid1(VALU_DEP_1)
	v_mul_u64_e32 v[10:11], s[8:9], v[6:7]
	v_sub_nc_u32_e32 v1, v8, v11
	s_delay_alu instid0(VALU_DEP_2) | instskip(NEXT) | instid1(VALU_DEP_1)
	v_sub_co_u32 v0, vcc_lo, v0, v10
	v_sub_co_ci_u32_e64 v10, null, v8, v11, vcc_lo
	s_delay_alu instid0(VALU_DEP_3) | instskip(NEXT) | instid1(VALU_DEP_3)
	v_subrev_co_ci_u32_e64 v1, null, s9, v1, vcc_lo
	v_sub_co_u32 v5, s2, v0, s8
	s_delay_alu instid0(VALU_DEP_1) | instskip(NEXT) | instid1(VALU_DEP_2)
	v_subrev_co_ci_u32_e64 v1, null, 0, v1, s2
	v_cmp_le_u32_e32 vcc_lo, s8, v5
	v_cndmask_b32_e64 v5, 0, -1, vcc_lo
	s_delay_alu instid0(VALU_DEP_3)
	v_cmp_le_u32_e32 vcc_lo, s9, v1
	v_cndmask_b32_e64 v8, 0, -1, vcc_lo
	v_cmp_le_u32_e32 vcc_lo, s8, v0
	v_cndmask_b32_e64 v11, 0, -1, vcc_lo
	v_cmp_le_u32_e32 vcc_lo, s9, v10
	v_cndmask_b32_e64 v12, 0, -1, vcc_lo
	v_cmp_eq_u32_e32 vcc_lo, s9, v1
	v_add_nc_u64_e32 v[0:1], 2, v[6:7]
	v_cndmask_b32_e32 v5, v8, v5, vcc_lo
	v_cmp_eq_u32_e32 vcc_lo, s9, v10
	v_add_nc_u64_e32 v[8:9], 1, v[6:7]
	v_cndmask_b32_e32 v10, v12, v11, vcc_lo
	s_delay_alu instid0(VALU_DEP_4) | instskip(NEXT) | instid1(VALU_DEP_3)
	v_cmp_ne_u32_e32 vcc_lo, 0, v5
	v_cndmask_b32_e32 v1, v9, v1, vcc_lo
	s_delay_alu instid0(VALU_DEP_3) | instskip(SKIP_1) | instid1(VALU_DEP_2)
	v_cmp_ne_u32_e64 s2, 0, v10
	v_cndmask_b32_e32 v5, v8, v0, vcc_lo
	v_dual_cndmask_b32 v4, v7, v1, s2 :: v_dual_bitop2_b32 v0, s6, v4 bitop3:0x14
	s_delay_alu instid0(VALU_DEP_1) | instskip(NEXT) | instid1(VALU_DEP_2)
	v_dual_cndmask_b32 v6, v6, v5, s2 :: v_dual_mov_b32 v1, v0
	v_xor_b32_e32 v5, v4, v0
	s_delay_alu instid0(VALU_DEP_2) | instskip(NEXT) | instid1(VALU_DEP_1)
	v_xor_b32_e32 v4, v6, v0
	v_sub_nc_u64_e32 v[4:5], v[4:5], v[0:1]
.LBB81_2:
	s_or_saveexec_b32 s2, s10
	s_load_b64 s[20:21], s[20:21], 0x0
	s_xor_b32 exec_lo, exec_lo, s2
	s_cbranch_execz .LBB81_4
; %bb.3:
	v_cvt_f32_u32_e32 v0, s4
	s_sub_co_i32 s3, 0, s4
	s_delay_alu instid0(VALU_DEP_1) | instskip(SKIP_1) | instid1(TRANS32_DEP_1)
	v_rcp_iflag_f32_e32 v0, v0
	v_nop
	v_mul_f32_e32 v0, 0x4f7ffffe, v0
	s_delay_alu instid0(VALU_DEP_1) | instskip(NEXT) | instid1(VALU_DEP_1)
	v_cvt_u32_f32_e32 v0, v0
	v_mul_lo_u32 v1, s3, v0
	s_delay_alu instid0(VALU_DEP_1) | instskip(NEXT) | instid1(VALU_DEP_1)
	v_mul_hi_u32 v1, v0, v1
	v_add_nc_u32_e32 v0, v0, v1
	s_delay_alu instid0(VALU_DEP_1) | instskip(NEXT) | instid1(VALU_DEP_1)
	v_mul_hi_u32 v0, v2, v0
	v_mul_lo_u32 v1, v0, s4
	s_delay_alu instid0(VALU_DEP_1) | instskip(NEXT) | instid1(VALU_DEP_1)
	v_sub_nc_u32_e32 v1, v2, v1
	v_subrev_nc_u32_e32 v5, s4, v1
	v_cmp_le_u32_e32 vcc_lo, s4, v1
	s_delay_alu instid0(VALU_DEP_2) | instskip(NEXT) | instid1(VALU_DEP_1)
	v_dual_cndmask_b32 v1, v1, v5 :: v_dual_add_nc_u32 v4, 1, v0
	v_dual_cndmask_b32 v0, v0, v4 :: v_dual_mov_b32 v5, 0
	s_delay_alu instid0(VALU_DEP_2) | instskip(NEXT) | instid1(VALU_DEP_2)
	v_cmp_le_u32_e32 vcc_lo, s4, v1
	v_add_nc_u32_e32 v4, 1, v0
	s_delay_alu instid0(VALU_DEP_1)
	v_cndmask_b32_e32 v4, v0, v4, vcc_lo
.LBB81_4:
	s_or_b32 exec_lo, exec_lo, s2
	s_delay_alu instid0(VALU_DEP_1) | instskip(SKIP_3) | instid1(VALU_DEP_2)
	v_mul_u64_e32 v[0:1], s[4:5], v[4:5]
	s_load_b128 s[24:27], s[0:1], 0x20
	s_wait_kmcnt 0x0
	v_cmp_gt_i64_e64 s2, s[20:21], v[4:5]
	v_sub_nc_u64_e32 v[0:1], v[2:3], v[0:1]
	s_delay_alu instid0(VALU_DEP_1) | instskip(SKIP_1) | instid1(SALU_CYCLE_1)
	v_cmp_gt_i64_e32 vcc_lo, s[26:27], v[0:1]
	s_and_b32 s2, vcc_lo, s2
	s_and_saveexec_b32 s3, s2
	s_cbranch_execz .LBB81_20
; %bb.5:
	s_clause 0x1
	s_load_b256 s[4:11], s[0:1], 0x38
	s_load_b256 s[12:19], s[0:1], 0x0
	s_add_nc_u64 s[2:3], s[20:21], -1
                                        ; implicit-def: $vgpr18
	s_delay_alu instid0(SALU_CYCLE_1)
	v_cmp_ne_u64_e32 vcc_lo, s[2:3], v[4:5]
	s_wait_kmcnt 0x0
	v_lshl_add_u64 v[6:7], v[4:5], 2, s[10:11]
	global_load_b32 v2, v[6:7], off
	s_wait_xcnt 0x0
	s_and_saveexec_b32 s2, vcc_lo
	s_delay_alu instid0(SALU_CYCLE_1)
	s_xor_b32 s2, exec_lo, s2
	s_cbranch_execz .LBB81_7
; %bb.6:
	global_load_b32 v18, v[6:7], off offset:4
.LBB81_7:
	s_wait_xcnt 0x0
	s_and_not1_saveexec_b32 s2, s2
	s_cbranch_execz .LBB81_9
; %bb.8:
	s_wait_loadcnt 0x0
	v_mov_b32_e32 v18, s24
.LBB81_9:
	s_or_b32 exec_lo, exec_lo, s2
	v_mov_b64_e32 v[6:7], 0
	s_mov_b32 s2, exec_lo
	s_wait_loadcnt 0x0
	v_cmpx_lt_i32_e64 v2, v18
	s_cbranch_execz .LBB81_19
; %bb.10:
	s_load_b32 s3, s[0:1], 0x30
	v_ashrrev_i32_e32 v3, 31, v2
	s_cmp_lg_u64 s[18:19], 0
	v_mov_b64_e32 v[6:7], 0
	s_wait_xcnt 0x0
	s_cselect_b32 s0, -1, 0
	s_cmp_lg_u64 s[6:7], 0
	v_lshlrev_b64_e32 v[12:13], 2, v[2:3]
	v_lshl_add_u64 v[8:9], v[0:1], 3, s[14:15]
	s_cselect_b32 s1, -1, 0
	s_mov_b32 s10, 0
	s_delay_alu instid0(VALU_DEP_2)
	v_add_nc_u64_e32 v[10:11], s[12:13], v[12:13]
	v_add_nc_u64_e32 v[12:13], s[18:19], v[12:13]
	s_wait_kmcnt 0x0
	s_cmp_lg_u32 s3, 0
	s_cselect_b32 s3, -1, 0
	s_branch .LBB81_12
.LBB81_11:                              ;   in Loop: Header=BB81_12 Depth=1
	s_wait_loadcnt 0x0
	s_delay_alu instid0(VALU_DEP_1) | instskip(SKIP_3) | instid1(VALU_DEP_3)
	v_fmac_f64_e32 v[6:7], v[14:15], v[16:17]
	v_add_nc_u32_e32 v2, 1, v2
	v_add_nc_u64_e32 v[10:11], 4, v[10:11]
	v_add_nc_u64_e32 v[12:13], 4, v[12:13]
	v_cmp_ge_i32_e32 vcc_lo, v2, v18
	s_or_b32 s10, vcc_lo, s10
	s_delay_alu instid0(SALU_CYCLE_1)
	s_and_not1_b32 exec_lo, exec_lo, s10
	s_cbranch_execz .LBB81_18
.LBB81_12:                              ; =>This Inner Loop Header: Depth=1
	global_load_b32 v16, v[10:11], off
	s_and_not1_b32 vcc_lo, exec_lo, s0
	s_wait_loadcnt 0x0
	global_load_b32 v3, v16, s[16:17] scale_offset
	s_cbranch_vccnz .LBB81_17
; %bb.13:                               ;   in Loop: Header=BB81_12 Depth=1
	global_load_b32 v14, v[12:13], off
	s_wait_loadcnt 0x0
	v_cvt_f64_i32_e32 v[14:15], v14
	s_delay_alu instid0(VALU_DEP_1) | instskip(NEXT) | instid1(VALU_DEP_1)
	v_div_scale_f64 v[20:21], null, v[14:15], v[14:15], 1.0
	v_rcp_f64_e32 v[22:23], v[20:21]
	v_nop
	s_delay_alu instid0(TRANS32_DEP_1) | instskip(NEXT) | instid1(VALU_DEP_1)
	v_fma_f64 v[24:25], -v[20:21], v[22:23], 1.0
	v_fmac_f64_e32 v[22:23], v[22:23], v[24:25]
	s_delay_alu instid0(VALU_DEP_1) | instskip(NEXT) | instid1(VALU_DEP_1)
	v_fma_f64 v[24:25], -v[20:21], v[22:23], 1.0
	v_fmac_f64_e32 v[22:23], v[22:23], v[24:25]
	v_div_scale_f64 v[24:25], vcc_lo, 1.0, v[14:15], 1.0
	s_delay_alu instid0(VALU_DEP_1) | instskip(NEXT) | instid1(VALU_DEP_1)
	v_mul_f64_e32 v[26:27], v[24:25], v[22:23]
	v_fma_f64 v[20:21], -v[20:21], v[26:27], v[24:25]
	s_delay_alu instid0(VALU_DEP_1) | instskip(NEXT) | instid1(VALU_DEP_1)
	v_div_fmas_f64 v[20:21], v[20:21], v[22:23], v[26:27]
	v_div_fixup_f64 v[14:15], v[20:21], v[14:15], 1.0
	s_and_not1_b32 vcc_lo, exec_lo, s1
	s_cbranch_vccnz .LBB81_15
.LBB81_14:                              ;   in Loop: Header=BB81_12 Depth=1
	v_ashrrev_i32_e32 v17, 31, v16
	s_wait_xcnt 0x0
	s_delay_alu instid0(VALU_DEP_1) | instskip(NEXT) | instid1(VALU_DEP_1)
	v_mul_u64_e32 v[16:17], s[8:9], v[16:17]
	v_lshl_add_u64 v[16:17], v[16:17], 3, s[6:7]
	global_load_b64 v[16:17], v[16:17], off
	s_wait_loadcnt 0x0
	v_mul_f64_e32 v[14:15], v[14:15], v[16:17]
.LBB81_15:                              ;   in Loop: Header=BB81_12 Depth=1
	s_wait_loadcnt 0x0
	v_mul_lo_u32 v16, v3, s26
	s_and_not1_b32 vcc_lo, exec_lo, s3
	s_delay_alu instid0(VALU_DEP_1) | instskip(NEXT) | instid1(VALU_DEP_1)
	v_ashrrev_i32_e32 v17, 31, v16
	v_lshl_add_u64 v[16:17], v[16:17], 3, v[8:9]
	global_load_b64 v[16:17], v[16:17], off
	s_cbranch_vccnz .LBB81_11
; %bb.16:                               ;   in Loop: Header=BB81_12 Depth=1
	global_load_b32 v3, v3, s[4:5] scale_offset
	s_wait_loadcnt 0x0
	v_cvt_f64_i32_e32 v[20:21], v3
	s_delay_alu instid0(VALU_DEP_1) | instskip(NEXT) | instid1(VALU_DEP_1)
	v_div_scale_f64 v[22:23], null, v[20:21], v[20:21], v[16:17]
	v_rcp_f64_e32 v[24:25], v[22:23]
	v_nop
	s_delay_alu instid0(TRANS32_DEP_1) | instskip(NEXT) | instid1(VALU_DEP_1)
	v_fma_f64 v[26:27], -v[22:23], v[24:25], 1.0
	v_fmac_f64_e32 v[24:25], v[24:25], v[26:27]
	s_delay_alu instid0(VALU_DEP_1) | instskip(NEXT) | instid1(VALU_DEP_1)
	v_fma_f64 v[26:27], -v[22:23], v[24:25], 1.0
	v_fmac_f64_e32 v[24:25], v[24:25], v[26:27]
	v_div_scale_f64 v[26:27], vcc_lo, v[16:17], v[20:21], v[16:17]
	s_delay_alu instid0(VALU_DEP_1) | instskip(NEXT) | instid1(VALU_DEP_1)
	v_mul_f64_e32 v[28:29], v[26:27], v[24:25]
	v_fma_f64 v[22:23], -v[22:23], v[28:29], v[26:27]
	s_delay_alu instid0(VALU_DEP_1) | instskip(NEXT) | instid1(VALU_DEP_1)
	v_div_fmas_f64 v[22:23], v[22:23], v[24:25], v[28:29]
	v_div_fixup_f64 v[16:17], v[22:23], v[20:21], v[16:17]
	s_branch .LBB81_11
.LBB81_17:                              ;   in Loop: Header=BB81_12 Depth=1
	v_mov_b64_e32 v[14:15], 1.0
	s_and_not1_b32 vcc_lo, exec_lo, s1
	s_cbranch_vccz .LBB81_14
	s_branch .LBB81_15
.LBB81_18:
	s_or_b32 exec_lo, exec_lo, s10
.LBB81_19:
	s_delay_alu instid0(SALU_CYCLE_1) | instskip(SKIP_1) | instid1(VALU_DEP_1)
	s_or_b32 exec_lo, exec_lo, s2
	v_mul_u64_e32 v[2:3], s[26:27], v[4:5]
	v_lshl_add_u64 v[2:3], v[2:3], 3, s[22:23]
	s_delay_alu instid0(VALU_DEP_1)
	v_lshl_add_u64 v[0:1], v[0:1], 3, v[2:3]
	global_store_b64 v[0:1], v[6:7], off
.LBB81_20:
	s_endpgm
	.section	.rodata,"a",@progbits
	.p2align	6, 0x0
	.amdhsa_kernel _ZN2at6native12_GLOBAL__N_124compute_grad_weight_bagsIdiEEvPKT0_PKT_S5_S5_lliS5_S8_lS5_PKlPNS_14AccumulateTypeIS6_Lb1EE4typeEl
		.amdhsa_group_segment_fixed_size 0
		.amdhsa_private_segment_fixed_size 0
		.amdhsa_kernarg_size 368
		.amdhsa_user_sgpr_count 2
		.amdhsa_user_sgpr_dispatch_ptr 0
		.amdhsa_user_sgpr_queue_ptr 0
		.amdhsa_user_sgpr_kernarg_segment_ptr 1
		.amdhsa_user_sgpr_dispatch_id 0
		.amdhsa_user_sgpr_kernarg_preload_length 0
		.amdhsa_user_sgpr_kernarg_preload_offset 0
		.amdhsa_user_sgpr_private_segment_size 0
		.amdhsa_wavefront_size32 1
		.amdhsa_uses_dynamic_stack 0
		.amdhsa_enable_private_segment 0
		.amdhsa_system_sgpr_workgroup_id_x 1
		.amdhsa_system_sgpr_workgroup_id_y 0
		.amdhsa_system_sgpr_workgroup_id_z 0
		.amdhsa_system_sgpr_workgroup_info 0
		.amdhsa_system_vgpr_workitem_id 0
		.amdhsa_next_free_vgpr 30
		.amdhsa_next_free_sgpr 28
		.amdhsa_named_barrier_count 0
		.amdhsa_reserve_vcc 1
		.amdhsa_float_round_mode_32 0
		.amdhsa_float_round_mode_16_64 0
		.amdhsa_float_denorm_mode_32 3
		.amdhsa_float_denorm_mode_16_64 3
		.amdhsa_fp16_overflow 0
		.amdhsa_memory_ordered 1
		.amdhsa_forward_progress 1
		.amdhsa_inst_pref_size 13
		.amdhsa_round_robin_scheduling 0
		.amdhsa_exception_fp_ieee_invalid_op 0
		.amdhsa_exception_fp_denorm_src 0
		.amdhsa_exception_fp_ieee_div_zero 0
		.amdhsa_exception_fp_ieee_overflow 0
		.amdhsa_exception_fp_ieee_underflow 0
		.amdhsa_exception_fp_ieee_inexact 0
		.amdhsa_exception_int_div_zero 0
	.end_amdhsa_kernel
	.section	.text._ZN2at6native12_GLOBAL__N_124compute_grad_weight_bagsIdiEEvPKT0_PKT_S5_S5_lliS5_S8_lS5_PKlPNS_14AccumulateTypeIS6_Lb1EE4typeEl,"axG",@progbits,_ZN2at6native12_GLOBAL__N_124compute_grad_weight_bagsIdiEEvPKT0_PKT_S5_S5_lliS5_S8_lS5_PKlPNS_14AccumulateTypeIS6_Lb1EE4typeEl,comdat
.Lfunc_end81:
	.size	_ZN2at6native12_GLOBAL__N_124compute_grad_weight_bagsIdiEEvPKT0_PKT_S5_S5_lliS5_S8_lS5_PKlPNS_14AccumulateTypeIS6_Lb1EE4typeEl, .Lfunc_end81-_ZN2at6native12_GLOBAL__N_124compute_grad_weight_bagsIdiEEvPKT0_PKT_S5_S5_lliS5_S8_lS5_PKlPNS_14AccumulateTypeIS6_Lb1EE4typeEl
                                        ; -- End function
	.set _ZN2at6native12_GLOBAL__N_124compute_grad_weight_bagsIdiEEvPKT0_PKT_S5_S5_lliS5_S8_lS5_PKlPNS_14AccumulateTypeIS6_Lb1EE4typeEl.num_vgpr, 30
	.set _ZN2at6native12_GLOBAL__N_124compute_grad_weight_bagsIdiEEvPKT0_PKT_S5_S5_lliS5_S8_lS5_PKlPNS_14AccumulateTypeIS6_Lb1EE4typeEl.num_agpr, 0
	.set _ZN2at6native12_GLOBAL__N_124compute_grad_weight_bagsIdiEEvPKT0_PKT_S5_S5_lliS5_S8_lS5_PKlPNS_14AccumulateTypeIS6_Lb1EE4typeEl.numbered_sgpr, 28
	.set _ZN2at6native12_GLOBAL__N_124compute_grad_weight_bagsIdiEEvPKT0_PKT_S5_S5_lliS5_S8_lS5_PKlPNS_14AccumulateTypeIS6_Lb1EE4typeEl.num_named_barrier, 0
	.set _ZN2at6native12_GLOBAL__N_124compute_grad_weight_bagsIdiEEvPKT0_PKT_S5_S5_lliS5_S8_lS5_PKlPNS_14AccumulateTypeIS6_Lb1EE4typeEl.private_seg_size, 0
	.set _ZN2at6native12_GLOBAL__N_124compute_grad_weight_bagsIdiEEvPKT0_PKT_S5_S5_lliS5_S8_lS5_PKlPNS_14AccumulateTypeIS6_Lb1EE4typeEl.uses_vcc, 1
	.set _ZN2at6native12_GLOBAL__N_124compute_grad_weight_bagsIdiEEvPKT0_PKT_S5_S5_lliS5_S8_lS5_PKlPNS_14AccumulateTypeIS6_Lb1EE4typeEl.uses_flat_scratch, 0
	.set _ZN2at6native12_GLOBAL__N_124compute_grad_weight_bagsIdiEEvPKT0_PKT_S5_S5_lliS5_S8_lS5_PKlPNS_14AccumulateTypeIS6_Lb1EE4typeEl.has_dyn_sized_stack, 0
	.set _ZN2at6native12_GLOBAL__N_124compute_grad_weight_bagsIdiEEvPKT0_PKT_S5_S5_lliS5_S8_lS5_PKlPNS_14AccumulateTypeIS6_Lb1EE4typeEl.has_recursion, 0
	.set _ZN2at6native12_GLOBAL__N_124compute_grad_weight_bagsIdiEEvPKT0_PKT_S5_S5_lliS5_S8_lS5_PKlPNS_14AccumulateTypeIS6_Lb1EE4typeEl.has_indirect_call, 0
	.section	.AMDGPU.csdata,"",@progbits
; Kernel info:
; codeLenInByte = 1604
; TotalNumSgprs: 30
; NumVgprs: 30
; ScratchSize: 0
; MemoryBound: 0
; FloatMode: 240
; IeeeMode: 1
; LDSByteSize: 0 bytes/workgroup (compile time only)
; SGPRBlocks: 0
; VGPRBlocks: 1
; NumSGPRsForWavesPerEU: 30
; NumVGPRsForWavesPerEU: 30
; NamedBarCnt: 0
; Occupancy: 16
; WaveLimiterHint : 1
; COMPUTE_PGM_RSRC2:SCRATCH_EN: 0
; COMPUTE_PGM_RSRC2:USER_SGPR: 2
; COMPUTE_PGM_RSRC2:TRAP_HANDLER: 0
; COMPUTE_PGM_RSRC2:TGID_X_EN: 1
; COMPUTE_PGM_RSRC2:TGID_Y_EN: 0
; COMPUTE_PGM_RSRC2:TGID_Z_EN: 0
; COMPUTE_PGM_RSRC2:TIDIG_COMP_CNT: 0
	.section	.text._ZN2at6native12_GLOBAL__N_119compute_grad_weightIdiEEvPKT0_PKT_S5_llS5_PKlPNS_14AccumulateTypeIS6_Lb1EE4typeEl,"axG",@progbits,_ZN2at6native12_GLOBAL__N_119compute_grad_weightIdiEEvPKT0_PKT_S5_llS5_PKlPNS_14AccumulateTypeIS6_Lb1EE4typeEl,comdat
	.globl	_ZN2at6native12_GLOBAL__N_119compute_grad_weightIdiEEvPKT0_PKT_S5_llS5_PKlPNS_14AccumulateTypeIS6_Lb1EE4typeEl ; -- Begin function _ZN2at6native12_GLOBAL__N_119compute_grad_weightIdiEEvPKT0_PKT_S5_llS5_PKlPNS_14AccumulateTypeIS6_Lb1EE4typeEl
	.p2align	8
	.type	_ZN2at6native12_GLOBAL__N_119compute_grad_weightIdiEEvPKT0_PKT_S5_llS5_PKlPNS_14AccumulateTypeIS6_Lb1EE4typeEl,@function
_ZN2at6native12_GLOBAL__N_119compute_grad_weightIdiEEvPKT0_PKT_S5_llS5_PKlPNS_14AccumulateTypeIS6_Lb1EE4typeEl: ; @_ZN2at6native12_GLOBAL__N_119compute_grad_weightIdiEEvPKT0_PKT_S5_llS5_PKlPNS_14AccumulateTypeIS6_Lb1EE4typeEl
; %bb.0:
	s_clause 0x1
	s_load_b32 s4, s[0:1], 0x54
	s_load_b64 s[2:3], s[0:1], 0x40
	s_bfe_u32 s5, ttmp6, 0x4000c
	s_and_b32 s6, ttmp6, 15
	s_add_co_i32 s5, s5, 1
	s_getreg_b32 s7, hwreg(HW_REG_IB_STS2, 6, 4)
	s_mul_i32 s5, ttmp9, s5
	v_mov_b32_e32 v1, 0
	s_add_co_i32 s6, s6, s5
	s_wait_kmcnt 0x0
	s_and_b32 s4, s4, 0xffff
	s_cmp_eq_u32 s7, 0
	s_cselect_b32 s5, ttmp9, s6
	s_delay_alu instid0(SALU_CYCLE_1) | instskip(SKIP_3) | instid1(VALU_DEP_1)
	v_mad_nc_u64_u32 v[2:3], s4, s5, v[0:1]
	s_load_b512 s[4:19], s[0:1], 0x0
	s_wait_xcnt 0x0
	s_mov_b32 s1, 0
	v_dual_mov_b32 v4, v1 :: v_dual_bitop2_b32 v5, s3, v3 bitop3:0x54
	s_delay_alu instid0(VALU_DEP_1)
	v_cmp_ne_u64_e32 vcc_lo, 0, v[4:5]
                                        ; implicit-def: $vgpr4_vgpr5
	s_and_saveexec_b32 s0, vcc_lo
	s_wait_kmcnt 0x0
	s_xor_b32 s11, exec_lo, s0
	s_cbranch_execz .LBB82_2
; %bb.1:
	s_ashr_i32 s20, s3, 31
	v_dual_mov_b32 v9, v1 :: v_dual_ashrrev_i32 v4, 31, v3
	s_mov_b32 s21, s20
	v_mov_b32_e32 v15, v1
	s_add_nc_u64 s[22:23], s[2:3], s[20:21]
	s_delay_alu instid0(VALU_DEP_2) | instskip(SKIP_1) | instid1(SALU_CYCLE_1)
	v_mov_b32_e32 v5, v4
	s_xor_b64 s[22:23], s[22:23], s[20:21]
	s_cvt_f32_u32 s0, s22
	s_cvt_f32_u32 s21, s23
	s_sub_nc_u64 s[26:27], 0, s[22:23]
	v_add_nc_u64_e32 v[6:7], v[2:3], v[4:5]
	s_delay_alu instid0(SALU_CYCLE_1) | instskip(NEXT) | instid1(SALU_CYCLE_3)
	s_fmamk_f32 s0, s21, 0x4f800000, s0
	v_s_rcp_f32 s0, s0
	s_delay_alu instid0(VALU_DEP_1) | instskip(NEXT) | instid1(VALU_DEP_2)
	v_xor_b32_e32 v0, v6, v4
	v_xor_b32_e32 v8, v7, v4
	s_delay_alu instid0(TRANS32_DEP_1) | instskip(NEXT) | instid1(SALU_CYCLE_3)
	s_mul_f32 s0, s0, 0x5f7ffffc
	s_mul_f32 s21, s0, 0x2f800000
	s_delay_alu instid0(SALU_CYCLE_3) | instskip(NEXT) | instid1(SALU_CYCLE_3)
	s_trunc_f32 s21, s21
	s_fmamk_f32 s0, s21, 0xcf800000, s0
	s_cvt_u32_f32 s25, s21
	s_delay_alu instid0(SALU_CYCLE_2) | instskip(NEXT) | instid1(SALU_CYCLE_3)
	s_cvt_u32_f32 s24, s0
	s_mul_u64 s[28:29], s[26:27], s[24:25]
	s_delay_alu instid0(SALU_CYCLE_1)
	s_mul_hi_u32 s31, s24, s29
	s_mul_i32 s30, s24, s29
	s_mul_hi_u32 s0, s24, s28
	s_mul_i32 s33, s25, s28
	s_add_nc_u64 s[30:31], s[0:1], s[30:31]
	s_mul_hi_u32 s21, s25, s28
	s_mul_hi_u32 s34, s25, s29
	s_add_co_u32 s0, s30, s33
	s_add_co_ci_u32 s0, s31, s21
	s_mul_i32 s28, s25, s29
	s_add_co_ci_u32 s29, s34, 0
	s_delay_alu instid0(SALU_CYCLE_1) | instskip(NEXT) | instid1(SALU_CYCLE_1)
	s_add_nc_u64 s[28:29], s[0:1], s[28:29]
	s_add_co_u32 s24, s24, s28
	s_cselect_b32 s0, -1, 0
	s_delay_alu instid0(SALU_CYCLE_1) | instskip(SKIP_1) | instid1(SALU_CYCLE_1)
	s_cmp_lg_u32 s0, 0
	s_add_co_ci_u32 s25, s25, s29
	s_mul_u64 s[26:27], s[26:27], s[24:25]
	s_delay_alu instid0(SALU_CYCLE_1)
	s_mul_hi_u32 s29, s24, s27
	s_mul_i32 s28, s24, s27
	s_mul_hi_u32 s0, s24, s26
	s_mul_i32 s30, s25, s26
	s_add_nc_u64 s[28:29], s[0:1], s[28:29]
	s_mul_hi_u32 s21, s25, s26
	s_mul_hi_u32 s31, s25, s27
	s_add_co_u32 s0, s28, s30
	s_add_co_ci_u32 s0, s29, s21
	s_mul_i32 s26, s25, s27
	s_add_co_ci_u32 s27, s31, 0
	s_delay_alu instid0(SALU_CYCLE_1) | instskip(NEXT) | instid1(SALU_CYCLE_1)
	s_add_nc_u64 s[26:27], s[0:1], s[26:27]
	s_add_co_u32 s24, s24, s26
	s_cselect_b32 s0, -1, 0
	v_mul_hi_u32 v14, v0, s24
	s_cmp_lg_u32 s0, 0
	s_add_co_ci_u32 s0, s25, s27
	s_mov_b64 s[26:27], 0xffffffff
	v_mul_u64_e32 v[10:11], s[0:1], v[0:1]
	s_and_b64 s[26:27], s[24:25], s[26:27]
	v_mul_u64_e32 v[12:13], s[0:1], v[8:9]
	v_mul_u64_e32 v[6:7], s[26:27], v[8:9]
	s_delay_alu instid0(VALU_DEP_3) | instskip(NEXT) | instid1(VALU_DEP_1)
	v_add_nc_u64_e32 v[10:11], v[14:15], v[10:11]
	v_add_co_u32 v1, vcc_lo, v10, v6
	s_delay_alu instid0(VALU_DEP_2) | instskip(SKIP_1) | instid1(VALU_DEP_1)
	v_add_co_ci_u32_e32 v14, vcc_lo, v11, v7, vcc_lo
	v_add_co_ci_u32_e32 v13, vcc_lo, 0, v13, vcc_lo
	v_add_nc_u64_e32 v[6:7], v[14:15], v[12:13]
	s_delay_alu instid0(VALU_DEP_1) | instskip(NEXT) | instid1(VALU_DEP_1)
	v_mul_u64_e32 v[10:11], s[22:23], v[6:7]
	v_sub_nc_u32_e32 v1, v8, v11
	s_delay_alu instid0(VALU_DEP_2) | instskip(NEXT) | instid1(VALU_DEP_1)
	v_sub_co_u32 v0, vcc_lo, v0, v10
	v_sub_co_ci_u32_e64 v10, null, v8, v11, vcc_lo
	s_delay_alu instid0(VALU_DEP_3) | instskip(NEXT) | instid1(VALU_DEP_3)
	v_subrev_co_ci_u32_e64 v1, null, s23, v1, vcc_lo
	v_sub_co_u32 v5, s0, v0, s22
	s_delay_alu instid0(VALU_DEP_1) | instskip(NEXT) | instid1(VALU_DEP_2)
	v_subrev_co_ci_u32_e64 v1, null, 0, v1, s0
	v_cmp_le_u32_e32 vcc_lo, s22, v5
	v_cndmask_b32_e64 v5, 0, -1, vcc_lo
	s_delay_alu instid0(VALU_DEP_3)
	v_cmp_le_u32_e32 vcc_lo, s23, v1
	v_cndmask_b32_e64 v8, 0, -1, vcc_lo
	v_cmp_le_u32_e32 vcc_lo, s22, v0
	v_cndmask_b32_e64 v11, 0, -1, vcc_lo
	;; [unrolled: 2-line block ×3, first 2 shown]
	v_cmp_eq_u32_e32 vcc_lo, s23, v1
	v_add_nc_u64_e32 v[0:1], 2, v[6:7]
	v_cndmask_b32_e32 v5, v8, v5, vcc_lo
	v_cmp_eq_u32_e32 vcc_lo, s23, v10
	v_add_nc_u64_e32 v[8:9], 1, v[6:7]
	v_cndmask_b32_e32 v10, v12, v11, vcc_lo
	s_delay_alu instid0(VALU_DEP_4) | instskip(NEXT) | instid1(VALU_DEP_3)
	v_cmp_ne_u32_e32 vcc_lo, 0, v5
	v_cndmask_b32_e32 v1, v9, v1, vcc_lo
	s_delay_alu instid0(VALU_DEP_3) | instskip(SKIP_1) | instid1(VALU_DEP_2)
	v_cmp_ne_u32_e64 s0, 0, v10
	v_cndmask_b32_e32 v5, v8, v0, vcc_lo
	v_dual_cndmask_b32 v4, v7, v1, s0 :: v_dual_bitop2_b32 v0, s20, v4 bitop3:0x14
	s_delay_alu instid0(VALU_DEP_1) | instskip(NEXT) | instid1(VALU_DEP_2)
	v_dual_cndmask_b32 v6, v6, v5, s0 :: v_dual_mov_b32 v1, v0
	v_xor_b32_e32 v5, v4, v0
	s_delay_alu instid0(VALU_DEP_2) | instskip(NEXT) | instid1(VALU_DEP_1)
	v_xor_b32_e32 v4, v6, v0
	v_sub_nc_u64_e32 v[4:5], v[4:5], v[0:1]
.LBB82_2:
	s_or_saveexec_b32 s0, s11
	s_load_b64 s[16:17], s[16:17], 0x0
	s_xor_b32 exec_lo, exec_lo, s0
	s_cbranch_execz .LBB82_4
; %bb.3:
	v_cvt_f32_u32_e32 v0, s2
	s_sub_co_i32 s1, 0, s2
	s_delay_alu instid0(VALU_DEP_1) | instskip(SKIP_1) | instid1(TRANS32_DEP_1)
	v_rcp_iflag_f32_e32 v0, v0
	v_nop
	v_mul_f32_e32 v0, 0x4f7ffffe, v0
	s_delay_alu instid0(VALU_DEP_1) | instskip(NEXT) | instid1(VALU_DEP_1)
	v_cvt_u32_f32_e32 v0, v0
	v_mul_lo_u32 v1, s1, v0
	s_delay_alu instid0(VALU_DEP_1) | instskip(NEXT) | instid1(VALU_DEP_1)
	v_mul_hi_u32 v1, v0, v1
	v_add_nc_u32_e32 v0, v0, v1
	s_delay_alu instid0(VALU_DEP_1) | instskip(NEXT) | instid1(VALU_DEP_1)
	v_mul_hi_u32 v0, v2, v0
	v_mul_lo_u32 v1, v0, s2
	s_delay_alu instid0(VALU_DEP_1) | instskip(NEXT) | instid1(VALU_DEP_1)
	v_sub_nc_u32_e32 v1, v2, v1
	v_subrev_nc_u32_e32 v5, s2, v1
	v_cmp_le_u32_e32 vcc_lo, s2, v1
	s_delay_alu instid0(VALU_DEP_2) | instskip(NEXT) | instid1(VALU_DEP_1)
	v_dual_cndmask_b32 v1, v1, v5 :: v_dual_add_nc_u32 v4, 1, v0
	v_dual_cndmask_b32 v0, v0, v4 :: v_dual_mov_b32 v5, 0
	s_delay_alu instid0(VALU_DEP_2) | instskip(NEXT) | instid1(VALU_DEP_2)
	v_cmp_le_u32_e32 vcc_lo, s2, v1
	v_add_nc_u32_e32 v4, 1, v0
	s_delay_alu instid0(VALU_DEP_1)
	v_cndmask_b32_e32 v4, v0, v4, vcc_lo
.LBB82_4:
	s_or_b32 exec_lo, exec_lo, s0
	s_delay_alu instid0(VALU_DEP_1) | instskip(SKIP_2) | instid1(VALU_DEP_2)
	v_mul_u64_e32 v[0:1], s[2:3], v[4:5]
	s_wait_kmcnt 0x0
	v_cmp_gt_i64_e64 s0, s[16:17], v[4:5]
	v_sub_nc_u64_e32 v[0:1], v[2:3], v[0:1]
	s_delay_alu instid0(VALU_DEP_1) | instskip(SKIP_1) | instid1(SALU_CYCLE_1)
	v_cmp_gt_i64_e32 vcc_lo, s[12:13], v[0:1]
	s_and_b32 s0, vcc_lo, s0
	s_and_saveexec_b32 s1, s0
	s_cbranch_execz .LBB82_17
; %bb.5:
	v_lshl_add_u64 v[6:7], v[4:5], 2, s[14:15]
	s_add_nc_u64 s[0:1], s[16:17], -1
                                        ; implicit-def: $vgpr18
	s_delay_alu instid0(SALU_CYCLE_1) | instskip(SKIP_3) | instid1(SALU_CYCLE_1)
	v_cmp_ne_u64_e32 vcc_lo, s[0:1], v[4:5]
	global_load_b32 v2, v[6:7], off
	s_wait_xcnt 0x0
	s_and_saveexec_b32 s0, vcc_lo
	s_xor_b32 s0, exec_lo, s0
	s_cbranch_execz .LBB82_7
; %bb.6:
	global_load_b32 v18, v[6:7], off offset:4
.LBB82_7:
	s_wait_xcnt 0x0
	s_and_not1_saveexec_b32 s0, s0
	s_cbranch_execz .LBB82_9
; %bb.8:
	s_wait_loadcnt 0x0
	v_mov_b32_e32 v18, s10
.LBB82_9:
	s_or_b32 exec_lo, exec_lo, s0
	v_mov_b64_e32 v[6:7], 0
	s_mov_b32 s0, exec_lo
	s_wait_loadcnt 0x0
	v_cmpx_lt_i32_e64 v2, v18
	s_cbranch_execz .LBB82_16
; %bb.10:
	v_ashrrev_i32_e32 v3, 31, v2
	v_lshl_add_u64 v[8:9], v[0:1], 3, s[6:7]
	s_cmp_lg_u64 s[8:9], 0
	s_mov_b32 s2, 0
	s_cselect_b32 s1, -1, 0
	v_lshlrev_b64_e32 v[6:7], 2, v[2:3]
	s_delay_alu instid0(VALU_DEP_1)
	v_add_nc_u64_e32 v[10:11], s[4:5], v[6:7]
	v_add_nc_u64_e32 v[12:13], s[8:9], v[6:7]
	v_mov_b64_e32 v[6:7], 0
	s_branch .LBB82_13
.LBB82_11:                              ;   in Loop: Header=BB82_13 Depth=1
	global_load_b32 v3, v[12:13], off
	s_wait_loadcnt 0x0
	v_cvt_f64_i32_e32 v[16:17], v3
	s_delay_alu instid0(VALU_DEP_1) | instskip(NEXT) | instid1(VALU_DEP_1)
	v_div_scale_f64 v[20:21], null, v[16:17], v[16:17], 1.0
	v_rcp_f64_e32 v[22:23], v[20:21]
	v_nop
	s_delay_alu instid0(TRANS32_DEP_1) | instskip(NEXT) | instid1(VALU_DEP_1)
	v_fma_f64 v[24:25], -v[20:21], v[22:23], 1.0
	v_fmac_f64_e32 v[22:23], v[22:23], v[24:25]
	s_delay_alu instid0(VALU_DEP_1) | instskip(NEXT) | instid1(VALU_DEP_1)
	v_fma_f64 v[24:25], -v[20:21], v[22:23], 1.0
	v_fmac_f64_e32 v[22:23], v[22:23], v[24:25]
	v_div_scale_f64 v[24:25], vcc_lo, 1.0, v[16:17], 1.0
	s_delay_alu instid0(VALU_DEP_1) | instskip(NEXT) | instid1(VALU_DEP_1)
	v_mul_f64_e32 v[26:27], v[24:25], v[22:23]
	v_fma_f64 v[20:21], -v[20:21], v[26:27], v[24:25]
	s_delay_alu instid0(VALU_DEP_1) | instskip(NEXT) | instid1(VALU_DEP_1)
	v_div_fmas_f64 v[20:21], v[20:21], v[22:23], v[26:27]
	v_div_fixup_f64 v[16:17], v[20:21], v[16:17], 1.0
.LBB82_12:                              ;   in Loop: Header=BB82_13 Depth=1
	s_wait_loadcnt 0x0
	v_ashrrev_i32_e32 v15, 31, v14
	v_add_nc_u32_e32 v2, 1, v2
	v_add_nc_u64_e32 v[10:11], 4, v[10:11]
	v_add_nc_u64_e32 v[12:13], 4, v[12:13]
	s_delay_alu instid0(VALU_DEP_4) | instskip(NEXT) | instid1(VALU_DEP_4)
	v_mul_u64_e32 v[14:15], s[12:13], v[14:15]
	v_cmp_ge_i32_e32 vcc_lo, v2, v18
	s_or_b32 s2, vcc_lo, s2
	s_delay_alu instid0(VALU_DEP_2)
	v_lshl_add_u64 v[14:15], v[14:15], 3, v[8:9]
	global_load_b64 v[14:15], v[14:15], off
	s_wait_loadcnt 0x0
	v_fmac_f64_e32 v[6:7], v[16:17], v[14:15]
	s_and_not1_b32 exec_lo, exec_lo, s2
	s_cbranch_execz .LBB82_15
.LBB82_13:                              ; =>This Inner Loop Header: Depth=1
	global_load_b32 v14, v[10:11], off
	s_and_not1_b32 vcc_lo, exec_lo, s1
	s_cbranch_vccz .LBB82_11
; %bb.14:                               ;   in Loop: Header=BB82_13 Depth=1
	v_mov_b64_e32 v[16:17], 1.0
	s_branch .LBB82_12
.LBB82_15:
	s_or_b32 exec_lo, exec_lo, s2
.LBB82_16:
	s_delay_alu instid0(SALU_CYCLE_1) | instskip(SKIP_1) | instid1(VALU_DEP_1)
	s_or_b32 exec_lo, exec_lo, s0
	v_mul_u64_e32 v[2:3], s[12:13], v[4:5]
	v_lshl_add_u64 v[2:3], v[2:3], 3, s[18:19]
	s_delay_alu instid0(VALU_DEP_1)
	v_lshl_add_u64 v[0:1], v[0:1], 3, v[2:3]
	global_store_b64 v[0:1], v[6:7], off
.LBB82_17:
	s_endpgm
	.section	.rodata,"a",@progbits
	.p2align	6, 0x0
	.amdhsa_kernel _ZN2at6native12_GLOBAL__N_119compute_grad_weightIdiEEvPKT0_PKT_S5_llS5_PKlPNS_14AccumulateTypeIS6_Lb1EE4typeEl
		.amdhsa_group_segment_fixed_size 0
		.amdhsa_private_segment_fixed_size 0
		.amdhsa_kernarg_size 328
		.amdhsa_user_sgpr_count 2
		.amdhsa_user_sgpr_dispatch_ptr 0
		.amdhsa_user_sgpr_queue_ptr 0
		.amdhsa_user_sgpr_kernarg_segment_ptr 1
		.amdhsa_user_sgpr_dispatch_id 0
		.amdhsa_user_sgpr_kernarg_preload_length 0
		.amdhsa_user_sgpr_kernarg_preload_offset 0
		.amdhsa_user_sgpr_private_segment_size 0
		.amdhsa_wavefront_size32 1
		.amdhsa_uses_dynamic_stack 0
		.amdhsa_enable_private_segment 0
		.amdhsa_system_sgpr_workgroup_id_x 1
		.amdhsa_system_sgpr_workgroup_id_y 0
		.amdhsa_system_sgpr_workgroup_id_z 0
		.amdhsa_system_sgpr_workgroup_info 0
		.amdhsa_system_vgpr_workitem_id 0
		.amdhsa_next_free_vgpr 28
		.amdhsa_next_free_sgpr 35
		.amdhsa_named_barrier_count 0
		.amdhsa_reserve_vcc 1
		.amdhsa_float_round_mode_32 0
		.amdhsa_float_round_mode_16_64 0
		.amdhsa_float_denorm_mode_32 3
		.amdhsa_float_denorm_mode_16_64 3
		.amdhsa_fp16_overflow 0
		.amdhsa_memory_ordered 1
		.amdhsa_forward_progress 1
		.amdhsa_inst_pref_size 11
		.amdhsa_round_robin_scheduling 0
		.amdhsa_exception_fp_ieee_invalid_op 0
		.amdhsa_exception_fp_denorm_src 0
		.amdhsa_exception_fp_ieee_div_zero 0
		.amdhsa_exception_fp_ieee_overflow 0
		.amdhsa_exception_fp_ieee_underflow 0
		.amdhsa_exception_fp_ieee_inexact 0
		.amdhsa_exception_int_div_zero 0
	.end_amdhsa_kernel
	.section	.text._ZN2at6native12_GLOBAL__N_119compute_grad_weightIdiEEvPKT0_PKT_S5_llS5_PKlPNS_14AccumulateTypeIS6_Lb1EE4typeEl,"axG",@progbits,_ZN2at6native12_GLOBAL__N_119compute_grad_weightIdiEEvPKT0_PKT_S5_llS5_PKlPNS_14AccumulateTypeIS6_Lb1EE4typeEl,comdat
.Lfunc_end82:
	.size	_ZN2at6native12_GLOBAL__N_119compute_grad_weightIdiEEvPKT0_PKT_S5_llS5_PKlPNS_14AccumulateTypeIS6_Lb1EE4typeEl, .Lfunc_end82-_ZN2at6native12_GLOBAL__N_119compute_grad_weightIdiEEvPKT0_PKT_S5_llS5_PKlPNS_14AccumulateTypeIS6_Lb1EE4typeEl
                                        ; -- End function
	.set _ZN2at6native12_GLOBAL__N_119compute_grad_weightIdiEEvPKT0_PKT_S5_llS5_PKlPNS_14AccumulateTypeIS6_Lb1EE4typeEl.num_vgpr, 28
	.set _ZN2at6native12_GLOBAL__N_119compute_grad_weightIdiEEvPKT0_PKT_S5_llS5_PKlPNS_14AccumulateTypeIS6_Lb1EE4typeEl.num_agpr, 0
	.set _ZN2at6native12_GLOBAL__N_119compute_grad_weightIdiEEvPKT0_PKT_S5_llS5_PKlPNS_14AccumulateTypeIS6_Lb1EE4typeEl.numbered_sgpr, 35
	.set _ZN2at6native12_GLOBAL__N_119compute_grad_weightIdiEEvPKT0_PKT_S5_llS5_PKlPNS_14AccumulateTypeIS6_Lb1EE4typeEl.num_named_barrier, 0
	.set _ZN2at6native12_GLOBAL__N_119compute_grad_weightIdiEEvPKT0_PKT_S5_llS5_PKlPNS_14AccumulateTypeIS6_Lb1EE4typeEl.private_seg_size, 0
	.set _ZN2at6native12_GLOBAL__N_119compute_grad_weightIdiEEvPKT0_PKT_S5_llS5_PKlPNS_14AccumulateTypeIS6_Lb1EE4typeEl.uses_vcc, 1
	.set _ZN2at6native12_GLOBAL__N_119compute_grad_weightIdiEEvPKT0_PKT_S5_llS5_PKlPNS_14AccumulateTypeIS6_Lb1EE4typeEl.uses_flat_scratch, 0
	.set _ZN2at6native12_GLOBAL__N_119compute_grad_weightIdiEEvPKT0_PKT_S5_llS5_PKlPNS_14AccumulateTypeIS6_Lb1EE4typeEl.has_dyn_sized_stack, 0
	.set _ZN2at6native12_GLOBAL__N_119compute_grad_weightIdiEEvPKT0_PKT_S5_llS5_PKlPNS_14AccumulateTypeIS6_Lb1EE4typeEl.has_recursion, 0
	.set _ZN2at6native12_GLOBAL__N_119compute_grad_weightIdiEEvPKT0_PKT_S5_llS5_PKlPNS_14AccumulateTypeIS6_Lb1EE4typeEl.has_indirect_call, 0
	.section	.AMDGPU.csdata,"",@progbits
; Kernel info:
; codeLenInByte = 1332
; TotalNumSgprs: 37
; NumVgprs: 28
; ScratchSize: 0
; MemoryBound: 0
; FloatMode: 240
; IeeeMode: 1
; LDSByteSize: 0 bytes/workgroup (compile time only)
; SGPRBlocks: 0
; VGPRBlocks: 1
; NumSGPRsForWavesPerEU: 37
; NumVGPRsForWavesPerEU: 28
; NamedBarCnt: 0
; Occupancy: 16
; WaveLimiterHint : 1
; COMPUTE_PGM_RSRC2:SCRATCH_EN: 0
; COMPUTE_PGM_RSRC2:USER_SGPR: 2
; COMPUTE_PGM_RSRC2:TRAP_HANDLER: 0
; COMPUTE_PGM_RSRC2:TGID_X_EN: 1
; COMPUTE_PGM_RSRC2:TGID_Y_EN: 0
; COMPUTE_PGM_RSRC2:TGID_Z_EN: 0
; COMPUTE_PGM_RSRC2:TIDIG_COMP_CNT: 0
	.section	.text._ZN2at6native12_GLOBAL__N_115sum_and_scatterIdiEEvPKT0_PT_lS5_PKlPKNS_14AccumulateTypeIS6_Lb1EE4typeES5_S9_ll,"axG",@progbits,_ZN2at6native12_GLOBAL__N_115sum_and_scatterIdiEEvPKT0_PT_lS5_PKlPKNS_14AccumulateTypeIS6_Lb1EE4typeES5_S9_ll,comdat
	.globl	_ZN2at6native12_GLOBAL__N_115sum_and_scatterIdiEEvPKT0_PT_lS5_PKlPKNS_14AccumulateTypeIS6_Lb1EE4typeES5_S9_ll ; -- Begin function _ZN2at6native12_GLOBAL__N_115sum_and_scatterIdiEEvPKT0_PT_lS5_PKlPKNS_14AccumulateTypeIS6_Lb1EE4typeES5_S9_ll
	.p2align	8
	.type	_ZN2at6native12_GLOBAL__N_115sum_and_scatterIdiEEvPKT0_PT_lS5_PKlPKNS_14AccumulateTypeIS6_Lb1EE4typeES5_S9_ll,@function
_ZN2at6native12_GLOBAL__N_115sum_and_scatterIdiEEvPKT0_PT_lS5_PKlPKNS_14AccumulateTypeIS6_Lb1EE4typeES5_S9_ll: ; @_ZN2at6native12_GLOBAL__N_115sum_and_scatterIdiEEvPKT0_PT_lS5_PKlPKNS_14AccumulateTypeIS6_Lb1EE4typeES5_S9_ll
; %bb.0:
	s_clause 0x1
	s_load_b32 s2, s[0:1], 0x5c
	s_load_b128 s[20:23], s[0:1], 0x40
	s_bfe_u32 s3, ttmp6, 0x4000c
	s_and_b32 s4, ttmp6, 15
	s_add_co_i32 s3, s3, 1
	s_getreg_b32 s5, hwreg(HW_REG_IB_STS2, 6, 4)
	s_mul_i32 s3, ttmp9, s3
	v_mov_b32_e32 v1, 0
	s_add_co_i32 s4, s4, s3
	s_wait_kmcnt 0x0
	s_and_b32 s2, s2, 0xffff
	s_cmp_eq_u32 s5, 0
	s_cselect_b32 s3, ttmp9, s4
	s_load_b512 s[4:19], s[0:1], 0x0
	v_mad_nc_u64_u32 v[2:3], s2, s3, v[0:1]
	s_wait_xcnt 0x0
	s_mov_b32 s1, 0
	s_delay_alu instid0(VALU_DEP_1) | instskip(NEXT) | instid1(VALU_DEP_1)
	v_dual_mov_b32 v4, v1 :: v_dual_bitop2_b32 v5, s23, v3 bitop3:0x54
	v_cmp_ne_u64_e32 vcc_lo, 0, v[4:5]
                                        ; implicit-def: $vgpr4_vgpr5
	s_and_saveexec_b32 s0, vcc_lo
	s_delay_alu instid0(SALU_CYCLE_1)
	s_xor_b32 s26, exec_lo, s0
	s_cbranch_execz .LBB83_2
; %bb.1:
	s_ashr_i32 s2, s23, 31
	v_dual_mov_b32 v9, v1 :: v_dual_ashrrev_i32 v4, 31, v3
	s_mov_b32 s3, s2
	v_mov_b32_e32 v15, v1
	s_add_nc_u64 s[24:25], s[22:23], s[2:3]
	s_delay_alu instid0(VALU_DEP_2) | instskip(SKIP_1) | instid1(SALU_CYCLE_1)
	v_mov_b32_e32 v5, v4
	s_xor_b64 s[24:25], s[24:25], s[2:3]
	s_cvt_f32_u32 s0, s24
	s_cvt_f32_u32 s3, s25
	s_sub_nc_u64 s[30:31], 0, s[24:25]
	v_add_nc_u64_e32 v[6:7], v[2:3], v[4:5]
	s_delay_alu instid0(SALU_CYCLE_1) | instskip(NEXT) | instid1(SALU_CYCLE_3)
	s_fmamk_f32 s0, s3, 0x4f800000, s0
	v_s_rcp_f32 s0, s0
	s_delay_alu instid0(VALU_DEP_1) | instskip(NEXT) | instid1(VALU_DEP_2)
	v_xor_b32_e32 v0, v6, v4
	v_xor_b32_e32 v8, v7, v4
	s_delay_alu instid0(TRANS32_DEP_1) | instskip(NEXT) | instid1(SALU_CYCLE_3)
	s_mul_f32 s0, s0, 0x5f7ffffc
	s_mul_f32 s3, s0, 0x2f800000
	s_delay_alu instid0(SALU_CYCLE_3) | instskip(NEXT) | instid1(SALU_CYCLE_3)
	s_trunc_f32 s3, s3
	s_fmamk_f32 s0, s3, 0xcf800000, s0
	s_cvt_u32_f32 s29, s3
	s_delay_alu instid0(SALU_CYCLE_2) | instskip(NEXT) | instid1(SALU_CYCLE_3)
	s_cvt_u32_f32 s28, s0
	s_mul_u64 s[34:35], s[30:31], s[28:29]
	s_delay_alu instid0(SALU_CYCLE_1)
	s_mul_hi_u32 s37, s28, s35
	s_mul_i32 s36, s28, s35
	s_mul_hi_u32 s0, s28, s34
	s_mul_i32 s27, s29, s34
	s_add_nc_u64 s[36:37], s[0:1], s[36:37]
	s_mul_hi_u32 s3, s29, s34
	s_mul_hi_u32 s33, s29, s35
	s_add_co_u32 s0, s36, s27
	s_add_co_ci_u32 s0, s37, s3
	s_mul_i32 s34, s29, s35
	s_add_co_ci_u32 s35, s33, 0
	s_delay_alu instid0(SALU_CYCLE_1) | instskip(NEXT) | instid1(SALU_CYCLE_1)
	s_add_nc_u64 s[34:35], s[0:1], s[34:35]
	s_add_co_u32 s28, s28, s34
	s_cselect_b32 s0, -1, 0
	s_delay_alu instid0(SALU_CYCLE_1) | instskip(SKIP_1) | instid1(SALU_CYCLE_1)
	s_cmp_lg_u32 s0, 0
	s_add_co_ci_u32 s29, s29, s35
	s_mul_u64 s[30:31], s[30:31], s[28:29]
	s_delay_alu instid0(SALU_CYCLE_1)
	s_mul_hi_u32 s35, s28, s31
	s_mul_i32 s34, s28, s31
	s_mul_hi_u32 s0, s28, s30
	s_mul_i32 s27, s29, s30
	s_add_nc_u64 s[34:35], s[0:1], s[34:35]
	s_mul_hi_u32 s3, s29, s30
	s_mul_hi_u32 s33, s29, s31
	s_add_co_u32 s0, s34, s27
	s_add_co_ci_u32 s0, s35, s3
	s_mul_i32 s30, s29, s31
	s_add_co_ci_u32 s31, s33, 0
	s_delay_alu instid0(SALU_CYCLE_1) | instskip(NEXT) | instid1(SALU_CYCLE_1)
	s_add_nc_u64 s[30:31], s[0:1], s[30:31]
	s_add_co_u32 s28, s28, s30
	s_cselect_b32 s0, -1, 0
	v_mul_hi_u32 v14, v0, s28
	s_cmp_lg_u32 s0, 0
	s_add_co_ci_u32 s0, s29, s31
	s_mov_b64 s[30:31], 0xffffffff
	v_mul_u64_e32 v[10:11], s[0:1], v[0:1]
	s_and_b64 s[30:31], s[28:29], s[30:31]
	v_mul_u64_e32 v[12:13], s[0:1], v[8:9]
	v_mul_u64_e32 v[6:7], s[30:31], v[8:9]
	s_delay_alu instid0(VALU_DEP_3) | instskip(NEXT) | instid1(VALU_DEP_1)
	v_add_nc_u64_e32 v[10:11], v[14:15], v[10:11]
	v_add_co_u32 v1, vcc_lo, v10, v6
	s_delay_alu instid0(VALU_DEP_2) | instskip(SKIP_1) | instid1(VALU_DEP_1)
	v_add_co_ci_u32_e32 v14, vcc_lo, v11, v7, vcc_lo
	v_add_co_ci_u32_e32 v13, vcc_lo, 0, v13, vcc_lo
	v_add_nc_u64_e32 v[6:7], v[14:15], v[12:13]
	s_delay_alu instid0(VALU_DEP_1) | instskip(NEXT) | instid1(VALU_DEP_1)
	v_mul_u64_e32 v[10:11], s[24:25], v[6:7]
	v_sub_nc_u32_e32 v1, v8, v11
	s_delay_alu instid0(VALU_DEP_2) | instskip(NEXT) | instid1(VALU_DEP_1)
	v_sub_co_u32 v0, vcc_lo, v0, v10
	v_sub_co_ci_u32_e64 v10, null, v8, v11, vcc_lo
	s_delay_alu instid0(VALU_DEP_3) | instskip(NEXT) | instid1(VALU_DEP_3)
	v_subrev_co_ci_u32_e64 v1, null, s25, v1, vcc_lo
	v_sub_co_u32 v5, s0, v0, s24
	s_delay_alu instid0(VALU_DEP_1) | instskip(NEXT) | instid1(VALU_DEP_2)
	v_subrev_co_ci_u32_e64 v1, null, 0, v1, s0
	v_cmp_le_u32_e32 vcc_lo, s24, v5
	v_cndmask_b32_e64 v5, 0, -1, vcc_lo
	s_delay_alu instid0(VALU_DEP_3)
	v_cmp_le_u32_e32 vcc_lo, s25, v1
	v_cndmask_b32_e64 v8, 0, -1, vcc_lo
	v_cmp_le_u32_e32 vcc_lo, s24, v0
	v_cndmask_b32_e64 v11, 0, -1, vcc_lo
	;; [unrolled: 2-line block ×3, first 2 shown]
	v_cmp_eq_u32_e32 vcc_lo, s25, v1
	v_add_nc_u64_e32 v[0:1], 2, v[6:7]
	v_cndmask_b32_e32 v5, v8, v5, vcc_lo
	v_cmp_eq_u32_e32 vcc_lo, s25, v10
	v_add_nc_u64_e32 v[8:9], 1, v[6:7]
	v_cndmask_b32_e32 v10, v12, v11, vcc_lo
	s_delay_alu instid0(VALU_DEP_4) | instskip(NEXT) | instid1(VALU_DEP_3)
	v_cmp_ne_u32_e32 vcc_lo, 0, v5
	v_cndmask_b32_e32 v1, v9, v1, vcc_lo
	s_delay_alu instid0(VALU_DEP_3) | instskip(SKIP_1) | instid1(VALU_DEP_2)
	v_cmp_ne_u32_e64 s0, 0, v10
	v_cndmask_b32_e32 v5, v8, v0, vcc_lo
	v_dual_cndmask_b32 v4, v7, v1, s0 :: v_dual_bitop2_b32 v0, s2, v4 bitop3:0x14
	s_delay_alu instid0(VALU_DEP_1) | instskip(NEXT) | instid1(VALU_DEP_2)
	v_dual_cndmask_b32 v6, v6, v5, s0 :: v_dual_mov_b32 v1, v0
	v_xor_b32_e32 v5, v4, v0
	s_delay_alu instid0(VALU_DEP_2) | instskip(NEXT) | instid1(VALU_DEP_1)
	v_xor_b32_e32 v4, v6, v0
	v_sub_nc_u64_e32 v[4:5], v[4:5], v[0:1]
.LBB83_2:
	s_or_saveexec_b32 s0, s26
	s_wait_kmcnt 0x0
	s_load_b64 s[2:3], s[12:13], 0x0
	s_xor_b32 exec_lo, exec_lo, s0
	s_cbranch_execz .LBB83_4
; %bb.3:
	v_cvt_f32_u32_e32 v0, s22
	s_sub_co_i32 s1, 0, s22
	s_delay_alu instid0(VALU_DEP_1) | instskip(SKIP_1) | instid1(TRANS32_DEP_1)
	v_rcp_iflag_f32_e32 v0, v0
	v_nop
	v_mul_f32_e32 v0, 0x4f7ffffe, v0
	s_delay_alu instid0(VALU_DEP_1) | instskip(NEXT) | instid1(VALU_DEP_1)
	v_cvt_u32_f32_e32 v0, v0
	v_mul_lo_u32 v1, s1, v0
	s_delay_alu instid0(VALU_DEP_1) | instskip(NEXT) | instid1(VALU_DEP_1)
	v_mul_hi_u32 v1, v0, v1
	v_add_nc_u32_e32 v0, v0, v1
	s_delay_alu instid0(VALU_DEP_1) | instskip(NEXT) | instid1(VALU_DEP_1)
	v_mul_hi_u32 v0, v2, v0
	v_mul_lo_u32 v1, v0, s22
	s_delay_alu instid0(VALU_DEP_1) | instskip(NEXT) | instid1(VALU_DEP_1)
	v_sub_nc_u32_e32 v1, v2, v1
	v_subrev_nc_u32_e32 v5, s22, v1
	v_cmp_le_u32_e32 vcc_lo, s22, v1
	s_delay_alu instid0(VALU_DEP_2) | instskip(NEXT) | instid1(VALU_DEP_1)
	v_dual_cndmask_b32 v1, v1, v5 :: v_dual_add_nc_u32 v4, 1, v0
	v_dual_cndmask_b32 v0, v0, v4 :: v_dual_mov_b32 v5, 0
	s_delay_alu instid0(VALU_DEP_2) | instskip(NEXT) | instid1(VALU_DEP_2)
	v_cmp_le_u32_e32 vcc_lo, s22, v1
	v_add_nc_u32_e32 v4, 1, v0
	s_delay_alu instid0(VALU_DEP_1)
	v_cndmask_b32_e32 v4, v0, v4, vcc_lo
.LBB83_4:
	s_or_b32 exec_lo, exec_lo, s0
	s_delay_alu instid0(VALU_DEP_1) | instskip(SKIP_2) | instid1(VALU_DEP_2)
	v_mul_u64_e32 v[10:11], s[22:23], v[4:5]
	s_wait_kmcnt 0x0
	v_cmp_gt_i64_e64 s0, s[2:3], v[4:5]
	v_sub_nc_u64_e32 v[0:1], v[2:3], v[10:11]
	s_delay_alu instid0(VALU_DEP_1) | instskip(SKIP_1) | instid1(SALU_CYCLE_1)
	v_cmp_gt_i64_e32 vcc_lo, s[8:9], v[0:1]
	s_and_b32 s0, vcc_lo, s0
	s_and_saveexec_b32 s1, s0
	s_cbranch_execz .LBB83_13
; %bb.5:
	v_lshl_add_u64 v[8:9], v[4:5], 2, s[16:17]
	s_load_b64 s[0:1], s[18:19], 0x0
	s_add_nc_u64 s[2:3], s[2:3], -1
	global_load_b32 v6, v[8:9], off
	s_wait_kmcnt 0x0
	v_mov_b32_e32 v12, s0
	s_mov_b32 s0, exec_lo
	s_wait_xcnt 0x0
	v_cmpx_ne_u64_e64 s[2:3], v[4:5]
	s_xor_b32 s0, exec_lo, s0
	s_cbranch_execz .LBB83_7
; %bb.6:
	global_load_b32 v12, v[8:9], off offset:4
.LBB83_7:
	s_wait_xcnt 0x0
	s_and_not1_saveexec_b32 s0, s0
	s_delay_alu instid0(SALU_CYCLE_1)
	s_or_b32 exec_lo, exec_lo, s0
	v_mov_b64_e32 v[8:9], 0
	s_mov_b32 s2, exec_lo
	s_wait_loadcnt 0x0
	v_cmpx_lt_i32_e64 v6, v12
	s_cbranch_execz .LBB83_11
; %bb.8:
	v_ashrrev_i32_e32 v7, 31, v6
	v_lshlrev_b64_e32 v[2:3], 3, v[2:3]
	v_lshlrev_b64_e32 v[10:11], 3, v[10:11]
	s_lshl_b64 s[0:1], s[8:9], 3
	s_mov_b32 s3, 0
	v_mul_u64_e32 v[8:9], s[8:9], v[6:7]
	s_delay_alu instid0(VALU_DEP_1) | instskip(SKIP_1) | instid1(VALU_DEP_2)
	v_lshl_add_u64 v[2:3], v[8:9], 3, v[2:3]
	v_mov_b64_e32 v[8:9], 0
	v_sub_nc_u64_e32 v[2:3], v[2:3], v[10:11]
	s_delay_alu instid0(VALU_DEP_1)
	v_add_nc_u64_e32 v[2:3], s[14:15], v[2:3]
.LBB83_9:                               ; =>This Inner Loop Header: Depth=1
	global_load_b64 v[10:11], v[2:3], off
	v_add_nc_u32_e32 v6, 1, v6
	s_wait_xcnt 0x0
	v_add_nc_u64_e32 v[2:3], s[0:1], v[2:3]
	s_delay_alu instid0(VALU_DEP_2)
	v_cmp_ge_i32_e32 vcc_lo, v6, v12
	s_or_b32 s3, vcc_lo, s3
	s_wait_loadcnt 0x0
	v_add_f64_e32 v[8:9], v[8:9], v[10:11]
	s_and_not1_b32 exec_lo, exec_lo, s3
	s_cbranch_execnz .LBB83_9
; %bb.10:
	s_or_b32 exec_lo, exec_lo, s3
.LBB83_11:
	s_delay_alu instid0(SALU_CYCLE_1)
	s_or_b32 exec_lo, exec_lo, s2
	v_lshl_add_u64 v[2:3], v[4:5], 2, s[10:11]
	global_load_b32 v2, v[2:3], off
	s_wait_loadcnt 0x0
	global_load_b32 v2, v2, s[4:5] scale_offset
	s_wait_loadcnt 0x0
	v_ashrrev_i32_e32 v3, 31, v2
	s_delay_alu instid0(VALU_DEP_1)
	v_cmp_ne_u64_e32 vcc_lo, s[20:21], v[2:3]
	s_and_b32 exec_lo, exec_lo, vcc_lo
	s_cbranch_execz .LBB83_13
; %bb.12:
	v_mul_u64_e32 v[2:3], s[8:9], v[2:3]
	s_delay_alu instid0(VALU_DEP_1) | instskip(NEXT) | instid1(VALU_DEP_1)
	v_lshl_add_u64 v[2:3], v[2:3], 3, s[6:7]
	v_lshl_add_u64 v[0:1], v[0:1], 3, v[2:3]
	global_store_b64 v[0:1], v[8:9], off
.LBB83_13:
	s_endpgm
	.section	.rodata,"a",@progbits
	.p2align	6, 0x0
	.amdhsa_kernel _ZN2at6native12_GLOBAL__N_115sum_and_scatterIdiEEvPKT0_PT_lS5_PKlPKNS_14AccumulateTypeIS6_Lb1EE4typeES5_S9_ll
		.amdhsa_group_segment_fixed_size 0
		.amdhsa_private_segment_fixed_size 0
		.amdhsa_kernarg_size 336
		.amdhsa_user_sgpr_count 2
		.amdhsa_user_sgpr_dispatch_ptr 0
		.amdhsa_user_sgpr_queue_ptr 0
		.amdhsa_user_sgpr_kernarg_segment_ptr 1
		.amdhsa_user_sgpr_dispatch_id 0
		.amdhsa_user_sgpr_kernarg_preload_length 0
		.amdhsa_user_sgpr_kernarg_preload_offset 0
		.amdhsa_user_sgpr_private_segment_size 0
		.amdhsa_wavefront_size32 1
		.amdhsa_uses_dynamic_stack 0
		.amdhsa_enable_private_segment 0
		.amdhsa_system_sgpr_workgroup_id_x 1
		.amdhsa_system_sgpr_workgroup_id_y 0
		.amdhsa_system_sgpr_workgroup_id_z 0
		.amdhsa_system_sgpr_workgroup_info 0
		.amdhsa_system_vgpr_workitem_id 0
		.amdhsa_next_free_vgpr 16
		.amdhsa_next_free_sgpr 38
		.amdhsa_named_barrier_count 0
		.amdhsa_reserve_vcc 1
		.amdhsa_float_round_mode_32 0
		.amdhsa_float_round_mode_16_64 0
		.amdhsa_float_denorm_mode_32 3
		.amdhsa_float_denorm_mode_16_64 3
		.amdhsa_fp16_overflow 0
		.amdhsa_memory_ordered 1
		.amdhsa_forward_progress 1
		.amdhsa_inst_pref_size 10
		.amdhsa_round_robin_scheduling 0
		.amdhsa_exception_fp_ieee_invalid_op 0
		.amdhsa_exception_fp_denorm_src 0
		.amdhsa_exception_fp_ieee_div_zero 0
		.amdhsa_exception_fp_ieee_overflow 0
		.amdhsa_exception_fp_ieee_underflow 0
		.amdhsa_exception_fp_ieee_inexact 0
		.amdhsa_exception_int_div_zero 0
	.end_amdhsa_kernel
	.section	.text._ZN2at6native12_GLOBAL__N_115sum_and_scatterIdiEEvPKT0_PT_lS5_PKlPKNS_14AccumulateTypeIS6_Lb1EE4typeES5_S9_ll,"axG",@progbits,_ZN2at6native12_GLOBAL__N_115sum_and_scatterIdiEEvPKT0_PT_lS5_PKlPKNS_14AccumulateTypeIS6_Lb1EE4typeES5_S9_ll,comdat
.Lfunc_end83:
	.size	_ZN2at6native12_GLOBAL__N_115sum_and_scatterIdiEEvPKT0_PT_lS5_PKlPKNS_14AccumulateTypeIS6_Lb1EE4typeES5_S9_ll, .Lfunc_end83-_ZN2at6native12_GLOBAL__N_115sum_and_scatterIdiEEvPKT0_PT_lS5_PKlPKNS_14AccumulateTypeIS6_Lb1EE4typeES5_S9_ll
                                        ; -- End function
	.set _ZN2at6native12_GLOBAL__N_115sum_and_scatterIdiEEvPKT0_PT_lS5_PKlPKNS_14AccumulateTypeIS6_Lb1EE4typeES5_S9_ll.num_vgpr, 16
	.set _ZN2at6native12_GLOBAL__N_115sum_and_scatterIdiEEvPKT0_PT_lS5_PKlPKNS_14AccumulateTypeIS6_Lb1EE4typeES5_S9_ll.num_agpr, 0
	.set _ZN2at6native12_GLOBAL__N_115sum_and_scatterIdiEEvPKT0_PT_lS5_PKlPKNS_14AccumulateTypeIS6_Lb1EE4typeES5_S9_ll.numbered_sgpr, 38
	.set _ZN2at6native12_GLOBAL__N_115sum_and_scatterIdiEEvPKT0_PT_lS5_PKlPKNS_14AccumulateTypeIS6_Lb1EE4typeES5_S9_ll.num_named_barrier, 0
	.set _ZN2at6native12_GLOBAL__N_115sum_and_scatterIdiEEvPKT0_PT_lS5_PKlPKNS_14AccumulateTypeIS6_Lb1EE4typeES5_S9_ll.private_seg_size, 0
	.set _ZN2at6native12_GLOBAL__N_115sum_and_scatterIdiEEvPKT0_PT_lS5_PKlPKNS_14AccumulateTypeIS6_Lb1EE4typeES5_S9_ll.uses_vcc, 1
	.set _ZN2at6native12_GLOBAL__N_115sum_and_scatterIdiEEvPKT0_PT_lS5_PKlPKNS_14AccumulateTypeIS6_Lb1EE4typeES5_S9_ll.uses_flat_scratch, 0
	.set _ZN2at6native12_GLOBAL__N_115sum_and_scatterIdiEEvPKT0_PT_lS5_PKlPKNS_14AccumulateTypeIS6_Lb1EE4typeES5_S9_ll.has_dyn_sized_stack, 0
	.set _ZN2at6native12_GLOBAL__N_115sum_and_scatterIdiEEvPKT0_PT_lS5_PKlPKNS_14AccumulateTypeIS6_Lb1EE4typeES5_S9_ll.has_recursion, 0
	.set _ZN2at6native12_GLOBAL__N_115sum_and_scatterIdiEEvPKT0_PT_lS5_PKlPKNS_14AccumulateTypeIS6_Lb1EE4typeES5_S9_ll.has_indirect_call, 0
	.section	.AMDGPU.csdata,"",@progbits
; Kernel info:
; codeLenInByte = 1236
; TotalNumSgprs: 40
; NumVgprs: 16
; ScratchSize: 0
; MemoryBound: 0
; FloatMode: 240
; IeeeMode: 1
; LDSByteSize: 0 bytes/workgroup (compile time only)
; SGPRBlocks: 0
; VGPRBlocks: 0
; NumSGPRsForWavesPerEU: 40
; NumVGPRsForWavesPerEU: 16
; NamedBarCnt: 0
; Occupancy: 16
; WaveLimiterHint : 1
; COMPUTE_PGM_RSRC2:SCRATCH_EN: 0
; COMPUTE_PGM_RSRC2:USER_SGPR: 2
; COMPUTE_PGM_RSRC2:TRAP_HANDLER: 0
; COMPUTE_PGM_RSRC2:TGID_X_EN: 1
; COMPUTE_PGM_RSRC2:TGID_Y_EN: 0
; COMPUTE_PGM_RSRC2:TGID_Z_EN: 0
; COMPUTE_PGM_RSRC2:TIDIG_COMP_CNT: 0
	.section	.text._ZN2at6native12_GLOBAL__N_137compute_grad_weight_atomic_accumulateIffiEEvPKT1_PKT_S5_llS5_PKlS5_S5_S5_PT0_ll,"axG",@progbits,_ZN2at6native12_GLOBAL__N_137compute_grad_weight_atomic_accumulateIffiEEvPKT1_PKT_S5_llS5_PKlS5_S5_S5_PT0_ll,comdat
	.globl	_ZN2at6native12_GLOBAL__N_137compute_grad_weight_atomic_accumulateIffiEEvPKT1_PKT_S5_llS5_PKlS5_S5_S5_PT0_ll ; -- Begin function _ZN2at6native12_GLOBAL__N_137compute_grad_weight_atomic_accumulateIffiEEvPKT1_PKT_S5_llS5_PKlS5_S5_S5_PT0_ll
	.p2align	8
	.type	_ZN2at6native12_GLOBAL__N_137compute_grad_weight_atomic_accumulateIffiEEvPKT1_PKT_S5_llS5_PKlS5_S5_S5_PT0_ll,@function
_ZN2at6native12_GLOBAL__N_137compute_grad_weight_atomic_accumulateIffiEEvPKT1_PKT_S5_llS5_PKlS5_S5_S5_PT0_ll: ; @_ZN2at6native12_GLOBAL__N_137compute_grad_weight_atomic_accumulateIffiEEvPKT1_PKT_S5_llS5_PKlS5_S5_S5_PT0_ll
; %bb.0:
	s_clause 0x1
	s_load_b32 s2, s[0:1], 0x74
	s_load_b64 s[20:21], s[0:1], 0x60
	s_bfe_u32 s3, ttmp6, 0x4000c
	s_and_b32 s4, ttmp6, 15
	s_add_co_i32 s3, s3, 1
	s_getreg_b32 s5, hwreg(HW_REG_IB_STS2, 6, 4)
	s_mul_i32 s3, ttmp9, s3
                                        ; implicit-def: $vgpr2_vgpr3
	v_mov_b32_e32 v4, 0
	s_add_co_i32 s4, s4, s3
	s_wait_kmcnt 0x0
	s_and_b32 s2, s2, 0xffff
	s_cmp_eq_u32 s5, 0
	s_cselect_b32 s3, ttmp9, s4
	s_delay_alu instid0(SALU_CYCLE_1) | instskip(SKIP_2) | instid1(VALU_DEP_1)
	v_mad_u32 v0, s3, s2, v0
	s_mov_b32 s3, 0
	s_mov_b32 s2, exec_lo
	v_ashrrev_i32_e32 v1, 31, v0
	s_delay_alu instid0(VALU_DEP_1) | instskip(NEXT) | instid1(VALU_DEP_1)
	v_or_b32_e32 v5, s21, v1
	v_cmpx_ne_u64_e32 0, v[4:5]
	s_xor_b32 s8, exec_lo, s2
	s_cbranch_execz .LBB84_2
; %bb.1:
	s_ashr_i32 s4, s21, 31
	v_dual_mov_b32 v9, v4 :: v_dual_ashrrev_i32 v2, 31, v1
	s_mov_b32 s5, s4
	v_mov_b32_e32 v11, v4
	s_add_nc_u64 s[6:7], s[20:21], s[4:5]
	s_delay_alu instid0(VALU_DEP_2)
	v_mov_b32_e32 v3, v2
	s_xor_b64 s[6:7], s[6:7], s[4:5]
	v_mov_b32_e32 v17, v4
	s_cvt_f32_u32 s2, s6
	s_cvt_f32_u32 s5, s7
	s_sub_nc_u64 s[12:13], 0, s[6:7]
	v_add_nc_u64_e32 v[6:7], v[0:1], v[2:3]
	v_mov_b32_e32 v5, v4
	s_fmamk_f32 s2, s5, 0x4f800000, s2
	s_delay_alu instid0(SALU_CYCLE_3) | instskip(NEXT) | instid1(VALU_DEP_2)
	v_s_rcp_f32 s2, s2
	v_xor_b32_e32 v8, v6, v2
	s_delay_alu instid0(VALU_DEP_3) | instskip(SKIP_1) | instid1(TRANS32_DEP_1)
	v_xor_b32_e32 v10, v7, v2
	v_xor_b32_e32 v2, s4, v2
	s_mul_f32 s2, s2, 0x5f7ffffc
	s_delay_alu instid0(SALU_CYCLE_3) | instskip(NEXT) | instid1(SALU_CYCLE_3)
	s_mul_f32 s5, s2, 0x2f800000
	s_trunc_f32 s5, s5
	s_delay_alu instid0(SALU_CYCLE_3) | instskip(SKIP_1) | instid1(SALU_CYCLE_2)
	s_fmamk_f32 s2, s5, 0xcf800000, s2
	s_cvt_u32_f32 s11, s5
	s_cvt_u32_f32 s10, s2
	s_delay_alu instid0(SALU_CYCLE_3) | instskip(NEXT) | instid1(SALU_CYCLE_1)
	s_mul_u64 s[14:15], s[12:13], s[10:11]
	s_mul_hi_u32 s17, s10, s15
	s_mul_i32 s16, s10, s15
	s_mul_hi_u32 s2, s10, s14
	s_mul_i32 s9, s11, s14
	s_add_nc_u64 s[16:17], s[2:3], s[16:17]
	s_mul_hi_u32 s5, s11, s14
	s_mul_hi_u32 s18, s11, s15
	s_add_co_u32 s2, s16, s9
	s_add_co_ci_u32 s2, s17, s5
	s_mul_i32 s14, s11, s15
	s_add_co_ci_u32 s15, s18, 0
	s_delay_alu instid0(SALU_CYCLE_1) | instskip(NEXT) | instid1(SALU_CYCLE_1)
	s_add_nc_u64 s[14:15], s[2:3], s[14:15]
	s_add_co_u32 s10, s10, s14
	s_cselect_b32 s2, -1, 0
	s_delay_alu instid0(SALU_CYCLE_1) | instskip(SKIP_1) | instid1(SALU_CYCLE_1)
	s_cmp_lg_u32 s2, 0
	s_add_co_ci_u32 s11, s11, s15
	s_mul_u64 s[12:13], s[12:13], s[10:11]
	s_delay_alu instid0(SALU_CYCLE_1)
	s_mul_hi_u32 s15, s10, s13
	s_mul_i32 s14, s10, s13
	s_mul_hi_u32 s2, s10, s12
	s_mul_i32 s9, s11, s12
	s_add_nc_u64 s[14:15], s[2:3], s[14:15]
	s_mul_hi_u32 s5, s11, s12
	s_mul_hi_u32 s16, s11, s13
	s_add_co_u32 s2, s14, s9
	s_add_co_ci_u32 s2, s15, s5
	s_mul_i32 s12, s11, s13
	s_add_co_ci_u32 s13, s16, 0
	s_delay_alu instid0(SALU_CYCLE_1) | instskip(NEXT) | instid1(SALU_CYCLE_1)
	s_add_nc_u64 s[12:13], s[2:3], s[12:13]
	s_add_co_u32 s10, s10, s12
	s_cselect_b32 s2, -1, 0
	v_mul_hi_u32 v16, v8, s10
	s_cmp_lg_u32 s2, 0
	s_add_co_ci_u32 s2, s11, s13
	s_mov_b64 s[12:13], 0xffffffff
	v_mul_u64_e32 v[12:13], s[2:3], v[8:9]
	s_and_b64 s[12:13], s[10:11], s[12:13]
	v_mul_u64_e32 v[14:15], s[2:3], v[10:11]
	v_mul_u64_e32 v[6:7], s[12:13], v[10:11]
	s_delay_alu instid0(VALU_DEP_3) | instskip(NEXT) | instid1(VALU_DEP_1)
	v_add_nc_u64_e32 v[12:13], v[16:17], v[12:13]
	v_add_co_u32 v3, vcc_lo, v12, v6
	s_delay_alu instid0(VALU_DEP_2) | instskip(SKIP_1) | instid1(VALU_DEP_1)
	v_add_co_ci_u32_e32 v4, vcc_lo, v13, v7, vcc_lo
	v_add_co_ci_u32_e32 v15, vcc_lo, 0, v15, vcc_lo
	v_add_nc_u64_e32 v[4:5], v[4:5], v[14:15]
	s_delay_alu instid0(VALU_DEP_1) | instskip(NEXT) | instid1(VALU_DEP_1)
	v_mul_u64_e32 v[6:7], s[6:7], v[4:5]
	v_sub_nc_u32_e32 v3, v10, v7
	s_delay_alu instid0(VALU_DEP_2) | instskip(NEXT) | instid1(VALU_DEP_1)
	v_sub_co_u32 v6, vcc_lo, v8, v6
	v_sub_co_ci_u32_e64 v10, null, v10, v7, vcc_lo
	s_delay_alu instid0(VALU_DEP_3) | instskip(NEXT) | instid1(VALU_DEP_3)
	v_subrev_co_ci_u32_e64 v3, null, s7, v3, vcc_lo
	v_sub_co_u32 v8, s2, v6, s6
	s_delay_alu instid0(VALU_DEP_1) | instskip(NEXT) | instid1(VALU_DEP_2)
	v_subrev_co_ci_u32_e64 v3, null, 0, v3, s2
	v_cmp_le_u32_e32 vcc_lo, s6, v8
	v_cndmask_b32_e64 v7, 0, -1, vcc_lo
	s_delay_alu instid0(VALU_DEP_3)
	v_cmp_le_u32_e32 vcc_lo, s7, v3
	v_cndmask_b32_e64 v8, 0, -1, vcc_lo
	v_cmp_le_u32_e32 vcc_lo, s6, v6
	v_cndmask_b32_e64 v11, 0, -1, vcc_lo
	;; [unrolled: 2-line block ×3, first 2 shown]
	v_cmp_eq_u32_e32 vcc_lo, s7, v3
	v_cndmask_b32_e32 v3, v8, v7, vcc_lo
	v_cmp_eq_u32_e32 vcc_lo, s7, v10
	v_add_nc_u64_e32 v[6:7], 2, v[4:5]
	v_add_nc_u64_e32 v[8:9], 1, v[4:5]
	v_cndmask_b32_e32 v10, v12, v11, vcc_lo
	v_cmp_ne_u32_e32 vcc_lo, 0, v3
	s_delay_alu instid0(VALU_DEP_2) | instskip(NEXT) | instid1(VALU_DEP_4)
	v_cmp_ne_u32_e64 s2, 0, v10
	v_dual_cndmask_b32 v6, v8, v6 :: v_dual_cndmask_b32 v3, v9, v7
	s_delay_alu instid0(VALU_DEP_1) | instskip(NEXT) | instid1(VALU_DEP_1)
	v_dual_cndmask_b32 v4, v4, v6, s2 :: v_dual_cndmask_b32 v5, v5, v3, s2
	v_dual_mov_b32 v3, v2 :: v_dual_bitop2_b32 v4, v4, v2 bitop3:0x14
	s_delay_alu instid0(VALU_DEP_2) | instskip(NEXT) | instid1(VALU_DEP_1)
	v_xor_b32_e32 v5, v5, v2
	v_sub_nc_u64_e32 v[2:3], v[4:5], v[2:3]
.LBB84_2:
	s_or_saveexec_b32 s2, s8
	s_load_b512 s[4:19], s[0:1], 0x0
	s_xor_b32 exec_lo, exec_lo, s2
	s_cbranch_execz .LBB84_4
; %bb.3:
	v_cvt_f32_u32_e32 v2, s20
	s_sub_co_i32 s3, 0, s20
	s_delay_alu instid0(VALU_DEP_1) | instskip(SKIP_1) | instid1(TRANS32_DEP_1)
	v_rcp_iflag_f32_e32 v2, v2
	v_nop
	v_mul_f32_e32 v2, 0x4f7ffffe, v2
	s_delay_alu instid0(VALU_DEP_1) | instskip(NEXT) | instid1(VALU_DEP_1)
	v_cvt_u32_f32_e32 v2, v2
	v_mul_lo_u32 v3, s3, v2
	s_delay_alu instid0(VALU_DEP_1) | instskip(NEXT) | instid1(VALU_DEP_1)
	v_mul_hi_u32 v3, v2, v3
	v_add_nc_u32_e32 v2, v2, v3
	s_delay_alu instid0(VALU_DEP_1) | instskip(NEXT) | instid1(VALU_DEP_1)
	v_mul_hi_u32 v2, v0, v2
	v_mul_lo_u32 v3, v2, s20
	s_delay_alu instid0(VALU_DEP_1) | instskip(NEXT) | instid1(VALU_DEP_1)
	v_dual_add_nc_u32 v4, 1, v2 :: v_dual_sub_nc_u32 v3, v0, v3
	v_subrev_nc_u32_e32 v5, s20, v3
	v_cmp_le_u32_e32 vcc_lo, s20, v3
	s_delay_alu instid0(VALU_DEP_2) | instskip(NEXT) | instid1(VALU_DEP_1)
	v_dual_cndmask_b32 v3, v3, v5 :: v_dual_cndmask_b32 v2, v2, v4
	v_cmp_le_u32_e32 vcc_lo, s20, v3
	s_delay_alu instid0(VALU_DEP_2) | instskip(NEXT) | instid1(VALU_DEP_1)
	v_dual_mov_b32 v3, 0 :: v_dual_add_nc_u32 v4, 1, v2
	v_cndmask_b32_e32 v2, v2, v4, vcc_lo
.LBB84_4:
	s_or_b32 exec_lo, exec_lo, s2
	s_delay_alu instid0(VALU_DEP_1) | instskip(SKIP_1) | instid1(VALU_DEP_1)
	v_mul_u64_e32 v[4:5], s[20:21], v[2:3]
	s_mov_b32 s2, exec_lo
	v_sub_nc_u64_e32 v[0:1], v[0:1], v[4:5]
	s_wait_kmcnt 0x0
	s_delay_alu instid0(VALU_DEP_1)
	v_cmpx_gt_i64_e64 s[12:13], v[0:1]
	s_cbranch_execz .LBB84_19
; %bb.5:
	s_load_b64 s[2:3], s[16:17], 0x0
	v_ashrrev_i32_e32 v3, 31, v2
	s_wait_kmcnt 0x0
	s_delay_alu instid0(VALU_DEP_1)
	v_cmp_gt_i64_e32 vcc_lo, s[2:3], v[2:3]
	s_and_b32 exec_lo, exec_lo, vcc_lo
	s_cbranch_execz .LBB84_19
; %bb.6:
	v_lshl_add_u64 v[4:5], v[2:3], 2, s[14:15]
	s_add_nc_u64 s[2:3], s[2:3], -1
                                        ; implicit-def: $vgpr14
	s_delay_alu instid0(SALU_CYCLE_1) | instskip(SKIP_3) | instid1(SALU_CYCLE_1)
	v_cmp_ne_u64_e32 vcc_lo, s[2:3], v[2:3]
	global_load_b32 v4, v[4:5], off
	s_wait_xcnt 0x0
	s_and_saveexec_b32 s2, vcc_lo
	s_xor_b32 s2, exec_lo, s2
	s_cbranch_execz .LBB84_8
; %bb.7:
	v_dual_mov_b32 v6, 0 :: v_dual_add_nc_u32 v7, 1, v2
	s_delay_alu instid0(VALU_DEP_1) | instskip(NEXT) | instid1(VALU_DEP_1)
	v_ashrrev_i64 v[6:7], 30, v[6:7]
	v_add_nc_u64_e32 v[6:7], s[14:15], v[6:7]
	global_load_b32 v14, v[6:7], off
.LBB84_8:
	s_wait_xcnt 0x0
	s_or_saveexec_b32 s2, s2
	s_load_b256 s[20:27], s[0:1], 0x40
	s_xor_b32 exec_lo, exec_lo, s2
	s_cbranch_execz .LBB84_10
; %bb.9:
	s_wait_loadcnt 0x0
	v_mov_b32_e32 v14, s10
.LBB84_10:
	s_or_b32 exec_lo, exec_lo, s2
	v_mov_b32_e32 v5, 0
	s_wait_xcnt 0x0
	s_mov_b32 s0, exec_lo
	s_wait_loadcnt 0x0
	v_cmpx_lt_i32_e64 v4, v14
	s_cbranch_execz .LBB84_17
; %bb.11:
	v_ashrrev_i32_e32 v5, 31, v4
	v_lshl_add_u64 v[6:7], v[0:1], 2, s[6:7]
	s_cmp_lg_u64 s[8:9], 0
	s_mov_b32 s2, 0
	s_cselect_b32 s1, -1, 0
	v_lshlrev_b64_e32 v[10:11], 2, v[4:5]
	v_mov_b32_e32 v5, 0
	s_delay_alu instid0(VALU_DEP_2)
	v_add_nc_u64_e32 v[8:9], s[4:5], v[10:11]
	v_add_nc_u64_e32 v[10:11], s[8:9], v[10:11]
	s_branch .LBB84_14
.LBB84_12:                              ;   in Loop: Header=BB84_14 Depth=1
	global_load_b32 v13, v[10:11], off
	s_wait_loadcnt 0x0
	v_cvt_f32_i32_e32 v13, v13
	s_delay_alu instid0(VALU_DEP_1) | instskip(NEXT) | instid1(VALU_DEP_1)
	v_div_scale_f32 v15, null, v13, v13, 1.0
	v_rcp_f32_e32 v16, v15
	v_nop
	s_delay_alu instid0(TRANS32_DEP_1) | instskip(NEXT) | instid1(VALU_DEP_1)
	v_fma_f32 v17, -v15, v16, 1.0
	v_fmac_f32_e32 v16, v17, v16
	v_div_scale_f32 v17, vcc_lo, 1.0, v13, 1.0
	s_delay_alu instid0(VALU_DEP_1) | instskip(NEXT) | instid1(VALU_DEP_1)
	v_mul_f32_e32 v18, v17, v16
	v_fma_f32 v19, -v15, v18, v17
	s_delay_alu instid0(VALU_DEP_1) | instskip(NEXT) | instid1(VALU_DEP_1)
	v_fmac_f32_e32 v18, v19, v16
	v_fma_f32 v15, -v15, v18, v17
	s_delay_alu instid0(VALU_DEP_1) | instskip(NEXT) | instid1(VALU_DEP_1)
	v_div_fmas_f32 v15, v15, v16, v18
	v_div_fixup_f32 v15, v15, v13, 1.0
.LBB84_13:                              ;   in Loop: Header=BB84_14 Depth=1
	s_wait_loadcnt 0x0
	v_ashrrev_i32_e32 v13, 31, v12
	v_add_nc_u32_e32 v4, 1, v4
	v_add_nc_u64_e32 v[8:9], 4, v[8:9]
	v_add_nc_u64_e32 v[10:11], 4, v[10:11]
	s_delay_alu instid0(VALU_DEP_4) | instskip(NEXT) | instid1(VALU_DEP_4)
	v_mul_u64_e32 v[12:13], s[12:13], v[12:13]
	v_cmp_ge_i32_e32 vcc_lo, v4, v14
	s_or_b32 s2, vcc_lo, s2
	s_delay_alu instid0(VALU_DEP_2)
	v_lshl_add_u64 v[12:13], v[12:13], 2, v[6:7]
	global_load_b32 v12, v[12:13], off
	s_wait_loadcnt 0x0
	v_fmac_f32_e32 v5, v15, v12
	s_and_not1_b32 exec_lo, exec_lo, s2
	s_cbranch_execz .LBB84_16
.LBB84_14:                              ; =>This Inner Loop Header: Depth=1
	global_load_b32 v12, v[8:9], off
	s_and_not1_b32 vcc_lo, exec_lo, s1
	s_cbranch_vccz .LBB84_12
; %bb.15:                               ;   in Loop: Header=BB84_14 Depth=1
	v_mov_b32_e32 v15, 1.0
	s_branch .LBB84_13
.LBB84_16:
	s_or_b32 exec_lo, exec_lo, s2
.LBB84_17:
	s_delay_alu instid0(SALU_CYCLE_1)
	s_or_b32 exec_lo, exec_lo, s0
	s_wait_kmcnt 0x0
	v_lshl_add_u64 v[2:3], v[2:3], 2, s[20:21]
	global_load_b32 v2, v[2:3], off
	s_wait_loadcnt 0x0
	global_load_b32 v2, v2, s[22:23] scale_offset
	s_wait_loadcnt 0x0
	global_load_b32 v2, v2, s[18:19] scale_offset
	s_wait_loadcnt 0x0
	v_ashrrev_i32_e32 v3, 31, v2
	s_delay_alu instid0(VALU_DEP_1)
	v_cmp_ne_u64_e32 vcc_lo, s[26:27], v[2:3]
	s_and_b32 exec_lo, exec_lo, vcc_lo
	s_cbranch_execz .LBB84_19
; %bb.18:
	v_mul_u64_e32 v[2:3], s[12:13], v[2:3]
	s_delay_alu instid0(VALU_DEP_1) | instskip(NEXT) | instid1(VALU_DEP_1)
	v_lshl_add_u64 v[2:3], v[2:3], 2, s[24:25]
	v_lshl_add_u64 v[0:1], v[0:1], 2, v[2:3]
	global_atomic_add_f32 v[0:1], v5, off scope:SCOPE_DEV
.LBB84_19:
	s_endpgm
	.section	.rodata,"a",@progbits
	.p2align	6, 0x0
	.amdhsa_kernel _ZN2at6native12_GLOBAL__N_137compute_grad_weight_atomic_accumulateIffiEEvPKT1_PKT_S5_llS5_PKlS5_S5_S5_PT0_ll
		.amdhsa_group_segment_fixed_size 0
		.amdhsa_private_segment_fixed_size 0
		.amdhsa_kernarg_size 360
		.amdhsa_user_sgpr_count 2
		.amdhsa_user_sgpr_dispatch_ptr 0
		.amdhsa_user_sgpr_queue_ptr 0
		.amdhsa_user_sgpr_kernarg_segment_ptr 1
		.amdhsa_user_sgpr_dispatch_id 0
		.amdhsa_user_sgpr_kernarg_preload_length 0
		.amdhsa_user_sgpr_kernarg_preload_offset 0
		.amdhsa_user_sgpr_private_segment_size 0
		.amdhsa_wavefront_size32 1
		.amdhsa_uses_dynamic_stack 0
		.amdhsa_enable_private_segment 0
		.amdhsa_system_sgpr_workgroup_id_x 1
		.amdhsa_system_sgpr_workgroup_id_y 0
		.amdhsa_system_sgpr_workgroup_id_z 0
		.amdhsa_system_sgpr_workgroup_info 0
		.amdhsa_system_vgpr_workitem_id 0
		.amdhsa_next_free_vgpr 20
		.amdhsa_next_free_sgpr 28
		.amdhsa_named_barrier_count 0
		.amdhsa_reserve_vcc 1
		.amdhsa_float_round_mode_32 0
		.amdhsa_float_round_mode_16_64 0
		.amdhsa_float_denorm_mode_32 3
		.amdhsa_float_denorm_mode_16_64 3
		.amdhsa_fp16_overflow 0
		.amdhsa_memory_ordered 1
		.amdhsa_forward_progress 1
		.amdhsa_inst_pref_size 12
		.amdhsa_round_robin_scheduling 0
		.amdhsa_exception_fp_ieee_invalid_op 0
		.amdhsa_exception_fp_denorm_src 0
		.amdhsa_exception_fp_ieee_div_zero 0
		.amdhsa_exception_fp_ieee_overflow 0
		.amdhsa_exception_fp_ieee_underflow 0
		.amdhsa_exception_fp_ieee_inexact 0
		.amdhsa_exception_int_div_zero 0
	.end_amdhsa_kernel
	.section	.text._ZN2at6native12_GLOBAL__N_137compute_grad_weight_atomic_accumulateIffiEEvPKT1_PKT_S5_llS5_PKlS5_S5_S5_PT0_ll,"axG",@progbits,_ZN2at6native12_GLOBAL__N_137compute_grad_weight_atomic_accumulateIffiEEvPKT1_PKT_S5_llS5_PKlS5_S5_S5_PT0_ll,comdat
.Lfunc_end84:
	.size	_ZN2at6native12_GLOBAL__N_137compute_grad_weight_atomic_accumulateIffiEEvPKT1_PKT_S5_llS5_PKlS5_S5_S5_PT0_ll, .Lfunc_end84-_ZN2at6native12_GLOBAL__N_137compute_grad_weight_atomic_accumulateIffiEEvPKT1_PKT_S5_llS5_PKlS5_S5_S5_PT0_ll
                                        ; -- End function
	.set _ZN2at6native12_GLOBAL__N_137compute_grad_weight_atomic_accumulateIffiEEvPKT1_PKT_S5_llS5_PKlS5_S5_S5_PT0_ll.num_vgpr, 20
	.set _ZN2at6native12_GLOBAL__N_137compute_grad_weight_atomic_accumulateIffiEEvPKT1_PKT_S5_llS5_PKlS5_S5_S5_PT0_ll.num_agpr, 0
	.set _ZN2at6native12_GLOBAL__N_137compute_grad_weight_atomic_accumulateIffiEEvPKT1_PKT_S5_llS5_PKlS5_S5_S5_PT0_ll.numbered_sgpr, 28
	.set _ZN2at6native12_GLOBAL__N_137compute_grad_weight_atomic_accumulateIffiEEvPKT1_PKT_S5_llS5_PKlS5_S5_S5_PT0_ll.num_named_barrier, 0
	.set _ZN2at6native12_GLOBAL__N_137compute_grad_weight_atomic_accumulateIffiEEvPKT1_PKT_S5_llS5_PKlS5_S5_S5_PT0_ll.private_seg_size, 0
	.set _ZN2at6native12_GLOBAL__N_137compute_grad_weight_atomic_accumulateIffiEEvPKT1_PKT_S5_llS5_PKlS5_S5_S5_PT0_ll.uses_vcc, 1
	.set _ZN2at6native12_GLOBAL__N_137compute_grad_weight_atomic_accumulateIffiEEvPKT1_PKT_S5_llS5_PKlS5_S5_S5_PT0_ll.uses_flat_scratch, 0
	.set _ZN2at6native12_GLOBAL__N_137compute_grad_weight_atomic_accumulateIffiEEvPKT1_PKT_S5_llS5_PKlS5_S5_S5_PT0_ll.has_dyn_sized_stack, 0
	.set _ZN2at6native12_GLOBAL__N_137compute_grad_weight_atomic_accumulateIffiEEvPKT1_PKT_S5_llS5_PKlS5_S5_S5_PT0_ll.has_recursion, 0
	.set _ZN2at6native12_GLOBAL__N_137compute_grad_weight_atomic_accumulateIffiEEvPKT1_PKT_S5_llS5_PKlS5_S5_S5_PT0_ll.has_indirect_call, 0
	.section	.AMDGPU.csdata,"",@progbits
; Kernel info:
; codeLenInByte = 1456
; TotalNumSgprs: 30
; NumVgprs: 20
; ScratchSize: 0
; MemoryBound: 0
; FloatMode: 240
; IeeeMode: 1
; LDSByteSize: 0 bytes/workgroup (compile time only)
; SGPRBlocks: 0
; VGPRBlocks: 1
; NumSGPRsForWavesPerEU: 30
; NumVGPRsForWavesPerEU: 20
; NamedBarCnt: 0
; Occupancy: 16
; WaveLimiterHint : 1
; COMPUTE_PGM_RSRC2:SCRATCH_EN: 0
; COMPUTE_PGM_RSRC2:USER_SGPR: 2
; COMPUTE_PGM_RSRC2:TRAP_HANDLER: 0
; COMPUTE_PGM_RSRC2:TGID_X_EN: 1
; COMPUTE_PGM_RSRC2:TGID_Y_EN: 0
; COMPUTE_PGM_RSRC2:TGID_Z_EN: 0
; COMPUTE_PGM_RSRC2:TIDIG_COMP_CNT: 0
	.section	.text._ZN2at6native12_GLOBAL__N_124compute_grad_weight_bagsIfiEEvPKT0_PKT_S5_S5_lliS5_S8_lS5_PKlPNS_14AccumulateTypeIS6_Lb1EE4typeEl,"axG",@progbits,_ZN2at6native12_GLOBAL__N_124compute_grad_weight_bagsIfiEEvPKT0_PKT_S5_S5_lliS5_S8_lS5_PKlPNS_14AccumulateTypeIS6_Lb1EE4typeEl,comdat
	.globl	_ZN2at6native12_GLOBAL__N_124compute_grad_weight_bagsIfiEEvPKT0_PKT_S5_S5_lliS5_S8_lS5_PKlPNS_14AccumulateTypeIS6_Lb1EE4typeEl ; -- Begin function _ZN2at6native12_GLOBAL__N_124compute_grad_weight_bagsIfiEEvPKT0_PKT_S5_S5_lliS5_S8_lS5_PKlPNS_14AccumulateTypeIS6_Lb1EE4typeEl
	.p2align	8
	.type	_ZN2at6native12_GLOBAL__N_124compute_grad_weight_bagsIfiEEvPKT0_PKT_S5_S5_lliS5_S8_lS5_PKlPNS_14AccumulateTypeIS6_Lb1EE4typeEl,@function
_ZN2at6native12_GLOBAL__N_124compute_grad_weight_bagsIfiEEvPKT0_PKT_S5_S5_lliS5_S8_lS5_PKlPNS_14AccumulateTypeIS6_Lb1EE4typeEl: ; @_ZN2at6native12_GLOBAL__N_124compute_grad_weight_bagsIfiEEvPKT0_PKT_S5_S5_lliS5_S8_lS5_PKlPNS_14AccumulateTypeIS6_Lb1EE4typeEl
; %bb.0:
	s_load_b32 s2, s[0:1], 0x7c
	s_bfe_u32 s3, ttmp6, 0x4000c
	s_clause 0x1
	s_load_b64 s[4:5], s[0:1], 0x68
	s_load_b128 s[20:23], s[0:1], 0x58
	s_add_co_i32 s3, s3, 1
	s_and_b32 s6, ttmp6, 15
	s_mul_i32 s3, ttmp9, s3
	s_getreg_b32 s7, hwreg(HW_REG_IB_STS2, 6, 4)
	v_mov_b32_e32 v1, 0
	s_add_co_i32 s6, s6, s3
	s_wait_kmcnt 0x0
	s_and_b32 s2, s2, 0xffff
	s_cmp_eq_u32 s7, 0
	s_cselect_b32 s3, ttmp9, s6
	s_delay_alu instid0(SALU_CYCLE_1) | instskip(SKIP_1) | instid1(VALU_DEP_1)
	v_mad_nc_u64_u32 v[2:3], s2, s3, v[0:1]
	s_mov_b32 s3, 0
	v_dual_mov_b32 v4, v1 :: v_dual_bitop2_b32 v5, s5, v3 bitop3:0x54
	s_delay_alu instid0(VALU_DEP_1) | instskip(SKIP_1) | instid1(SALU_CYCLE_1)
	v_cmp_ne_u64_e32 vcc_lo, 0, v[4:5]
                                        ; implicit-def: $vgpr4_vgpr5
	s_and_saveexec_b32 s2, vcc_lo
	s_xor_b32 s10, exec_lo, s2
	s_cbranch_execz .LBB85_2
; %bb.1:
	s_ashr_i32 s6, s5, 31
	v_dual_mov_b32 v9, v1 :: v_dual_ashrrev_i32 v4, 31, v3
	s_mov_b32 s7, s6
	v_mov_b32_e32 v15, v1
	s_add_nc_u64 s[8:9], s[4:5], s[6:7]
	s_delay_alu instid0(VALU_DEP_2) | instskip(SKIP_1) | instid1(SALU_CYCLE_1)
	v_mov_b32_e32 v5, v4
	s_xor_b64 s[8:9], s[8:9], s[6:7]
	s_cvt_f32_u32 s2, s8
	s_cvt_f32_u32 s7, s9
	s_sub_nc_u64 s[14:15], 0, s[8:9]
	v_add_nc_u64_e32 v[6:7], v[2:3], v[4:5]
	s_delay_alu instid0(SALU_CYCLE_1) | instskip(NEXT) | instid1(SALU_CYCLE_3)
	s_fmamk_f32 s2, s7, 0x4f800000, s2
	v_s_rcp_f32 s2, s2
	s_delay_alu instid0(VALU_DEP_1) | instskip(NEXT) | instid1(VALU_DEP_2)
	v_xor_b32_e32 v0, v6, v4
	v_xor_b32_e32 v8, v7, v4
	s_delay_alu instid0(TRANS32_DEP_1) | instskip(NEXT) | instid1(SALU_CYCLE_3)
	s_mul_f32 s2, s2, 0x5f7ffffc
	s_mul_f32 s7, s2, 0x2f800000
	s_delay_alu instid0(SALU_CYCLE_3) | instskip(NEXT) | instid1(SALU_CYCLE_3)
	s_trunc_f32 s7, s7
	s_fmamk_f32 s2, s7, 0xcf800000, s2
	s_cvt_u32_f32 s13, s7
	s_delay_alu instid0(SALU_CYCLE_2) | instskip(NEXT) | instid1(SALU_CYCLE_3)
	s_cvt_u32_f32 s12, s2
	s_mul_u64 s[16:17], s[14:15], s[12:13]
	s_delay_alu instid0(SALU_CYCLE_1)
	s_mul_hi_u32 s19, s12, s17
	s_mul_i32 s18, s12, s17
	s_mul_hi_u32 s2, s12, s16
	s_mul_i32 s11, s13, s16
	s_add_nc_u64 s[18:19], s[2:3], s[18:19]
	s_mul_hi_u32 s7, s13, s16
	s_mul_hi_u32 s24, s13, s17
	s_add_co_u32 s2, s18, s11
	s_add_co_ci_u32 s2, s19, s7
	s_mul_i32 s16, s13, s17
	s_add_co_ci_u32 s17, s24, 0
	s_delay_alu instid0(SALU_CYCLE_1) | instskip(NEXT) | instid1(SALU_CYCLE_1)
	s_add_nc_u64 s[16:17], s[2:3], s[16:17]
	s_add_co_u32 s12, s12, s16
	s_cselect_b32 s2, -1, 0
	s_delay_alu instid0(SALU_CYCLE_1) | instskip(SKIP_1) | instid1(SALU_CYCLE_1)
	s_cmp_lg_u32 s2, 0
	s_add_co_ci_u32 s13, s13, s17
	s_mul_u64 s[14:15], s[14:15], s[12:13]
	s_delay_alu instid0(SALU_CYCLE_1)
	s_mul_hi_u32 s17, s12, s15
	s_mul_i32 s16, s12, s15
	s_mul_hi_u32 s2, s12, s14
	s_mul_i32 s11, s13, s14
	s_add_nc_u64 s[16:17], s[2:3], s[16:17]
	s_mul_hi_u32 s7, s13, s14
	s_mul_hi_u32 s18, s13, s15
	s_add_co_u32 s2, s16, s11
	s_add_co_ci_u32 s2, s17, s7
	s_mul_i32 s14, s13, s15
	s_add_co_ci_u32 s15, s18, 0
	s_delay_alu instid0(SALU_CYCLE_1) | instskip(NEXT) | instid1(SALU_CYCLE_1)
	s_add_nc_u64 s[14:15], s[2:3], s[14:15]
	s_add_co_u32 s12, s12, s14
	s_cselect_b32 s2, -1, 0
	v_mul_hi_u32 v14, v0, s12
	s_cmp_lg_u32 s2, 0
	s_add_co_ci_u32 s2, s13, s15
	s_mov_b64 s[14:15], 0xffffffff
	v_mul_u64_e32 v[10:11], s[2:3], v[0:1]
	s_and_b64 s[14:15], s[12:13], s[14:15]
	v_mul_u64_e32 v[12:13], s[2:3], v[8:9]
	v_mul_u64_e32 v[6:7], s[14:15], v[8:9]
	s_delay_alu instid0(VALU_DEP_3) | instskip(NEXT) | instid1(VALU_DEP_1)
	v_add_nc_u64_e32 v[10:11], v[14:15], v[10:11]
	v_add_co_u32 v1, vcc_lo, v10, v6
	s_delay_alu instid0(VALU_DEP_2) | instskip(SKIP_1) | instid1(VALU_DEP_1)
	v_add_co_ci_u32_e32 v14, vcc_lo, v11, v7, vcc_lo
	v_add_co_ci_u32_e32 v13, vcc_lo, 0, v13, vcc_lo
	v_add_nc_u64_e32 v[6:7], v[14:15], v[12:13]
	s_delay_alu instid0(VALU_DEP_1) | instskip(NEXT) | instid1(VALU_DEP_1)
	v_mul_u64_e32 v[10:11], s[8:9], v[6:7]
	v_sub_nc_u32_e32 v1, v8, v11
	s_delay_alu instid0(VALU_DEP_2) | instskip(NEXT) | instid1(VALU_DEP_1)
	v_sub_co_u32 v0, vcc_lo, v0, v10
	v_sub_co_ci_u32_e64 v10, null, v8, v11, vcc_lo
	s_delay_alu instid0(VALU_DEP_3) | instskip(NEXT) | instid1(VALU_DEP_3)
	v_subrev_co_ci_u32_e64 v1, null, s9, v1, vcc_lo
	v_sub_co_u32 v5, s2, v0, s8
	s_delay_alu instid0(VALU_DEP_1) | instskip(NEXT) | instid1(VALU_DEP_2)
	v_subrev_co_ci_u32_e64 v1, null, 0, v1, s2
	v_cmp_le_u32_e32 vcc_lo, s8, v5
	v_cndmask_b32_e64 v5, 0, -1, vcc_lo
	s_delay_alu instid0(VALU_DEP_3)
	v_cmp_le_u32_e32 vcc_lo, s9, v1
	v_cndmask_b32_e64 v8, 0, -1, vcc_lo
	v_cmp_le_u32_e32 vcc_lo, s8, v0
	v_cndmask_b32_e64 v11, 0, -1, vcc_lo
	;; [unrolled: 2-line block ×3, first 2 shown]
	v_cmp_eq_u32_e32 vcc_lo, s9, v1
	v_add_nc_u64_e32 v[0:1], 2, v[6:7]
	v_cndmask_b32_e32 v5, v8, v5, vcc_lo
	v_cmp_eq_u32_e32 vcc_lo, s9, v10
	v_add_nc_u64_e32 v[8:9], 1, v[6:7]
	v_cndmask_b32_e32 v10, v12, v11, vcc_lo
	s_delay_alu instid0(VALU_DEP_4) | instskip(NEXT) | instid1(VALU_DEP_3)
	v_cmp_ne_u32_e32 vcc_lo, 0, v5
	v_cndmask_b32_e32 v1, v9, v1, vcc_lo
	s_delay_alu instid0(VALU_DEP_3) | instskip(SKIP_1) | instid1(VALU_DEP_2)
	v_cmp_ne_u32_e64 s2, 0, v10
	v_cndmask_b32_e32 v5, v8, v0, vcc_lo
	v_dual_cndmask_b32 v4, v7, v1, s2 :: v_dual_bitop2_b32 v0, s6, v4 bitop3:0x14
	s_delay_alu instid0(VALU_DEP_1) | instskip(NEXT) | instid1(VALU_DEP_2)
	v_dual_cndmask_b32 v6, v6, v5, s2 :: v_dual_mov_b32 v1, v0
	v_xor_b32_e32 v5, v4, v0
	s_delay_alu instid0(VALU_DEP_2) | instskip(NEXT) | instid1(VALU_DEP_1)
	v_xor_b32_e32 v4, v6, v0
	v_sub_nc_u64_e32 v[4:5], v[4:5], v[0:1]
.LBB85_2:
	s_or_saveexec_b32 s2, s10
	s_load_b64 s[20:21], s[20:21], 0x0
	s_xor_b32 exec_lo, exec_lo, s2
	s_cbranch_execz .LBB85_4
; %bb.3:
	v_cvt_f32_u32_e32 v0, s4
	s_sub_co_i32 s3, 0, s4
	s_delay_alu instid0(VALU_DEP_1) | instskip(SKIP_1) | instid1(TRANS32_DEP_1)
	v_rcp_iflag_f32_e32 v0, v0
	v_nop
	v_mul_f32_e32 v0, 0x4f7ffffe, v0
	s_delay_alu instid0(VALU_DEP_1) | instskip(NEXT) | instid1(VALU_DEP_1)
	v_cvt_u32_f32_e32 v0, v0
	v_mul_lo_u32 v1, s3, v0
	s_delay_alu instid0(VALU_DEP_1) | instskip(NEXT) | instid1(VALU_DEP_1)
	v_mul_hi_u32 v1, v0, v1
	v_add_nc_u32_e32 v0, v0, v1
	s_delay_alu instid0(VALU_DEP_1) | instskip(NEXT) | instid1(VALU_DEP_1)
	v_mul_hi_u32 v0, v2, v0
	v_mul_lo_u32 v1, v0, s4
	s_delay_alu instid0(VALU_DEP_1) | instskip(NEXT) | instid1(VALU_DEP_1)
	v_sub_nc_u32_e32 v1, v2, v1
	v_subrev_nc_u32_e32 v5, s4, v1
	v_cmp_le_u32_e32 vcc_lo, s4, v1
	s_delay_alu instid0(VALU_DEP_2) | instskip(NEXT) | instid1(VALU_DEP_1)
	v_dual_cndmask_b32 v1, v1, v5 :: v_dual_add_nc_u32 v4, 1, v0
	v_dual_cndmask_b32 v0, v0, v4 :: v_dual_mov_b32 v5, 0
	s_delay_alu instid0(VALU_DEP_2) | instskip(NEXT) | instid1(VALU_DEP_2)
	v_cmp_le_u32_e32 vcc_lo, s4, v1
	v_add_nc_u32_e32 v4, 1, v0
	s_delay_alu instid0(VALU_DEP_1)
	v_cndmask_b32_e32 v4, v0, v4, vcc_lo
.LBB85_4:
	s_or_b32 exec_lo, exec_lo, s2
	s_delay_alu instid0(VALU_DEP_1) | instskip(SKIP_3) | instid1(VALU_DEP_2)
	v_mul_u64_e32 v[0:1], s[4:5], v[4:5]
	s_load_b128 s[24:27], s[0:1], 0x20
	s_wait_kmcnt 0x0
	v_cmp_gt_i64_e64 s2, s[20:21], v[4:5]
	v_sub_nc_u64_e32 v[0:1], v[2:3], v[0:1]
	s_delay_alu instid0(VALU_DEP_1) | instskip(SKIP_1) | instid1(SALU_CYCLE_1)
	v_cmp_gt_i64_e32 vcc_lo, s[26:27], v[0:1]
	s_and_b32 s2, vcc_lo, s2
	s_and_saveexec_b32 s3, s2
	s_cbranch_execz .LBB85_20
; %bb.5:
	s_clause 0x1
	s_load_b256 s[4:11], s[0:1], 0x38
	s_load_b256 s[12:19], s[0:1], 0x0
	s_add_nc_u64 s[2:3], s[20:21], -1
                                        ; implicit-def: $vgpr14
	s_delay_alu instid0(SALU_CYCLE_1)
	v_cmp_ne_u64_e32 vcc_lo, s[2:3], v[4:5]
	s_wait_kmcnt 0x0
	v_lshl_add_u64 v[6:7], v[4:5], 2, s[10:11]
	global_load_b32 v2, v[6:7], off
	s_wait_xcnt 0x0
	s_and_saveexec_b32 s2, vcc_lo
	s_delay_alu instid0(SALU_CYCLE_1)
	s_xor_b32 s2, exec_lo, s2
	s_cbranch_execz .LBB85_7
; %bb.6:
	global_load_b32 v14, v[6:7], off offset:4
.LBB85_7:
	s_wait_xcnt 0x0
	s_and_not1_saveexec_b32 s2, s2
	s_cbranch_execz .LBB85_9
; %bb.8:
	s_wait_loadcnt 0x0
	v_mov_b32_e32 v14, s24
.LBB85_9:
	s_or_b32 exec_lo, exec_lo, s2
	v_mov_b32_e32 v3, 0
	s_mov_b32 s2, exec_lo
	s_wait_loadcnt 0x0
	v_cmpx_lt_i32_e64 v2, v14
	s_cbranch_execz .LBB85_19
; %bb.10:
	s_load_b32 s3, s[0:1], 0x30
	v_ashrrev_i32_e32 v3, 31, v2
	s_cmp_lg_u64 s[18:19], 0
	v_lshl_add_u64 v[6:7], v[0:1], 2, s[14:15]
	s_wait_xcnt 0x0
	s_cselect_b32 s0, -1, 0
	s_cmp_lg_u64 s[6:7], 0
	v_lshlrev_b64_e32 v[10:11], 2, v[2:3]
	v_mov_b32_e32 v3, 0
	s_cselect_b32 s1, -1, 0
	s_mov_b32 s10, 0
	s_delay_alu instid0(VALU_DEP_2)
	v_add_nc_u64_e32 v[8:9], s[12:13], v[10:11]
	v_add_nc_u64_e32 v[10:11], s[18:19], v[10:11]
	s_wait_kmcnt 0x0
	s_cmp_lg_u32 s3, 0
	s_cselect_b32 s3, -1, 0
	s_branch .LBB85_12
.LBB85_11:                              ;   in Loop: Header=BB85_12 Depth=1
	s_wait_loadcnt 0x0
	s_delay_alu instid0(VALU_DEP_1) | instskip(SKIP_2) | instid1(VALU_DEP_3)
	v_dual_fmac_f32 v3, v15, v12 :: v_dual_add_nc_u32 v2, 1, v2
	v_add_nc_u64_e32 v[8:9], 4, v[8:9]
	v_add_nc_u64_e32 v[10:11], 4, v[10:11]
	v_cmp_ge_i32_e32 vcc_lo, v2, v14
	s_or_b32 s10, vcc_lo, s10
	s_delay_alu instid0(SALU_CYCLE_1)
	s_and_not1_b32 exec_lo, exec_lo, s10
	s_cbranch_execz .LBB85_18
.LBB85_12:                              ; =>This Inner Loop Header: Depth=1
	global_load_b32 v12, v[8:9], off
	s_and_not1_b32 vcc_lo, exec_lo, s0
	s_wait_loadcnt 0x0
	global_load_b32 v16, v12, s[16:17] scale_offset
	s_cbranch_vccnz .LBB85_17
; %bb.13:                               ;   in Loop: Header=BB85_12 Depth=1
	global_load_b32 v13, v[10:11], off
	s_wait_loadcnt 0x0
	v_cvt_f64_i32_e32 v[18:19], v13
	s_delay_alu instid0(VALU_DEP_1) | instskip(NEXT) | instid1(VALU_DEP_1)
	v_div_scale_f64 v[20:21], null, v[18:19], v[18:19], 1.0
	v_rcp_f64_e32 v[22:23], v[20:21]
	v_nop
	s_delay_alu instid0(TRANS32_DEP_1) | instskip(NEXT) | instid1(VALU_DEP_1)
	v_fma_f64 v[24:25], -v[20:21], v[22:23], 1.0
	v_fmac_f64_e32 v[22:23], v[22:23], v[24:25]
	s_delay_alu instid0(VALU_DEP_1) | instskip(NEXT) | instid1(VALU_DEP_1)
	v_fma_f64 v[24:25], -v[20:21], v[22:23], 1.0
	v_fmac_f64_e32 v[22:23], v[22:23], v[24:25]
	v_div_scale_f64 v[24:25], vcc_lo, 1.0, v[18:19], 1.0
	s_delay_alu instid0(VALU_DEP_1) | instskip(NEXT) | instid1(VALU_DEP_1)
	v_mul_f64_e32 v[26:27], v[24:25], v[22:23]
	v_fma_f64 v[20:21], -v[20:21], v[26:27], v[24:25]
	s_delay_alu instid0(VALU_DEP_1) | instskip(NEXT) | instid1(VALU_DEP_1)
	v_div_fmas_f64 v[20:21], v[20:21], v[22:23], v[26:27]
	v_div_fixup_f64 v[18:19], v[20:21], v[18:19], 1.0
	s_delay_alu instid0(VALU_DEP_1)
	v_cvt_f32_f64_e32 v15, v[18:19]
	s_and_not1_b32 vcc_lo, exec_lo, s1
	s_cbranch_vccnz .LBB85_15
.LBB85_14:                              ;   in Loop: Header=BB85_12 Depth=1
	v_ashrrev_i32_e32 v13, 31, v12
	s_wait_xcnt 0x0
	s_delay_alu instid0(VALU_DEP_1) | instskip(NEXT) | instid1(VALU_DEP_1)
	v_mul_u64_e32 v[12:13], s[8:9], v[12:13]
	v_lshl_add_u64 v[12:13], v[12:13], 2, s[6:7]
	global_load_b32 v12, v[12:13], off
	s_wait_loadcnt 0x0
	v_mul_f32_e32 v15, v15, v12
.LBB85_15:                              ;   in Loop: Header=BB85_12 Depth=1
	s_wait_loadcnt 0x0
	v_mul_lo_u32 v12, v16, s26
	s_and_not1_b32 vcc_lo, exec_lo, s3
	s_delay_alu instid0(VALU_DEP_1) | instskip(NEXT) | instid1(VALU_DEP_1)
	v_ashrrev_i32_e32 v13, 31, v12
	v_lshl_add_u64 v[12:13], v[12:13], 2, v[6:7]
	global_load_b32 v12, v[12:13], off
	s_cbranch_vccnz .LBB85_11
; %bb.16:                               ;   in Loop: Header=BB85_12 Depth=1
	global_load_b32 v13, v16, s[4:5] scale_offset
	s_wait_loadcnt 0x0
	v_cvt_f32_i32_e32 v13, v13
	s_delay_alu instid0(VALU_DEP_1) | instskip(NEXT) | instid1(VALU_DEP_1)
	v_div_scale_f32 v16, null, v13, v13, v12
	v_rcp_f32_e32 v17, v16
	v_nop
	s_delay_alu instid0(TRANS32_DEP_1) | instskip(NEXT) | instid1(VALU_DEP_1)
	v_fma_f32 v18, -v16, v17, 1.0
	v_fmac_f32_e32 v17, v18, v17
	v_div_scale_f32 v18, vcc_lo, v12, v13, v12
	s_delay_alu instid0(VALU_DEP_1) | instskip(NEXT) | instid1(VALU_DEP_1)
	v_mul_f32_e32 v19, v18, v17
	v_fma_f32 v20, -v16, v19, v18
	s_delay_alu instid0(VALU_DEP_1) | instskip(NEXT) | instid1(VALU_DEP_1)
	v_fmac_f32_e32 v19, v20, v17
	v_fma_f32 v16, -v16, v19, v18
	s_delay_alu instid0(VALU_DEP_1) | instskip(NEXT) | instid1(VALU_DEP_1)
	v_div_fmas_f32 v16, v16, v17, v19
	v_div_fixup_f32 v12, v16, v13, v12
	s_branch .LBB85_11
.LBB85_17:                              ;   in Loop: Header=BB85_12 Depth=1
	v_mov_b32_e32 v15, 1.0
	s_and_not1_b32 vcc_lo, exec_lo, s1
	s_cbranch_vccz .LBB85_14
	s_branch .LBB85_15
.LBB85_18:
	s_or_b32 exec_lo, exec_lo, s10
.LBB85_19:
	s_delay_alu instid0(SALU_CYCLE_1) | instskip(SKIP_1) | instid1(VALU_DEP_1)
	s_or_b32 exec_lo, exec_lo, s2
	v_mul_u64_e32 v[4:5], s[26:27], v[4:5]
	v_lshl_add_u64 v[4:5], v[4:5], 2, s[22:23]
	s_delay_alu instid0(VALU_DEP_1)
	v_lshl_add_u64 v[0:1], v[0:1], 2, v[4:5]
	global_store_b32 v[0:1], v3, off
.LBB85_20:
	s_endpgm
	.section	.rodata,"a",@progbits
	.p2align	6, 0x0
	.amdhsa_kernel _ZN2at6native12_GLOBAL__N_124compute_grad_weight_bagsIfiEEvPKT0_PKT_S5_S5_lliS5_S8_lS5_PKlPNS_14AccumulateTypeIS6_Lb1EE4typeEl
		.amdhsa_group_segment_fixed_size 0
		.amdhsa_private_segment_fixed_size 0
		.amdhsa_kernarg_size 368
		.amdhsa_user_sgpr_count 2
		.amdhsa_user_sgpr_dispatch_ptr 0
		.amdhsa_user_sgpr_queue_ptr 0
		.amdhsa_user_sgpr_kernarg_segment_ptr 1
		.amdhsa_user_sgpr_dispatch_id 0
		.amdhsa_user_sgpr_kernarg_preload_length 0
		.amdhsa_user_sgpr_kernarg_preload_offset 0
		.amdhsa_user_sgpr_private_segment_size 0
		.amdhsa_wavefront_size32 1
		.amdhsa_uses_dynamic_stack 0
		.amdhsa_enable_private_segment 0
		.amdhsa_system_sgpr_workgroup_id_x 1
		.amdhsa_system_sgpr_workgroup_id_y 0
		.amdhsa_system_sgpr_workgroup_id_z 0
		.amdhsa_system_sgpr_workgroup_info 0
		.amdhsa_system_vgpr_workitem_id 0
		.amdhsa_next_free_vgpr 28
		.amdhsa_next_free_sgpr 28
		.amdhsa_named_barrier_count 0
		.amdhsa_reserve_vcc 1
		.amdhsa_float_round_mode_32 0
		.amdhsa_float_round_mode_16_64 0
		.amdhsa_float_denorm_mode_32 3
		.amdhsa_float_denorm_mode_16_64 3
		.amdhsa_fp16_overflow 0
		.amdhsa_memory_ordered 1
		.amdhsa_forward_progress 1
		.amdhsa_inst_pref_size 13
		.amdhsa_round_robin_scheduling 0
		.amdhsa_exception_fp_ieee_invalid_op 0
		.amdhsa_exception_fp_denorm_src 0
		.amdhsa_exception_fp_ieee_div_zero 0
		.amdhsa_exception_fp_ieee_overflow 0
		.amdhsa_exception_fp_ieee_underflow 0
		.amdhsa_exception_fp_ieee_inexact 0
		.amdhsa_exception_int_div_zero 0
	.end_amdhsa_kernel
	.section	.text._ZN2at6native12_GLOBAL__N_124compute_grad_weight_bagsIfiEEvPKT0_PKT_S5_S5_lliS5_S8_lS5_PKlPNS_14AccumulateTypeIS6_Lb1EE4typeEl,"axG",@progbits,_ZN2at6native12_GLOBAL__N_124compute_grad_weight_bagsIfiEEvPKT0_PKT_S5_S5_lliS5_S8_lS5_PKlPNS_14AccumulateTypeIS6_Lb1EE4typeEl,comdat
.Lfunc_end85:
	.size	_ZN2at6native12_GLOBAL__N_124compute_grad_weight_bagsIfiEEvPKT0_PKT_S5_S5_lliS5_S8_lS5_PKlPNS_14AccumulateTypeIS6_Lb1EE4typeEl, .Lfunc_end85-_ZN2at6native12_GLOBAL__N_124compute_grad_weight_bagsIfiEEvPKT0_PKT_S5_S5_lliS5_S8_lS5_PKlPNS_14AccumulateTypeIS6_Lb1EE4typeEl
                                        ; -- End function
	.set _ZN2at6native12_GLOBAL__N_124compute_grad_weight_bagsIfiEEvPKT0_PKT_S5_S5_lliS5_S8_lS5_PKlPNS_14AccumulateTypeIS6_Lb1EE4typeEl.num_vgpr, 28
	.set _ZN2at6native12_GLOBAL__N_124compute_grad_weight_bagsIfiEEvPKT0_PKT_S5_S5_lliS5_S8_lS5_PKlPNS_14AccumulateTypeIS6_Lb1EE4typeEl.num_agpr, 0
	.set _ZN2at6native12_GLOBAL__N_124compute_grad_weight_bagsIfiEEvPKT0_PKT_S5_S5_lliS5_S8_lS5_PKlPNS_14AccumulateTypeIS6_Lb1EE4typeEl.numbered_sgpr, 28
	.set _ZN2at6native12_GLOBAL__N_124compute_grad_weight_bagsIfiEEvPKT0_PKT_S5_S5_lliS5_S8_lS5_PKlPNS_14AccumulateTypeIS6_Lb1EE4typeEl.num_named_barrier, 0
	.set _ZN2at6native12_GLOBAL__N_124compute_grad_weight_bagsIfiEEvPKT0_PKT_S5_S5_lliS5_S8_lS5_PKlPNS_14AccumulateTypeIS6_Lb1EE4typeEl.private_seg_size, 0
	.set _ZN2at6native12_GLOBAL__N_124compute_grad_weight_bagsIfiEEvPKT0_PKT_S5_S5_lliS5_S8_lS5_PKlPNS_14AccumulateTypeIS6_Lb1EE4typeEl.uses_vcc, 1
	.set _ZN2at6native12_GLOBAL__N_124compute_grad_weight_bagsIfiEEvPKT0_PKT_S5_S5_lliS5_S8_lS5_PKlPNS_14AccumulateTypeIS6_Lb1EE4typeEl.uses_flat_scratch, 0
	.set _ZN2at6native12_GLOBAL__N_124compute_grad_weight_bagsIfiEEvPKT0_PKT_S5_S5_lliS5_S8_lS5_PKlPNS_14AccumulateTypeIS6_Lb1EE4typeEl.has_dyn_sized_stack, 0
	.set _ZN2at6native12_GLOBAL__N_124compute_grad_weight_bagsIfiEEvPKT0_PKT_S5_S5_lliS5_S8_lS5_PKlPNS_14AccumulateTypeIS6_Lb1EE4typeEl.has_recursion, 0
	.set _ZN2at6native12_GLOBAL__N_124compute_grad_weight_bagsIfiEEvPKT0_PKT_S5_S5_lliS5_S8_lS5_PKlPNS_14AccumulateTypeIS6_Lb1EE4typeEl.has_indirect_call, 0
	.section	.AMDGPU.csdata,"",@progbits
; Kernel info:
; codeLenInByte = 1612
; TotalNumSgprs: 30
; NumVgprs: 28
; ScratchSize: 0
; MemoryBound: 0
; FloatMode: 240
; IeeeMode: 1
; LDSByteSize: 0 bytes/workgroup (compile time only)
; SGPRBlocks: 0
; VGPRBlocks: 1
; NumSGPRsForWavesPerEU: 30
; NumVGPRsForWavesPerEU: 28
; NamedBarCnt: 0
; Occupancy: 16
; WaveLimiterHint : 1
; COMPUTE_PGM_RSRC2:SCRATCH_EN: 0
; COMPUTE_PGM_RSRC2:USER_SGPR: 2
; COMPUTE_PGM_RSRC2:TRAP_HANDLER: 0
; COMPUTE_PGM_RSRC2:TGID_X_EN: 1
; COMPUTE_PGM_RSRC2:TGID_Y_EN: 0
; COMPUTE_PGM_RSRC2:TGID_Z_EN: 0
; COMPUTE_PGM_RSRC2:TIDIG_COMP_CNT: 0
	.section	.text._ZN2at6native12_GLOBAL__N_119compute_grad_weightIfiEEvPKT0_PKT_S5_llS5_PKlPNS_14AccumulateTypeIS6_Lb1EE4typeEl,"axG",@progbits,_ZN2at6native12_GLOBAL__N_119compute_grad_weightIfiEEvPKT0_PKT_S5_llS5_PKlPNS_14AccumulateTypeIS6_Lb1EE4typeEl,comdat
	.globl	_ZN2at6native12_GLOBAL__N_119compute_grad_weightIfiEEvPKT0_PKT_S5_llS5_PKlPNS_14AccumulateTypeIS6_Lb1EE4typeEl ; -- Begin function _ZN2at6native12_GLOBAL__N_119compute_grad_weightIfiEEvPKT0_PKT_S5_llS5_PKlPNS_14AccumulateTypeIS6_Lb1EE4typeEl
	.p2align	8
	.type	_ZN2at6native12_GLOBAL__N_119compute_grad_weightIfiEEvPKT0_PKT_S5_llS5_PKlPNS_14AccumulateTypeIS6_Lb1EE4typeEl,@function
_ZN2at6native12_GLOBAL__N_119compute_grad_weightIfiEEvPKT0_PKT_S5_llS5_PKlPNS_14AccumulateTypeIS6_Lb1EE4typeEl: ; @_ZN2at6native12_GLOBAL__N_119compute_grad_weightIfiEEvPKT0_PKT_S5_llS5_PKlPNS_14AccumulateTypeIS6_Lb1EE4typeEl
; %bb.0:
	s_clause 0x1
	s_load_b32 s4, s[0:1], 0x54
	s_load_b64 s[2:3], s[0:1], 0x40
	s_bfe_u32 s5, ttmp6, 0x4000c
	s_and_b32 s6, ttmp6, 15
	s_add_co_i32 s5, s5, 1
	s_getreg_b32 s7, hwreg(HW_REG_IB_STS2, 6, 4)
	s_mul_i32 s5, ttmp9, s5
	v_mov_b32_e32 v1, 0
	s_add_co_i32 s6, s6, s5
	s_wait_kmcnt 0x0
	s_and_b32 s4, s4, 0xffff
	s_cmp_eq_u32 s7, 0
	s_cselect_b32 s5, ttmp9, s6
	s_delay_alu instid0(SALU_CYCLE_1) | instskip(SKIP_3) | instid1(VALU_DEP_1)
	v_mad_nc_u64_u32 v[2:3], s4, s5, v[0:1]
	s_load_b512 s[4:19], s[0:1], 0x0
	s_wait_xcnt 0x0
	s_mov_b32 s1, 0
	v_dual_mov_b32 v4, v1 :: v_dual_bitop2_b32 v5, s3, v3 bitop3:0x54
	s_delay_alu instid0(VALU_DEP_1)
	v_cmp_ne_u64_e32 vcc_lo, 0, v[4:5]
                                        ; implicit-def: $vgpr4_vgpr5
	s_and_saveexec_b32 s0, vcc_lo
	s_wait_kmcnt 0x0
	s_xor_b32 s11, exec_lo, s0
	s_cbranch_execz .LBB86_2
; %bb.1:
	s_ashr_i32 s20, s3, 31
	v_dual_mov_b32 v9, v1 :: v_dual_ashrrev_i32 v4, 31, v3
	s_mov_b32 s21, s20
	v_mov_b32_e32 v15, v1
	s_add_nc_u64 s[22:23], s[2:3], s[20:21]
	s_delay_alu instid0(VALU_DEP_2) | instskip(SKIP_1) | instid1(SALU_CYCLE_1)
	v_mov_b32_e32 v5, v4
	s_xor_b64 s[22:23], s[22:23], s[20:21]
	s_cvt_f32_u32 s0, s22
	s_cvt_f32_u32 s21, s23
	s_sub_nc_u64 s[26:27], 0, s[22:23]
	v_add_nc_u64_e32 v[6:7], v[2:3], v[4:5]
	s_delay_alu instid0(SALU_CYCLE_1) | instskip(NEXT) | instid1(SALU_CYCLE_3)
	s_fmamk_f32 s0, s21, 0x4f800000, s0
	v_s_rcp_f32 s0, s0
	s_delay_alu instid0(VALU_DEP_1) | instskip(NEXT) | instid1(VALU_DEP_2)
	v_xor_b32_e32 v0, v6, v4
	v_xor_b32_e32 v8, v7, v4
	s_delay_alu instid0(TRANS32_DEP_1) | instskip(NEXT) | instid1(SALU_CYCLE_3)
	s_mul_f32 s0, s0, 0x5f7ffffc
	s_mul_f32 s21, s0, 0x2f800000
	s_delay_alu instid0(SALU_CYCLE_3) | instskip(NEXT) | instid1(SALU_CYCLE_3)
	s_trunc_f32 s21, s21
	s_fmamk_f32 s0, s21, 0xcf800000, s0
	s_cvt_u32_f32 s25, s21
	s_delay_alu instid0(SALU_CYCLE_2) | instskip(NEXT) | instid1(SALU_CYCLE_3)
	s_cvt_u32_f32 s24, s0
	s_mul_u64 s[28:29], s[26:27], s[24:25]
	s_delay_alu instid0(SALU_CYCLE_1)
	s_mul_hi_u32 s31, s24, s29
	s_mul_i32 s30, s24, s29
	s_mul_hi_u32 s0, s24, s28
	s_mul_i32 s33, s25, s28
	s_add_nc_u64 s[30:31], s[0:1], s[30:31]
	s_mul_hi_u32 s21, s25, s28
	s_mul_hi_u32 s34, s25, s29
	s_add_co_u32 s0, s30, s33
	s_add_co_ci_u32 s0, s31, s21
	s_mul_i32 s28, s25, s29
	s_add_co_ci_u32 s29, s34, 0
	s_delay_alu instid0(SALU_CYCLE_1) | instskip(NEXT) | instid1(SALU_CYCLE_1)
	s_add_nc_u64 s[28:29], s[0:1], s[28:29]
	s_add_co_u32 s24, s24, s28
	s_cselect_b32 s0, -1, 0
	s_delay_alu instid0(SALU_CYCLE_1) | instskip(SKIP_1) | instid1(SALU_CYCLE_1)
	s_cmp_lg_u32 s0, 0
	s_add_co_ci_u32 s25, s25, s29
	s_mul_u64 s[26:27], s[26:27], s[24:25]
	s_delay_alu instid0(SALU_CYCLE_1)
	s_mul_hi_u32 s29, s24, s27
	s_mul_i32 s28, s24, s27
	s_mul_hi_u32 s0, s24, s26
	s_mul_i32 s30, s25, s26
	s_add_nc_u64 s[28:29], s[0:1], s[28:29]
	s_mul_hi_u32 s21, s25, s26
	s_mul_hi_u32 s31, s25, s27
	s_add_co_u32 s0, s28, s30
	s_add_co_ci_u32 s0, s29, s21
	s_mul_i32 s26, s25, s27
	s_add_co_ci_u32 s27, s31, 0
	s_delay_alu instid0(SALU_CYCLE_1) | instskip(NEXT) | instid1(SALU_CYCLE_1)
	s_add_nc_u64 s[26:27], s[0:1], s[26:27]
	s_add_co_u32 s24, s24, s26
	s_cselect_b32 s0, -1, 0
	v_mul_hi_u32 v14, v0, s24
	s_cmp_lg_u32 s0, 0
	s_add_co_ci_u32 s0, s25, s27
	s_mov_b64 s[26:27], 0xffffffff
	v_mul_u64_e32 v[10:11], s[0:1], v[0:1]
	s_and_b64 s[26:27], s[24:25], s[26:27]
	v_mul_u64_e32 v[12:13], s[0:1], v[8:9]
	v_mul_u64_e32 v[6:7], s[26:27], v[8:9]
	s_delay_alu instid0(VALU_DEP_3) | instskip(NEXT) | instid1(VALU_DEP_1)
	v_add_nc_u64_e32 v[10:11], v[14:15], v[10:11]
	v_add_co_u32 v1, vcc_lo, v10, v6
	s_delay_alu instid0(VALU_DEP_2) | instskip(SKIP_1) | instid1(VALU_DEP_1)
	v_add_co_ci_u32_e32 v14, vcc_lo, v11, v7, vcc_lo
	v_add_co_ci_u32_e32 v13, vcc_lo, 0, v13, vcc_lo
	v_add_nc_u64_e32 v[6:7], v[14:15], v[12:13]
	s_delay_alu instid0(VALU_DEP_1) | instskip(NEXT) | instid1(VALU_DEP_1)
	v_mul_u64_e32 v[10:11], s[22:23], v[6:7]
	v_sub_nc_u32_e32 v1, v8, v11
	s_delay_alu instid0(VALU_DEP_2) | instskip(NEXT) | instid1(VALU_DEP_1)
	v_sub_co_u32 v0, vcc_lo, v0, v10
	v_sub_co_ci_u32_e64 v10, null, v8, v11, vcc_lo
	s_delay_alu instid0(VALU_DEP_3) | instskip(NEXT) | instid1(VALU_DEP_3)
	v_subrev_co_ci_u32_e64 v1, null, s23, v1, vcc_lo
	v_sub_co_u32 v5, s0, v0, s22
	s_delay_alu instid0(VALU_DEP_1) | instskip(NEXT) | instid1(VALU_DEP_2)
	v_subrev_co_ci_u32_e64 v1, null, 0, v1, s0
	v_cmp_le_u32_e32 vcc_lo, s22, v5
	v_cndmask_b32_e64 v5, 0, -1, vcc_lo
	s_delay_alu instid0(VALU_DEP_3)
	v_cmp_le_u32_e32 vcc_lo, s23, v1
	v_cndmask_b32_e64 v8, 0, -1, vcc_lo
	v_cmp_le_u32_e32 vcc_lo, s22, v0
	v_cndmask_b32_e64 v11, 0, -1, vcc_lo
	;; [unrolled: 2-line block ×3, first 2 shown]
	v_cmp_eq_u32_e32 vcc_lo, s23, v1
	v_add_nc_u64_e32 v[0:1], 2, v[6:7]
	v_cndmask_b32_e32 v5, v8, v5, vcc_lo
	v_cmp_eq_u32_e32 vcc_lo, s23, v10
	v_add_nc_u64_e32 v[8:9], 1, v[6:7]
	v_cndmask_b32_e32 v10, v12, v11, vcc_lo
	s_delay_alu instid0(VALU_DEP_4) | instskip(NEXT) | instid1(VALU_DEP_3)
	v_cmp_ne_u32_e32 vcc_lo, 0, v5
	v_cndmask_b32_e32 v1, v9, v1, vcc_lo
	s_delay_alu instid0(VALU_DEP_3) | instskip(SKIP_1) | instid1(VALU_DEP_2)
	v_cmp_ne_u32_e64 s0, 0, v10
	v_cndmask_b32_e32 v5, v8, v0, vcc_lo
	v_dual_cndmask_b32 v4, v7, v1, s0 :: v_dual_bitop2_b32 v0, s20, v4 bitop3:0x14
	s_delay_alu instid0(VALU_DEP_1) | instskip(NEXT) | instid1(VALU_DEP_2)
	v_dual_cndmask_b32 v6, v6, v5, s0 :: v_dual_mov_b32 v1, v0
	v_xor_b32_e32 v5, v4, v0
	s_delay_alu instid0(VALU_DEP_2) | instskip(NEXT) | instid1(VALU_DEP_1)
	v_xor_b32_e32 v4, v6, v0
	v_sub_nc_u64_e32 v[4:5], v[4:5], v[0:1]
.LBB86_2:
	s_or_saveexec_b32 s0, s11
	s_load_b64 s[16:17], s[16:17], 0x0
	s_xor_b32 exec_lo, exec_lo, s0
	s_cbranch_execz .LBB86_4
; %bb.3:
	v_cvt_f32_u32_e32 v0, s2
	s_sub_co_i32 s1, 0, s2
	s_delay_alu instid0(VALU_DEP_1) | instskip(SKIP_1) | instid1(TRANS32_DEP_1)
	v_rcp_iflag_f32_e32 v0, v0
	v_nop
	v_mul_f32_e32 v0, 0x4f7ffffe, v0
	s_delay_alu instid0(VALU_DEP_1) | instskip(NEXT) | instid1(VALU_DEP_1)
	v_cvt_u32_f32_e32 v0, v0
	v_mul_lo_u32 v1, s1, v0
	s_delay_alu instid0(VALU_DEP_1) | instskip(NEXT) | instid1(VALU_DEP_1)
	v_mul_hi_u32 v1, v0, v1
	v_add_nc_u32_e32 v0, v0, v1
	s_delay_alu instid0(VALU_DEP_1) | instskip(NEXT) | instid1(VALU_DEP_1)
	v_mul_hi_u32 v0, v2, v0
	v_mul_lo_u32 v1, v0, s2
	s_delay_alu instid0(VALU_DEP_1) | instskip(NEXT) | instid1(VALU_DEP_1)
	v_sub_nc_u32_e32 v1, v2, v1
	v_subrev_nc_u32_e32 v5, s2, v1
	v_cmp_le_u32_e32 vcc_lo, s2, v1
	s_delay_alu instid0(VALU_DEP_2) | instskip(NEXT) | instid1(VALU_DEP_1)
	v_dual_cndmask_b32 v1, v1, v5 :: v_dual_add_nc_u32 v4, 1, v0
	v_dual_cndmask_b32 v0, v0, v4 :: v_dual_mov_b32 v5, 0
	s_delay_alu instid0(VALU_DEP_2) | instskip(NEXT) | instid1(VALU_DEP_2)
	v_cmp_le_u32_e32 vcc_lo, s2, v1
	v_add_nc_u32_e32 v4, 1, v0
	s_delay_alu instid0(VALU_DEP_1)
	v_cndmask_b32_e32 v4, v0, v4, vcc_lo
.LBB86_4:
	s_or_b32 exec_lo, exec_lo, s0
	s_delay_alu instid0(VALU_DEP_1) | instskip(SKIP_2) | instid1(VALU_DEP_2)
	v_mul_u64_e32 v[0:1], s[2:3], v[4:5]
	s_wait_kmcnt 0x0
	v_cmp_gt_i64_e64 s0, s[16:17], v[4:5]
	v_sub_nc_u64_e32 v[0:1], v[2:3], v[0:1]
	s_delay_alu instid0(VALU_DEP_1) | instskip(SKIP_1) | instid1(SALU_CYCLE_1)
	v_cmp_gt_i64_e32 vcc_lo, s[12:13], v[0:1]
	s_and_b32 s0, vcc_lo, s0
	s_and_saveexec_b32 s1, s0
	s_cbranch_execz .LBB86_17
; %bb.5:
	v_lshl_add_u64 v[6:7], v[4:5], 2, s[14:15]
	s_add_nc_u64 s[0:1], s[16:17], -1
                                        ; implicit-def: $vgpr14
	s_delay_alu instid0(SALU_CYCLE_1) | instskip(SKIP_3) | instid1(SALU_CYCLE_1)
	v_cmp_ne_u64_e32 vcc_lo, s[0:1], v[4:5]
	global_load_b32 v2, v[6:7], off
	s_wait_xcnt 0x0
	s_and_saveexec_b32 s0, vcc_lo
	s_xor_b32 s0, exec_lo, s0
	s_cbranch_execz .LBB86_7
; %bb.6:
	global_load_b32 v14, v[6:7], off offset:4
.LBB86_7:
	s_wait_xcnt 0x0
	s_and_not1_saveexec_b32 s0, s0
	s_cbranch_execz .LBB86_9
; %bb.8:
	s_wait_loadcnt 0x0
	v_mov_b32_e32 v14, s10
.LBB86_9:
	s_or_b32 exec_lo, exec_lo, s0
	v_mov_b32_e32 v3, 0
	s_mov_b32 s0, exec_lo
	s_wait_loadcnt 0x0
	v_cmpx_lt_i32_e64 v2, v14
	s_cbranch_execz .LBB86_16
; %bb.10:
	v_ashrrev_i32_e32 v3, 31, v2
	v_lshl_add_u64 v[6:7], v[0:1], 2, s[6:7]
	s_cmp_lg_u64 s[8:9], 0
	s_mov_b32 s2, 0
	s_cselect_b32 s1, -1, 0
	v_lshlrev_b64_e32 v[10:11], 2, v[2:3]
	v_mov_b32_e32 v3, 0
	s_delay_alu instid0(VALU_DEP_2)
	v_add_nc_u64_e32 v[8:9], s[4:5], v[10:11]
	v_add_nc_u64_e32 v[10:11], s[8:9], v[10:11]
	s_branch .LBB86_13
.LBB86_11:                              ;   in Loop: Header=BB86_13 Depth=1
	global_load_b32 v13, v[10:11], off
	s_wait_loadcnt 0x0
	v_cvt_f32_i32_e32 v13, v13
	s_delay_alu instid0(VALU_DEP_1) | instskip(NEXT) | instid1(VALU_DEP_1)
	v_div_scale_f32 v15, null, v13, v13, 1.0
	v_rcp_f32_e32 v16, v15
	v_nop
	s_delay_alu instid0(TRANS32_DEP_1) | instskip(NEXT) | instid1(VALU_DEP_1)
	v_fma_f32 v17, -v15, v16, 1.0
	v_fmac_f32_e32 v16, v17, v16
	v_div_scale_f32 v17, vcc_lo, 1.0, v13, 1.0
	s_delay_alu instid0(VALU_DEP_1) | instskip(NEXT) | instid1(VALU_DEP_1)
	v_mul_f32_e32 v18, v17, v16
	v_fma_f32 v19, -v15, v18, v17
	s_delay_alu instid0(VALU_DEP_1) | instskip(NEXT) | instid1(VALU_DEP_1)
	v_fmac_f32_e32 v18, v19, v16
	v_fma_f32 v15, -v15, v18, v17
	s_delay_alu instid0(VALU_DEP_1) | instskip(NEXT) | instid1(VALU_DEP_1)
	v_div_fmas_f32 v15, v15, v16, v18
	v_div_fixup_f32 v15, v15, v13, 1.0
.LBB86_12:                              ;   in Loop: Header=BB86_13 Depth=1
	s_wait_loadcnt 0x0
	v_dual_ashrrev_i32 v13, 31, v12 :: v_dual_add_nc_u32 v2, 1, v2
	v_add_nc_u64_e32 v[8:9], 4, v[8:9]
	v_add_nc_u64_e32 v[10:11], 4, v[10:11]
	s_delay_alu instid0(VALU_DEP_3) | instskip(NEXT) | instid1(VALU_DEP_4)
	v_mul_u64_e32 v[12:13], s[12:13], v[12:13]
	v_cmp_ge_i32_e32 vcc_lo, v2, v14
	s_or_b32 s2, vcc_lo, s2
	s_delay_alu instid0(VALU_DEP_2)
	v_lshl_add_u64 v[12:13], v[12:13], 2, v[6:7]
	global_load_b32 v12, v[12:13], off
	s_wait_loadcnt 0x0
	v_fmac_f32_e32 v3, v15, v12
	s_and_not1_b32 exec_lo, exec_lo, s2
	s_cbranch_execz .LBB86_15
.LBB86_13:                              ; =>This Inner Loop Header: Depth=1
	global_load_b32 v12, v[8:9], off
	s_and_not1_b32 vcc_lo, exec_lo, s1
	s_cbranch_vccz .LBB86_11
; %bb.14:                               ;   in Loop: Header=BB86_13 Depth=1
	v_mov_b32_e32 v15, 1.0
	s_branch .LBB86_12
.LBB86_15:
	s_or_b32 exec_lo, exec_lo, s2
.LBB86_16:
	s_delay_alu instid0(SALU_CYCLE_1) | instskip(SKIP_1) | instid1(VALU_DEP_1)
	s_or_b32 exec_lo, exec_lo, s0
	v_mul_u64_e32 v[4:5], s[12:13], v[4:5]
	v_lshl_add_u64 v[4:5], v[4:5], 2, s[18:19]
	s_delay_alu instid0(VALU_DEP_1)
	v_lshl_add_u64 v[0:1], v[0:1], 2, v[4:5]
	global_store_b32 v[0:1], v3, off
.LBB86_17:
	s_endpgm
	.section	.rodata,"a",@progbits
	.p2align	6, 0x0
	.amdhsa_kernel _ZN2at6native12_GLOBAL__N_119compute_grad_weightIfiEEvPKT0_PKT_S5_llS5_PKlPNS_14AccumulateTypeIS6_Lb1EE4typeEl
		.amdhsa_group_segment_fixed_size 0
		.amdhsa_private_segment_fixed_size 0
		.amdhsa_kernarg_size 328
		.amdhsa_user_sgpr_count 2
		.amdhsa_user_sgpr_dispatch_ptr 0
		.amdhsa_user_sgpr_queue_ptr 0
		.amdhsa_user_sgpr_kernarg_segment_ptr 1
		.amdhsa_user_sgpr_dispatch_id 0
		.amdhsa_user_sgpr_kernarg_preload_length 0
		.amdhsa_user_sgpr_kernarg_preload_offset 0
		.amdhsa_user_sgpr_private_segment_size 0
		.amdhsa_wavefront_size32 1
		.amdhsa_uses_dynamic_stack 0
		.amdhsa_enable_private_segment 0
		.amdhsa_system_sgpr_workgroup_id_x 1
		.amdhsa_system_sgpr_workgroup_id_y 0
		.amdhsa_system_sgpr_workgroup_id_z 0
		.amdhsa_system_sgpr_workgroup_info 0
		.amdhsa_system_vgpr_workitem_id 0
		.amdhsa_next_free_vgpr 20
		.amdhsa_next_free_sgpr 35
		.amdhsa_named_barrier_count 0
		.amdhsa_reserve_vcc 1
		.amdhsa_float_round_mode_32 0
		.amdhsa_float_round_mode_16_64 0
		.amdhsa_float_denorm_mode_32 3
		.amdhsa_float_denorm_mode_16_64 3
		.amdhsa_fp16_overflow 0
		.amdhsa_memory_ordered 1
		.amdhsa_forward_progress 1
		.amdhsa_inst_pref_size 11
		.amdhsa_round_robin_scheduling 0
		.amdhsa_exception_fp_ieee_invalid_op 0
		.amdhsa_exception_fp_denorm_src 0
		.amdhsa_exception_fp_ieee_div_zero 0
		.amdhsa_exception_fp_ieee_overflow 0
		.amdhsa_exception_fp_ieee_underflow 0
		.amdhsa_exception_fp_ieee_inexact 0
		.amdhsa_exception_int_div_zero 0
	.end_amdhsa_kernel
	.section	.text._ZN2at6native12_GLOBAL__N_119compute_grad_weightIfiEEvPKT0_PKT_S5_llS5_PKlPNS_14AccumulateTypeIS6_Lb1EE4typeEl,"axG",@progbits,_ZN2at6native12_GLOBAL__N_119compute_grad_weightIfiEEvPKT0_PKT_S5_llS5_PKlPNS_14AccumulateTypeIS6_Lb1EE4typeEl,comdat
.Lfunc_end86:
	.size	_ZN2at6native12_GLOBAL__N_119compute_grad_weightIfiEEvPKT0_PKT_S5_llS5_PKlPNS_14AccumulateTypeIS6_Lb1EE4typeEl, .Lfunc_end86-_ZN2at6native12_GLOBAL__N_119compute_grad_weightIfiEEvPKT0_PKT_S5_llS5_PKlPNS_14AccumulateTypeIS6_Lb1EE4typeEl
                                        ; -- End function
	.set _ZN2at6native12_GLOBAL__N_119compute_grad_weightIfiEEvPKT0_PKT_S5_llS5_PKlPNS_14AccumulateTypeIS6_Lb1EE4typeEl.num_vgpr, 20
	.set _ZN2at6native12_GLOBAL__N_119compute_grad_weightIfiEEvPKT0_PKT_S5_llS5_PKlPNS_14AccumulateTypeIS6_Lb1EE4typeEl.num_agpr, 0
	.set _ZN2at6native12_GLOBAL__N_119compute_grad_weightIfiEEvPKT0_PKT_S5_llS5_PKlPNS_14AccumulateTypeIS6_Lb1EE4typeEl.numbered_sgpr, 35
	.set _ZN2at6native12_GLOBAL__N_119compute_grad_weightIfiEEvPKT0_PKT_S5_llS5_PKlPNS_14AccumulateTypeIS6_Lb1EE4typeEl.num_named_barrier, 0
	.set _ZN2at6native12_GLOBAL__N_119compute_grad_weightIfiEEvPKT0_PKT_S5_llS5_PKlPNS_14AccumulateTypeIS6_Lb1EE4typeEl.private_seg_size, 0
	.set _ZN2at6native12_GLOBAL__N_119compute_grad_weightIfiEEvPKT0_PKT_S5_llS5_PKlPNS_14AccumulateTypeIS6_Lb1EE4typeEl.uses_vcc, 1
	.set _ZN2at6native12_GLOBAL__N_119compute_grad_weightIfiEEvPKT0_PKT_S5_llS5_PKlPNS_14AccumulateTypeIS6_Lb1EE4typeEl.uses_flat_scratch, 0
	.set _ZN2at6native12_GLOBAL__N_119compute_grad_weightIfiEEvPKT0_PKT_S5_llS5_PKlPNS_14AccumulateTypeIS6_Lb1EE4typeEl.has_dyn_sized_stack, 0
	.set _ZN2at6native12_GLOBAL__N_119compute_grad_weightIfiEEvPKT0_PKT_S5_llS5_PKlPNS_14AccumulateTypeIS6_Lb1EE4typeEl.has_recursion, 0
	.set _ZN2at6native12_GLOBAL__N_119compute_grad_weightIfiEEvPKT0_PKT_S5_llS5_PKlPNS_14AccumulateTypeIS6_Lb1EE4typeEl.has_indirect_call, 0
	.section	.AMDGPU.csdata,"",@progbits
; Kernel info:
; codeLenInByte = 1336
; TotalNumSgprs: 37
; NumVgprs: 20
; ScratchSize: 0
; MemoryBound: 0
; FloatMode: 240
; IeeeMode: 1
; LDSByteSize: 0 bytes/workgroup (compile time only)
; SGPRBlocks: 0
; VGPRBlocks: 1
; NumSGPRsForWavesPerEU: 37
; NumVGPRsForWavesPerEU: 20
; NamedBarCnt: 0
; Occupancy: 16
; WaveLimiterHint : 1
; COMPUTE_PGM_RSRC2:SCRATCH_EN: 0
; COMPUTE_PGM_RSRC2:USER_SGPR: 2
; COMPUTE_PGM_RSRC2:TRAP_HANDLER: 0
; COMPUTE_PGM_RSRC2:TGID_X_EN: 1
; COMPUTE_PGM_RSRC2:TGID_Y_EN: 0
; COMPUTE_PGM_RSRC2:TGID_Z_EN: 0
; COMPUTE_PGM_RSRC2:TIDIG_COMP_CNT: 0
	.section	.text._ZN2at6native12_GLOBAL__N_115sum_and_scatterIfiEEvPKT0_PT_lS5_PKlPKNS_14AccumulateTypeIS6_Lb1EE4typeES5_S9_ll,"axG",@progbits,_ZN2at6native12_GLOBAL__N_115sum_and_scatterIfiEEvPKT0_PT_lS5_PKlPKNS_14AccumulateTypeIS6_Lb1EE4typeES5_S9_ll,comdat
	.globl	_ZN2at6native12_GLOBAL__N_115sum_and_scatterIfiEEvPKT0_PT_lS5_PKlPKNS_14AccumulateTypeIS6_Lb1EE4typeES5_S9_ll ; -- Begin function _ZN2at6native12_GLOBAL__N_115sum_and_scatterIfiEEvPKT0_PT_lS5_PKlPKNS_14AccumulateTypeIS6_Lb1EE4typeES5_S9_ll
	.p2align	8
	.type	_ZN2at6native12_GLOBAL__N_115sum_and_scatterIfiEEvPKT0_PT_lS5_PKlPKNS_14AccumulateTypeIS6_Lb1EE4typeES5_S9_ll,@function
_ZN2at6native12_GLOBAL__N_115sum_and_scatterIfiEEvPKT0_PT_lS5_PKlPKNS_14AccumulateTypeIS6_Lb1EE4typeES5_S9_ll: ; @_ZN2at6native12_GLOBAL__N_115sum_and_scatterIfiEEvPKT0_PT_lS5_PKlPKNS_14AccumulateTypeIS6_Lb1EE4typeES5_S9_ll
; %bb.0:
	s_clause 0x1
	s_load_b32 s2, s[0:1], 0x5c
	s_load_b128 s[20:23], s[0:1], 0x40
	s_bfe_u32 s3, ttmp6, 0x4000c
	s_and_b32 s4, ttmp6, 15
	s_add_co_i32 s3, s3, 1
	s_getreg_b32 s5, hwreg(HW_REG_IB_STS2, 6, 4)
	s_mul_i32 s3, ttmp9, s3
	v_mov_b32_e32 v1, 0
	s_add_co_i32 s4, s4, s3
	s_wait_kmcnt 0x0
	s_and_b32 s2, s2, 0xffff
	s_cmp_eq_u32 s5, 0
	s_cselect_b32 s3, ttmp9, s4
	s_load_b512 s[4:19], s[0:1], 0x0
	v_mad_nc_u64_u32 v[2:3], s2, s3, v[0:1]
	s_wait_xcnt 0x0
	s_mov_b32 s1, 0
	s_delay_alu instid0(VALU_DEP_1) | instskip(NEXT) | instid1(VALU_DEP_1)
	v_dual_mov_b32 v4, v1 :: v_dual_bitop2_b32 v5, s23, v3 bitop3:0x54
	v_cmp_ne_u64_e32 vcc_lo, 0, v[4:5]
                                        ; implicit-def: $vgpr4_vgpr5
	s_and_saveexec_b32 s0, vcc_lo
	s_delay_alu instid0(SALU_CYCLE_1)
	s_xor_b32 s26, exec_lo, s0
	s_cbranch_execz .LBB87_2
; %bb.1:
	s_ashr_i32 s2, s23, 31
	v_dual_mov_b32 v9, v1 :: v_dual_ashrrev_i32 v4, 31, v3
	s_mov_b32 s3, s2
	v_mov_b32_e32 v15, v1
	s_add_nc_u64 s[24:25], s[22:23], s[2:3]
	s_delay_alu instid0(VALU_DEP_2) | instskip(SKIP_1) | instid1(SALU_CYCLE_1)
	v_mov_b32_e32 v5, v4
	s_xor_b64 s[24:25], s[24:25], s[2:3]
	s_cvt_f32_u32 s0, s24
	s_cvt_f32_u32 s3, s25
	s_sub_nc_u64 s[30:31], 0, s[24:25]
	v_add_nc_u64_e32 v[6:7], v[2:3], v[4:5]
	s_delay_alu instid0(SALU_CYCLE_1) | instskip(NEXT) | instid1(SALU_CYCLE_3)
	s_fmamk_f32 s0, s3, 0x4f800000, s0
	v_s_rcp_f32 s0, s0
	s_delay_alu instid0(VALU_DEP_1) | instskip(NEXT) | instid1(VALU_DEP_2)
	v_xor_b32_e32 v0, v6, v4
	v_xor_b32_e32 v8, v7, v4
	s_delay_alu instid0(TRANS32_DEP_1) | instskip(NEXT) | instid1(SALU_CYCLE_3)
	s_mul_f32 s0, s0, 0x5f7ffffc
	s_mul_f32 s3, s0, 0x2f800000
	s_delay_alu instid0(SALU_CYCLE_3) | instskip(NEXT) | instid1(SALU_CYCLE_3)
	s_trunc_f32 s3, s3
	s_fmamk_f32 s0, s3, 0xcf800000, s0
	s_cvt_u32_f32 s29, s3
	s_delay_alu instid0(SALU_CYCLE_2) | instskip(NEXT) | instid1(SALU_CYCLE_3)
	s_cvt_u32_f32 s28, s0
	s_mul_u64 s[34:35], s[30:31], s[28:29]
	s_delay_alu instid0(SALU_CYCLE_1)
	s_mul_hi_u32 s37, s28, s35
	s_mul_i32 s36, s28, s35
	s_mul_hi_u32 s0, s28, s34
	s_mul_i32 s27, s29, s34
	s_add_nc_u64 s[36:37], s[0:1], s[36:37]
	s_mul_hi_u32 s3, s29, s34
	s_mul_hi_u32 s33, s29, s35
	s_add_co_u32 s0, s36, s27
	s_add_co_ci_u32 s0, s37, s3
	s_mul_i32 s34, s29, s35
	s_add_co_ci_u32 s35, s33, 0
	s_delay_alu instid0(SALU_CYCLE_1) | instskip(NEXT) | instid1(SALU_CYCLE_1)
	s_add_nc_u64 s[34:35], s[0:1], s[34:35]
	s_add_co_u32 s28, s28, s34
	s_cselect_b32 s0, -1, 0
	s_delay_alu instid0(SALU_CYCLE_1) | instskip(SKIP_1) | instid1(SALU_CYCLE_1)
	s_cmp_lg_u32 s0, 0
	s_add_co_ci_u32 s29, s29, s35
	s_mul_u64 s[30:31], s[30:31], s[28:29]
	s_delay_alu instid0(SALU_CYCLE_1)
	s_mul_hi_u32 s35, s28, s31
	s_mul_i32 s34, s28, s31
	s_mul_hi_u32 s0, s28, s30
	s_mul_i32 s27, s29, s30
	s_add_nc_u64 s[34:35], s[0:1], s[34:35]
	s_mul_hi_u32 s3, s29, s30
	s_mul_hi_u32 s33, s29, s31
	s_add_co_u32 s0, s34, s27
	s_add_co_ci_u32 s0, s35, s3
	s_mul_i32 s30, s29, s31
	s_add_co_ci_u32 s31, s33, 0
	s_delay_alu instid0(SALU_CYCLE_1) | instskip(NEXT) | instid1(SALU_CYCLE_1)
	s_add_nc_u64 s[30:31], s[0:1], s[30:31]
	s_add_co_u32 s28, s28, s30
	s_cselect_b32 s0, -1, 0
	v_mul_hi_u32 v14, v0, s28
	s_cmp_lg_u32 s0, 0
	s_add_co_ci_u32 s0, s29, s31
	s_mov_b64 s[30:31], 0xffffffff
	v_mul_u64_e32 v[10:11], s[0:1], v[0:1]
	s_and_b64 s[30:31], s[28:29], s[30:31]
	v_mul_u64_e32 v[12:13], s[0:1], v[8:9]
	v_mul_u64_e32 v[6:7], s[30:31], v[8:9]
	s_delay_alu instid0(VALU_DEP_3) | instskip(NEXT) | instid1(VALU_DEP_1)
	v_add_nc_u64_e32 v[10:11], v[14:15], v[10:11]
	v_add_co_u32 v1, vcc_lo, v10, v6
	s_delay_alu instid0(VALU_DEP_2) | instskip(SKIP_1) | instid1(VALU_DEP_1)
	v_add_co_ci_u32_e32 v14, vcc_lo, v11, v7, vcc_lo
	v_add_co_ci_u32_e32 v13, vcc_lo, 0, v13, vcc_lo
	v_add_nc_u64_e32 v[6:7], v[14:15], v[12:13]
	s_delay_alu instid0(VALU_DEP_1) | instskip(NEXT) | instid1(VALU_DEP_1)
	v_mul_u64_e32 v[10:11], s[24:25], v[6:7]
	v_sub_nc_u32_e32 v1, v8, v11
	s_delay_alu instid0(VALU_DEP_2) | instskip(NEXT) | instid1(VALU_DEP_1)
	v_sub_co_u32 v0, vcc_lo, v0, v10
	v_sub_co_ci_u32_e64 v10, null, v8, v11, vcc_lo
	s_delay_alu instid0(VALU_DEP_3) | instskip(NEXT) | instid1(VALU_DEP_3)
	v_subrev_co_ci_u32_e64 v1, null, s25, v1, vcc_lo
	v_sub_co_u32 v5, s0, v0, s24
	s_delay_alu instid0(VALU_DEP_1) | instskip(NEXT) | instid1(VALU_DEP_2)
	v_subrev_co_ci_u32_e64 v1, null, 0, v1, s0
	v_cmp_le_u32_e32 vcc_lo, s24, v5
	v_cndmask_b32_e64 v5, 0, -1, vcc_lo
	s_delay_alu instid0(VALU_DEP_3)
	v_cmp_le_u32_e32 vcc_lo, s25, v1
	v_cndmask_b32_e64 v8, 0, -1, vcc_lo
	v_cmp_le_u32_e32 vcc_lo, s24, v0
	v_cndmask_b32_e64 v11, 0, -1, vcc_lo
	;; [unrolled: 2-line block ×3, first 2 shown]
	v_cmp_eq_u32_e32 vcc_lo, s25, v1
	v_add_nc_u64_e32 v[0:1], 2, v[6:7]
	v_cndmask_b32_e32 v5, v8, v5, vcc_lo
	v_cmp_eq_u32_e32 vcc_lo, s25, v10
	v_add_nc_u64_e32 v[8:9], 1, v[6:7]
	v_cndmask_b32_e32 v10, v12, v11, vcc_lo
	s_delay_alu instid0(VALU_DEP_4) | instskip(NEXT) | instid1(VALU_DEP_3)
	v_cmp_ne_u32_e32 vcc_lo, 0, v5
	v_cndmask_b32_e32 v1, v9, v1, vcc_lo
	s_delay_alu instid0(VALU_DEP_3) | instskip(SKIP_1) | instid1(VALU_DEP_2)
	v_cmp_ne_u32_e64 s0, 0, v10
	v_cndmask_b32_e32 v5, v8, v0, vcc_lo
	v_dual_cndmask_b32 v4, v7, v1, s0 :: v_dual_bitop2_b32 v0, s2, v4 bitop3:0x14
	s_delay_alu instid0(VALU_DEP_1) | instskip(NEXT) | instid1(VALU_DEP_2)
	v_dual_cndmask_b32 v6, v6, v5, s0 :: v_dual_mov_b32 v1, v0
	v_xor_b32_e32 v5, v4, v0
	s_delay_alu instid0(VALU_DEP_2) | instskip(NEXT) | instid1(VALU_DEP_1)
	v_xor_b32_e32 v4, v6, v0
	v_sub_nc_u64_e32 v[4:5], v[4:5], v[0:1]
.LBB87_2:
	s_or_saveexec_b32 s0, s26
	s_wait_kmcnt 0x0
	s_load_b64 s[2:3], s[12:13], 0x0
	s_xor_b32 exec_lo, exec_lo, s0
	s_cbranch_execz .LBB87_4
; %bb.3:
	v_cvt_f32_u32_e32 v0, s22
	s_sub_co_i32 s1, 0, s22
	s_delay_alu instid0(VALU_DEP_1) | instskip(SKIP_1) | instid1(TRANS32_DEP_1)
	v_rcp_iflag_f32_e32 v0, v0
	v_nop
	v_mul_f32_e32 v0, 0x4f7ffffe, v0
	s_delay_alu instid0(VALU_DEP_1) | instskip(NEXT) | instid1(VALU_DEP_1)
	v_cvt_u32_f32_e32 v0, v0
	v_mul_lo_u32 v1, s1, v0
	s_delay_alu instid0(VALU_DEP_1) | instskip(NEXT) | instid1(VALU_DEP_1)
	v_mul_hi_u32 v1, v0, v1
	v_add_nc_u32_e32 v0, v0, v1
	s_delay_alu instid0(VALU_DEP_1) | instskip(NEXT) | instid1(VALU_DEP_1)
	v_mul_hi_u32 v0, v2, v0
	v_mul_lo_u32 v1, v0, s22
	s_delay_alu instid0(VALU_DEP_1) | instskip(NEXT) | instid1(VALU_DEP_1)
	v_sub_nc_u32_e32 v1, v2, v1
	v_subrev_nc_u32_e32 v5, s22, v1
	v_cmp_le_u32_e32 vcc_lo, s22, v1
	s_delay_alu instid0(VALU_DEP_2) | instskip(NEXT) | instid1(VALU_DEP_1)
	v_dual_cndmask_b32 v1, v1, v5 :: v_dual_add_nc_u32 v4, 1, v0
	v_dual_cndmask_b32 v0, v0, v4 :: v_dual_mov_b32 v5, 0
	s_delay_alu instid0(VALU_DEP_2) | instskip(NEXT) | instid1(VALU_DEP_2)
	v_cmp_le_u32_e32 vcc_lo, s22, v1
	v_add_nc_u32_e32 v4, 1, v0
	s_delay_alu instid0(VALU_DEP_1)
	v_cndmask_b32_e32 v4, v0, v4, vcc_lo
.LBB87_4:
	s_or_b32 exec_lo, exec_lo, s0
	s_delay_alu instid0(VALU_DEP_1) | instskip(SKIP_2) | instid1(VALU_DEP_2)
	v_mul_u64_e32 v[8:9], s[22:23], v[4:5]
	s_wait_kmcnt 0x0
	v_cmp_gt_i64_e64 s0, s[2:3], v[4:5]
	v_sub_nc_u64_e32 v[0:1], v[2:3], v[8:9]
	s_delay_alu instid0(VALU_DEP_1) | instskip(SKIP_1) | instid1(SALU_CYCLE_1)
	v_cmp_gt_i64_e32 vcc_lo, s[8:9], v[0:1]
	s_and_b32 s0, vcc_lo, s0
	s_and_saveexec_b32 s1, s0
	s_cbranch_execz .LBB87_13
; %bb.5:
	v_lshl_add_u64 v[10:11], v[4:5], 2, s[16:17]
	s_load_b64 s[0:1], s[18:19], 0x0
	s_add_nc_u64 s[2:3], s[2:3], -1
	global_load_b32 v6, v[10:11], off
	s_wait_kmcnt 0x0
	v_mov_b32_e32 v12, s0
	s_mov_b32 s0, exec_lo
	s_wait_xcnt 0x0
	v_cmpx_ne_u64_e64 s[2:3], v[4:5]
	s_xor_b32 s0, exec_lo, s0
	s_cbranch_execz .LBB87_7
; %bb.6:
	global_load_b32 v12, v[10:11], off offset:4
.LBB87_7:
	s_wait_xcnt 0x0
	s_and_not1_saveexec_b32 s0, s0
	s_delay_alu instid0(SALU_CYCLE_1)
	s_or_b32 exec_lo, exec_lo, s0
	v_mov_b32_e32 v7, 0
	s_mov_b32 s2, exec_lo
	s_wait_loadcnt 0x0
	v_cmpx_lt_i32_e64 v6, v12
	s_cbranch_execz .LBB87_11
; %bb.8:
	v_ashrrev_i32_e32 v7, 31, v6
	v_lshlrev_b64_e32 v[2:3], 2, v[2:3]
	v_lshlrev_b64_e32 v[8:9], 2, v[8:9]
	s_lshl_b64 s[0:1], s[8:9], 2
	s_mov_b32 s3, 0
	v_mul_u64_e32 v[10:11], s[8:9], v[6:7]
	v_mov_b32_e32 v7, 0
	s_delay_alu instid0(VALU_DEP_2) | instskip(NEXT) | instid1(VALU_DEP_1)
	v_lshl_add_u64 v[2:3], v[10:11], 2, v[2:3]
	v_sub_nc_u64_e32 v[2:3], v[2:3], v[8:9]
	s_delay_alu instid0(VALU_DEP_1)
	v_add_nc_u64_e32 v[2:3], s[14:15], v[2:3]
.LBB87_9:                               ; =>This Inner Loop Header: Depth=1
	global_load_b32 v8, v[2:3], off
	v_add_nc_u32_e32 v6, 1, v6
	s_wait_xcnt 0x0
	v_add_nc_u64_e32 v[2:3], s[0:1], v[2:3]
	s_wait_loadcnt 0x0
	v_add_f32_e32 v7, v7, v8
	v_cmp_ge_i32_e32 vcc_lo, v6, v12
	s_or_b32 s3, vcc_lo, s3
	s_delay_alu instid0(SALU_CYCLE_1)
	s_and_not1_b32 exec_lo, exec_lo, s3
	s_cbranch_execnz .LBB87_9
; %bb.10:
	s_or_b32 exec_lo, exec_lo, s3
.LBB87_11:
	s_delay_alu instid0(SALU_CYCLE_1)
	s_or_b32 exec_lo, exec_lo, s2
	v_lshl_add_u64 v[2:3], v[4:5], 2, s[10:11]
	global_load_b32 v2, v[2:3], off
	s_wait_loadcnt 0x0
	global_load_b32 v2, v2, s[4:5] scale_offset
	s_wait_loadcnt 0x0
	v_ashrrev_i32_e32 v3, 31, v2
	s_delay_alu instid0(VALU_DEP_1)
	v_cmp_ne_u64_e32 vcc_lo, s[20:21], v[2:3]
	s_and_b32 exec_lo, exec_lo, vcc_lo
	s_cbranch_execz .LBB87_13
; %bb.12:
	v_mul_u64_e32 v[2:3], s[8:9], v[2:3]
	s_delay_alu instid0(VALU_DEP_1) | instskip(NEXT) | instid1(VALU_DEP_1)
	v_lshl_add_u64 v[2:3], v[2:3], 2, s[6:7]
	v_lshl_add_u64 v[0:1], v[0:1], 2, v[2:3]
	global_store_b32 v[0:1], v7, off
.LBB87_13:
	s_endpgm
	.section	.rodata,"a",@progbits
	.p2align	6, 0x0
	.amdhsa_kernel _ZN2at6native12_GLOBAL__N_115sum_and_scatterIfiEEvPKT0_PT_lS5_PKlPKNS_14AccumulateTypeIS6_Lb1EE4typeES5_S9_ll
		.amdhsa_group_segment_fixed_size 0
		.amdhsa_private_segment_fixed_size 0
		.amdhsa_kernarg_size 336
		.amdhsa_user_sgpr_count 2
		.amdhsa_user_sgpr_dispatch_ptr 0
		.amdhsa_user_sgpr_queue_ptr 0
		.amdhsa_user_sgpr_kernarg_segment_ptr 1
		.amdhsa_user_sgpr_dispatch_id 0
		.amdhsa_user_sgpr_kernarg_preload_length 0
		.amdhsa_user_sgpr_kernarg_preload_offset 0
		.amdhsa_user_sgpr_private_segment_size 0
		.amdhsa_wavefront_size32 1
		.amdhsa_uses_dynamic_stack 0
		.amdhsa_enable_private_segment 0
		.amdhsa_system_sgpr_workgroup_id_x 1
		.amdhsa_system_sgpr_workgroup_id_y 0
		.amdhsa_system_sgpr_workgroup_id_z 0
		.amdhsa_system_sgpr_workgroup_info 0
		.amdhsa_system_vgpr_workitem_id 0
		.amdhsa_next_free_vgpr 16
		.amdhsa_next_free_sgpr 38
		.amdhsa_named_barrier_count 0
		.amdhsa_reserve_vcc 1
		.amdhsa_float_round_mode_32 0
		.amdhsa_float_round_mode_16_64 0
		.amdhsa_float_denorm_mode_32 3
		.amdhsa_float_denorm_mode_16_64 3
		.amdhsa_fp16_overflow 0
		.amdhsa_memory_ordered 1
		.amdhsa_forward_progress 1
		.amdhsa_inst_pref_size 10
		.amdhsa_round_robin_scheduling 0
		.amdhsa_exception_fp_ieee_invalid_op 0
		.amdhsa_exception_fp_denorm_src 0
		.amdhsa_exception_fp_ieee_div_zero 0
		.amdhsa_exception_fp_ieee_overflow 0
		.amdhsa_exception_fp_ieee_underflow 0
		.amdhsa_exception_fp_ieee_inexact 0
		.amdhsa_exception_int_div_zero 0
	.end_amdhsa_kernel
	.section	.text._ZN2at6native12_GLOBAL__N_115sum_and_scatterIfiEEvPKT0_PT_lS5_PKlPKNS_14AccumulateTypeIS6_Lb1EE4typeES5_S9_ll,"axG",@progbits,_ZN2at6native12_GLOBAL__N_115sum_and_scatterIfiEEvPKT0_PT_lS5_PKlPKNS_14AccumulateTypeIS6_Lb1EE4typeES5_S9_ll,comdat
.Lfunc_end87:
	.size	_ZN2at6native12_GLOBAL__N_115sum_and_scatterIfiEEvPKT0_PT_lS5_PKlPKNS_14AccumulateTypeIS6_Lb1EE4typeES5_S9_ll, .Lfunc_end87-_ZN2at6native12_GLOBAL__N_115sum_and_scatterIfiEEvPKT0_PT_lS5_PKlPKNS_14AccumulateTypeIS6_Lb1EE4typeES5_S9_ll
                                        ; -- End function
	.set _ZN2at6native12_GLOBAL__N_115sum_and_scatterIfiEEvPKT0_PT_lS5_PKlPKNS_14AccumulateTypeIS6_Lb1EE4typeES5_S9_ll.num_vgpr, 16
	.set _ZN2at6native12_GLOBAL__N_115sum_and_scatterIfiEEvPKT0_PT_lS5_PKlPKNS_14AccumulateTypeIS6_Lb1EE4typeES5_S9_ll.num_agpr, 0
	.set _ZN2at6native12_GLOBAL__N_115sum_and_scatterIfiEEvPKT0_PT_lS5_PKlPKNS_14AccumulateTypeIS6_Lb1EE4typeES5_S9_ll.numbered_sgpr, 38
	.set _ZN2at6native12_GLOBAL__N_115sum_and_scatterIfiEEvPKT0_PT_lS5_PKlPKNS_14AccumulateTypeIS6_Lb1EE4typeES5_S9_ll.num_named_barrier, 0
	.set _ZN2at6native12_GLOBAL__N_115sum_and_scatterIfiEEvPKT0_PT_lS5_PKlPKNS_14AccumulateTypeIS6_Lb1EE4typeES5_S9_ll.private_seg_size, 0
	.set _ZN2at6native12_GLOBAL__N_115sum_and_scatterIfiEEvPKT0_PT_lS5_PKlPKNS_14AccumulateTypeIS6_Lb1EE4typeES5_S9_ll.uses_vcc, 1
	.set _ZN2at6native12_GLOBAL__N_115sum_and_scatterIfiEEvPKT0_PT_lS5_PKlPKNS_14AccumulateTypeIS6_Lb1EE4typeES5_S9_ll.uses_flat_scratch, 0
	.set _ZN2at6native12_GLOBAL__N_115sum_and_scatterIfiEEvPKT0_PT_lS5_PKlPKNS_14AccumulateTypeIS6_Lb1EE4typeES5_S9_ll.has_dyn_sized_stack, 0
	.set _ZN2at6native12_GLOBAL__N_115sum_and_scatterIfiEEvPKT0_PT_lS5_PKlPKNS_14AccumulateTypeIS6_Lb1EE4typeES5_S9_ll.has_recursion, 0
	.set _ZN2at6native12_GLOBAL__N_115sum_and_scatterIfiEEvPKT0_PT_lS5_PKlPKNS_14AccumulateTypeIS6_Lb1EE4typeES5_S9_ll.has_indirect_call, 0
	.section	.AMDGPU.csdata,"",@progbits
; Kernel info:
; codeLenInByte = 1236
; TotalNumSgprs: 40
; NumVgprs: 16
; ScratchSize: 0
; MemoryBound: 0
; FloatMode: 240
; IeeeMode: 1
; LDSByteSize: 0 bytes/workgroup (compile time only)
; SGPRBlocks: 0
; VGPRBlocks: 0
; NumSGPRsForWavesPerEU: 40
; NumVGPRsForWavesPerEU: 16
; NamedBarCnt: 0
; Occupancy: 16
; WaveLimiterHint : 1
; COMPUTE_PGM_RSRC2:SCRATCH_EN: 0
; COMPUTE_PGM_RSRC2:USER_SGPR: 2
; COMPUTE_PGM_RSRC2:TRAP_HANDLER: 0
; COMPUTE_PGM_RSRC2:TGID_X_EN: 1
; COMPUTE_PGM_RSRC2:TGID_Y_EN: 0
; COMPUTE_PGM_RSRC2:TGID_Z_EN: 0
; COMPUTE_PGM_RSRC2:TIDIG_COMP_CNT: 0
	.section	.text._ZN2at6native12_GLOBAL__N_137compute_grad_weight_atomic_accumulateIN3c104HalfEfiEEvPKT1_PKT_S7_llS7_PKlS7_S7_S7_PT0_ll,"axG",@progbits,_ZN2at6native12_GLOBAL__N_137compute_grad_weight_atomic_accumulateIN3c104HalfEfiEEvPKT1_PKT_S7_llS7_PKlS7_S7_S7_PT0_ll,comdat
	.globl	_ZN2at6native12_GLOBAL__N_137compute_grad_weight_atomic_accumulateIN3c104HalfEfiEEvPKT1_PKT_S7_llS7_PKlS7_S7_S7_PT0_ll ; -- Begin function _ZN2at6native12_GLOBAL__N_137compute_grad_weight_atomic_accumulateIN3c104HalfEfiEEvPKT1_PKT_S7_llS7_PKlS7_S7_S7_PT0_ll
	.p2align	8
	.type	_ZN2at6native12_GLOBAL__N_137compute_grad_weight_atomic_accumulateIN3c104HalfEfiEEvPKT1_PKT_S7_llS7_PKlS7_S7_S7_PT0_ll,@function
_ZN2at6native12_GLOBAL__N_137compute_grad_weight_atomic_accumulateIN3c104HalfEfiEEvPKT1_PKT_S7_llS7_PKlS7_S7_S7_PT0_ll: ; @_ZN2at6native12_GLOBAL__N_137compute_grad_weight_atomic_accumulateIN3c104HalfEfiEEvPKT1_PKT_S7_llS7_PKlS7_S7_S7_PT0_ll
; %bb.0:
	s_clause 0x1
	s_load_b32 s2, s[0:1], 0x74
	s_load_b64 s[20:21], s[0:1], 0x60
	s_bfe_u32 s3, ttmp6, 0x4000c
	s_and_b32 s4, ttmp6, 15
	s_add_co_i32 s3, s3, 1
	s_getreg_b32 s5, hwreg(HW_REG_IB_STS2, 6, 4)
	s_mul_i32 s3, ttmp9, s3
                                        ; implicit-def: $vgpr2_vgpr3
	v_mov_b32_e32 v4, 0
	s_add_co_i32 s4, s4, s3
	s_wait_kmcnt 0x0
	s_and_b32 s2, s2, 0xffff
	s_cmp_eq_u32 s5, 0
	s_cselect_b32 s3, ttmp9, s4
	s_delay_alu instid0(SALU_CYCLE_1) | instskip(SKIP_2) | instid1(VALU_DEP_1)
	v_mad_u32 v0, s3, s2, v0
	s_mov_b32 s3, 0
	s_mov_b32 s2, exec_lo
	v_ashrrev_i32_e32 v1, 31, v0
	s_delay_alu instid0(VALU_DEP_1) | instskip(NEXT) | instid1(VALU_DEP_1)
	v_or_b32_e32 v5, s21, v1
	v_cmpx_ne_u64_e32 0, v[4:5]
	s_xor_b32 s8, exec_lo, s2
	s_cbranch_execz .LBB88_2
; %bb.1:
	s_ashr_i32 s4, s21, 31
	v_dual_mov_b32 v9, v4 :: v_dual_ashrrev_i32 v2, 31, v1
	s_mov_b32 s5, s4
	v_mov_b32_e32 v11, v4
	s_add_nc_u64 s[6:7], s[20:21], s[4:5]
	s_delay_alu instid0(VALU_DEP_2)
	v_mov_b32_e32 v3, v2
	s_xor_b64 s[6:7], s[6:7], s[4:5]
	v_mov_b32_e32 v17, v4
	s_cvt_f32_u32 s2, s6
	s_cvt_f32_u32 s5, s7
	s_sub_nc_u64 s[12:13], 0, s[6:7]
	v_add_nc_u64_e32 v[6:7], v[0:1], v[2:3]
	v_mov_b32_e32 v5, v4
	s_fmamk_f32 s2, s5, 0x4f800000, s2
	s_delay_alu instid0(SALU_CYCLE_3) | instskip(NEXT) | instid1(VALU_DEP_2)
	v_s_rcp_f32 s2, s2
	v_xor_b32_e32 v8, v6, v2
	s_delay_alu instid0(VALU_DEP_3) | instskip(SKIP_1) | instid1(TRANS32_DEP_1)
	v_xor_b32_e32 v10, v7, v2
	v_xor_b32_e32 v2, s4, v2
	s_mul_f32 s2, s2, 0x5f7ffffc
	s_delay_alu instid0(SALU_CYCLE_3) | instskip(NEXT) | instid1(SALU_CYCLE_3)
	s_mul_f32 s5, s2, 0x2f800000
	s_trunc_f32 s5, s5
	s_delay_alu instid0(SALU_CYCLE_3) | instskip(SKIP_1) | instid1(SALU_CYCLE_2)
	s_fmamk_f32 s2, s5, 0xcf800000, s2
	s_cvt_u32_f32 s11, s5
	s_cvt_u32_f32 s10, s2
	s_delay_alu instid0(SALU_CYCLE_3) | instskip(NEXT) | instid1(SALU_CYCLE_1)
	s_mul_u64 s[14:15], s[12:13], s[10:11]
	s_mul_hi_u32 s17, s10, s15
	s_mul_i32 s16, s10, s15
	s_mul_hi_u32 s2, s10, s14
	s_mul_i32 s9, s11, s14
	s_add_nc_u64 s[16:17], s[2:3], s[16:17]
	s_mul_hi_u32 s5, s11, s14
	s_mul_hi_u32 s18, s11, s15
	s_add_co_u32 s2, s16, s9
	s_add_co_ci_u32 s2, s17, s5
	s_mul_i32 s14, s11, s15
	s_add_co_ci_u32 s15, s18, 0
	s_delay_alu instid0(SALU_CYCLE_1) | instskip(NEXT) | instid1(SALU_CYCLE_1)
	s_add_nc_u64 s[14:15], s[2:3], s[14:15]
	s_add_co_u32 s10, s10, s14
	s_cselect_b32 s2, -1, 0
	s_delay_alu instid0(SALU_CYCLE_1) | instskip(SKIP_1) | instid1(SALU_CYCLE_1)
	s_cmp_lg_u32 s2, 0
	s_add_co_ci_u32 s11, s11, s15
	s_mul_u64 s[12:13], s[12:13], s[10:11]
	s_delay_alu instid0(SALU_CYCLE_1)
	s_mul_hi_u32 s15, s10, s13
	s_mul_i32 s14, s10, s13
	s_mul_hi_u32 s2, s10, s12
	s_mul_i32 s9, s11, s12
	s_add_nc_u64 s[14:15], s[2:3], s[14:15]
	s_mul_hi_u32 s5, s11, s12
	s_mul_hi_u32 s16, s11, s13
	s_add_co_u32 s2, s14, s9
	s_add_co_ci_u32 s2, s15, s5
	s_mul_i32 s12, s11, s13
	s_add_co_ci_u32 s13, s16, 0
	s_delay_alu instid0(SALU_CYCLE_1) | instskip(NEXT) | instid1(SALU_CYCLE_1)
	s_add_nc_u64 s[12:13], s[2:3], s[12:13]
	s_add_co_u32 s10, s10, s12
	s_cselect_b32 s2, -1, 0
	v_mul_hi_u32 v16, v8, s10
	s_cmp_lg_u32 s2, 0
	s_add_co_ci_u32 s2, s11, s13
	s_mov_b64 s[12:13], 0xffffffff
	v_mul_u64_e32 v[12:13], s[2:3], v[8:9]
	s_and_b64 s[12:13], s[10:11], s[12:13]
	v_mul_u64_e32 v[14:15], s[2:3], v[10:11]
	v_mul_u64_e32 v[6:7], s[12:13], v[10:11]
	s_delay_alu instid0(VALU_DEP_3) | instskip(NEXT) | instid1(VALU_DEP_1)
	v_add_nc_u64_e32 v[12:13], v[16:17], v[12:13]
	v_add_co_u32 v3, vcc_lo, v12, v6
	s_delay_alu instid0(VALU_DEP_2) | instskip(SKIP_1) | instid1(VALU_DEP_1)
	v_add_co_ci_u32_e32 v4, vcc_lo, v13, v7, vcc_lo
	v_add_co_ci_u32_e32 v15, vcc_lo, 0, v15, vcc_lo
	v_add_nc_u64_e32 v[4:5], v[4:5], v[14:15]
	s_delay_alu instid0(VALU_DEP_1) | instskip(NEXT) | instid1(VALU_DEP_1)
	v_mul_u64_e32 v[6:7], s[6:7], v[4:5]
	v_sub_nc_u32_e32 v3, v10, v7
	s_delay_alu instid0(VALU_DEP_2) | instskip(NEXT) | instid1(VALU_DEP_1)
	v_sub_co_u32 v6, vcc_lo, v8, v6
	v_sub_co_ci_u32_e64 v10, null, v10, v7, vcc_lo
	s_delay_alu instid0(VALU_DEP_3) | instskip(NEXT) | instid1(VALU_DEP_3)
	v_subrev_co_ci_u32_e64 v3, null, s7, v3, vcc_lo
	v_sub_co_u32 v8, s2, v6, s6
	s_delay_alu instid0(VALU_DEP_1) | instskip(NEXT) | instid1(VALU_DEP_2)
	v_subrev_co_ci_u32_e64 v3, null, 0, v3, s2
	v_cmp_le_u32_e32 vcc_lo, s6, v8
	v_cndmask_b32_e64 v7, 0, -1, vcc_lo
	s_delay_alu instid0(VALU_DEP_3)
	v_cmp_le_u32_e32 vcc_lo, s7, v3
	v_cndmask_b32_e64 v8, 0, -1, vcc_lo
	v_cmp_le_u32_e32 vcc_lo, s6, v6
	v_cndmask_b32_e64 v11, 0, -1, vcc_lo
	;; [unrolled: 2-line block ×3, first 2 shown]
	v_cmp_eq_u32_e32 vcc_lo, s7, v3
	v_cndmask_b32_e32 v3, v8, v7, vcc_lo
	v_cmp_eq_u32_e32 vcc_lo, s7, v10
	v_add_nc_u64_e32 v[6:7], 2, v[4:5]
	v_add_nc_u64_e32 v[8:9], 1, v[4:5]
	v_cndmask_b32_e32 v10, v12, v11, vcc_lo
	v_cmp_ne_u32_e32 vcc_lo, 0, v3
	s_delay_alu instid0(VALU_DEP_2) | instskip(NEXT) | instid1(VALU_DEP_4)
	v_cmp_ne_u32_e64 s2, 0, v10
	v_dual_cndmask_b32 v6, v8, v6 :: v_dual_cndmask_b32 v3, v9, v7
	s_delay_alu instid0(VALU_DEP_1) | instskip(NEXT) | instid1(VALU_DEP_1)
	v_dual_cndmask_b32 v4, v4, v6, s2 :: v_dual_cndmask_b32 v5, v5, v3, s2
	v_dual_mov_b32 v3, v2 :: v_dual_bitop2_b32 v4, v4, v2 bitop3:0x14
	s_delay_alu instid0(VALU_DEP_2) | instskip(NEXT) | instid1(VALU_DEP_1)
	v_xor_b32_e32 v5, v5, v2
	v_sub_nc_u64_e32 v[2:3], v[4:5], v[2:3]
.LBB88_2:
	s_or_saveexec_b32 s2, s8
	s_load_b512 s[4:19], s[0:1], 0x0
	s_xor_b32 exec_lo, exec_lo, s2
	s_cbranch_execz .LBB88_4
; %bb.3:
	v_cvt_f32_u32_e32 v2, s20
	s_sub_co_i32 s3, 0, s20
	s_delay_alu instid0(VALU_DEP_1) | instskip(SKIP_1) | instid1(TRANS32_DEP_1)
	v_rcp_iflag_f32_e32 v2, v2
	v_nop
	v_mul_f32_e32 v2, 0x4f7ffffe, v2
	s_delay_alu instid0(VALU_DEP_1) | instskip(NEXT) | instid1(VALU_DEP_1)
	v_cvt_u32_f32_e32 v2, v2
	v_mul_lo_u32 v3, s3, v2
	s_delay_alu instid0(VALU_DEP_1) | instskip(NEXT) | instid1(VALU_DEP_1)
	v_mul_hi_u32 v3, v2, v3
	v_add_nc_u32_e32 v2, v2, v3
	s_delay_alu instid0(VALU_DEP_1) | instskip(NEXT) | instid1(VALU_DEP_1)
	v_mul_hi_u32 v2, v0, v2
	v_mul_lo_u32 v3, v2, s20
	s_delay_alu instid0(VALU_DEP_1) | instskip(NEXT) | instid1(VALU_DEP_1)
	v_dual_add_nc_u32 v4, 1, v2 :: v_dual_sub_nc_u32 v3, v0, v3
	v_subrev_nc_u32_e32 v5, s20, v3
	v_cmp_le_u32_e32 vcc_lo, s20, v3
	s_delay_alu instid0(VALU_DEP_2) | instskip(NEXT) | instid1(VALU_DEP_1)
	v_dual_cndmask_b32 v3, v3, v5 :: v_dual_cndmask_b32 v2, v2, v4
	v_cmp_le_u32_e32 vcc_lo, s20, v3
	s_delay_alu instid0(VALU_DEP_2) | instskip(NEXT) | instid1(VALU_DEP_1)
	v_dual_mov_b32 v3, 0 :: v_dual_add_nc_u32 v4, 1, v2
	v_cndmask_b32_e32 v2, v2, v4, vcc_lo
.LBB88_4:
	s_or_b32 exec_lo, exec_lo, s2
	s_delay_alu instid0(VALU_DEP_1) | instskip(SKIP_1) | instid1(VALU_DEP_1)
	v_mul_u64_e32 v[4:5], s[20:21], v[2:3]
	s_mov_b32 s2, exec_lo
	v_sub_nc_u64_e32 v[0:1], v[0:1], v[4:5]
	s_wait_kmcnt 0x0
	s_delay_alu instid0(VALU_DEP_1)
	v_cmpx_gt_i64_e64 s[12:13], v[0:1]
	s_cbranch_execz .LBB88_19
; %bb.5:
	s_load_b64 s[2:3], s[16:17], 0x0
	v_ashrrev_i32_e32 v3, 31, v2
	s_wait_kmcnt 0x0
	s_delay_alu instid0(VALU_DEP_1)
	v_cmp_gt_i64_e32 vcc_lo, s[2:3], v[2:3]
	s_and_b32 exec_lo, exec_lo, vcc_lo
	s_cbranch_execz .LBB88_19
; %bb.6:
	v_lshl_add_u64 v[4:5], v[2:3], 2, s[14:15]
	s_add_nc_u64 s[2:3], s[2:3], -1
                                        ; implicit-def: $vgpr14
	s_delay_alu instid0(SALU_CYCLE_1) | instskip(SKIP_3) | instid1(SALU_CYCLE_1)
	v_cmp_ne_u64_e32 vcc_lo, s[2:3], v[2:3]
	global_load_b32 v4, v[4:5], off
	s_wait_xcnt 0x0
	s_and_saveexec_b32 s2, vcc_lo
	s_xor_b32 s2, exec_lo, s2
	s_cbranch_execz .LBB88_8
; %bb.7:
	v_dual_mov_b32 v6, 0 :: v_dual_add_nc_u32 v7, 1, v2
	s_delay_alu instid0(VALU_DEP_1) | instskip(NEXT) | instid1(VALU_DEP_1)
	v_ashrrev_i64 v[6:7], 30, v[6:7]
	v_add_nc_u64_e32 v[6:7], s[14:15], v[6:7]
	global_load_b32 v14, v[6:7], off
.LBB88_8:
	s_wait_xcnt 0x0
	s_or_saveexec_b32 s2, s2
	s_load_b256 s[20:27], s[0:1], 0x40
	s_xor_b32 exec_lo, exec_lo, s2
	s_cbranch_execz .LBB88_10
; %bb.9:
	s_wait_loadcnt 0x0
	v_mov_b32_e32 v14, s10
.LBB88_10:
	s_or_b32 exec_lo, exec_lo, s2
	v_mov_b32_e32 v5, 0
	s_wait_xcnt 0x0
	s_mov_b32 s0, exec_lo
	s_wait_loadcnt 0x0
	v_cmpx_lt_i32_e64 v4, v14
	s_cbranch_execz .LBB88_17
; %bb.11:
	v_ashrrev_i32_e32 v5, 31, v4
	v_lshl_add_u64 v[6:7], v[0:1], 1, s[6:7]
	s_cmp_lg_u64 s[8:9], 0
	s_mov_b32 s2, 0
	s_cselect_b32 s1, -1, 0
	v_lshlrev_b64_e32 v[10:11], 2, v[4:5]
	v_mov_b32_e32 v5, 0
	s_delay_alu instid0(VALU_DEP_2)
	v_add_nc_u64_e32 v[8:9], s[4:5], v[10:11]
	v_add_nc_u64_e32 v[10:11], s[8:9], v[10:11]
	s_branch .LBB88_14
.LBB88_12:                              ;   in Loop: Header=BB88_14 Depth=1
	global_load_b32 v13, v[10:11], off
	s_wait_loadcnt 0x0
	v_cvt_f32_i32_e32 v13, v13
	s_delay_alu instid0(VALU_DEP_1) | instskip(NEXT) | instid1(VALU_DEP_1)
	v_div_scale_f32 v15, null, v13, v13, 1.0
	v_rcp_f32_e32 v16, v15
	v_nop
	s_delay_alu instid0(TRANS32_DEP_1) | instskip(NEXT) | instid1(VALU_DEP_1)
	v_fma_f32 v17, -v15, v16, 1.0
	v_fmac_f32_e32 v16, v17, v16
	v_div_scale_f32 v17, vcc_lo, 1.0, v13, 1.0
	s_delay_alu instid0(VALU_DEP_1) | instskip(NEXT) | instid1(VALU_DEP_1)
	v_mul_f32_e32 v18, v17, v16
	v_fma_f32 v19, -v15, v18, v17
	s_delay_alu instid0(VALU_DEP_1) | instskip(NEXT) | instid1(VALU_DEP_1)
	v_fmac_f32_e32 v18, v19, v16
	v_fma_f32 v15, -v15, v18, v17
	s_delay_alu instid0(VALU_DEP_1) | instskip(NEXT) | instid1(VALU_DEP_1)
	v_div_fmas_f32 v15, v15, v16, v18
	v_div_fixup_f32 v15, v15, v13, 1.0
.LBB88_13:                              ;   in Loop: Header=BB88_14 Depth=1
	s_wait_loadcnt 0x0
	v_ashrrev_i32_e32 v13, 31, v12
	v_add_nc_u32_e32 v4, 1, v4
	v_add_nc_u64_e32 v[8:9], 4, v[8:9]
	v_add_nc_u64_e32 v[10:11], 4, v[10:11]
	s_delay_alu instid0(VALU_DEP_4) | instskip(NEXT) | instid1(VALU_DEP_4)
	v_mul_u64_e32 v[12:13], s[12:13], v[12:13]
	v_cmp_ge_i32_e32 vcc_lo, v4, v14
	s_or_b32 s2, vcc_lo, s2
	s_delay_alu instid0(VALU_DEP_2)
	v_lshl_add_u64 v[12:13], v[12:13], 1, v[6:7]
	global_load_u16 v12, v[12:13], off
	s_wait_loadcnt 0x0
	v_fma_mix_f32 v5, v15, v12, v5 op_sel_hi:[0,1,0]
	s_and_not1_b32 exec_lo, exec_lo, s2
	s_cbranch_execz .LBB88_16
.LBB88_14:                              ; =>This Inner Loop Header: Depth=1
	global_load_b32 v12, v[8:9], off
	s_and_not1_b32 vcc_lo, exec_lo, s1
	s_cbranch_vccz .LBB88_12
; %bb.15:                               ;   in Loop: Header=BB88_14 Depth=1
	v_mov_b32_e32 v15, 1.0
	s_branch .LBB88_13
.LBB88_16:
	s_or_b32 exec_lo, exec_lo, s2
.LBB88_17:
	s_delay_alu instid0(SALU_CYCLE_1)
	s_or_b32 exec_lo, exec_lo, s0
	s_wait_kmcnt 0x0
	v_lshl_add_u64 v[2:3], v[2:3], 2, s[20:21]
	global_load_b32 v2, v[2:3], off
	s_wait_loadcnt 0x0
	global_load_b32 v2, v2, s[22:23] scale_offset
	s_wait_loadcnt 0x0
	global_load_b32 v2, v2, s[18:19] scale_offset
	s_wait_loadcnt 0x0
	v_ashrrev_i32_e32 v3, 31, v2
	s_delay_alu instid0(VALU_DEP_1)
	v_cmp_ne_u64_e32 vcc_lo, s[26:27], v[2:3]
	s_and_b32 exec_lo, exec_lo, vcc_lo
	s_cbranch_execz .LBB88_19
; %bb.18:
	v_mul_u64_e32 v[2:3], s[12:13], v[2:3]
	s_delay_alu instid0(VALU_DEP_1) | instskip(NEXT) | instid1(VALU_DEP_1)
	v_lshl_add_u64 v[2:3], v[2:3], 2, s[24:25]
	v_lshl_add_u64 v[0:1], v[0:1], 2, v[2:3]
	global_atomic_add_f32 v[0:1], v5, off scope:SCOPE_DEV
.LBB88_19:
	s_endpgm
	.section	.rodata,"a",@progbits
	.p2align	6, 0x0
	.amdhsa_kernel _ZN2at6native12_GLOBAL__N_137compute_grad_weight_atomic_accumulateIN3c104HalfEfiEEvPKT1_PKT_S7_llS7_PKlS7_S7_S7_PT0_ll
		.amdhsa_group_segment_fixed_size 0
		.amdhsa_private_segment_fixed_size 0
		.amdhsa_kernarg_size 360
		.amdhsa_user_sgpr_count 2
		.amdhsa_user_sgpr_dispatch_ptr 0
		.amdhsa_user_sgpr_queue_ptr 0
		.amdhsa_user_sgpr_kernarg_segment_ptr 1
		.amdhsa_user_sgpr_dispatch_id 0
		.amdhsa_user_sgpr_kernarg_preload_length 0
		.amdhsa_user_sgpr_kernarg_preload_offset 0
		.amdhsa_user_sgpr_private_segment_size 0
		.amdhsa_wavefront_size32 1
		.amdhsa_uses_dynamic_stack 0
		.amdhsa_enable_private_segment 0
		.amdhsa_system_sgpr_workgroup_id_x 1
		.amdhsa_system_sgpr_workgroup_id_y 0
		.amdhsa_system_sgpr_workgroup_id_z 0
		.amdhsa_system_sgpr_workgroup_info 0
		.amdhsa_system_vgpr_workitem_id 0
		.amdhsa_next_free_vgpr 20
		.amdhsa_next_free_sgpr 28
		.amdhsa_named_barrier_count 0
		.amdhsa_reserve_vcc 1
		.amdhsa_float_round_mode_32 0
		.amdhsa_float_round_mode_16_64 0
		.amdhsa_float_denorm_mode_32 3
		.amdhsa_float_denorm_mode_16_64 3
		.amdhsa_fp16_overflow 0
		.amdhsa_memory_ordered 1
		.amdhsa_forward_progress 1
		.amdhsa_inst_pref_size 12
		.amdhsa_round_robin_scheduling 0
		.amdhsa_exception_fp_ieee_invalid_op 0
		.amdhsa_exception_fp_denorm_src 0
		.amdhsa_exception_fp_ieee_div_zero 0
		.amdhsa_exception_fp_ieee_overflow 0
		.amdhsa_exception_fp_ieee_underflow 0
		.amdhsa_exception_fp_ieee_inexact 0
		.amdhsa_exception_int_div_zero 0
	.end_amdhsa_kernel
	.section	.text._ZN2at6native12_GLOBAL__N_137compute_grad_weight_atomic_accumulateIN3c104HalfEfiEEvPKT1_PKT_S7_llS7_PKlS7_S7_S7_PT0_ll,"axG",@progbits,_ZN2at6native12_GLOBAL__N_137compute_grad_weight_atomic_accumulateIN3c104HalfEfiEEvPKT1_PKT_S7_llS7_PKlS7_S7_S7_PT0_ll,comdat
.Lfunc_end88:
	.size	_ZN2at6native12_GLOBAL__N_137compute_grad_weight_atomic_accumulateIN3c104HalfEfiEEvPKT1_PKT_S7_llS7_PKlS7_S7_S7_PT0_ll, .Lfunc_end88-_ZN2at6native12_GLOBAL__N_137compute_grad_weight_atomic_accumulateIN3c104HalfEfiEEvPKT1_PKT_S7_llS7_PKlS7_S7_S7_PT0_ll
                                        ; -- End function
	.set _ZN2at6native12_GLOBAL__N_137compute_grad_weight_atomic_accumulateIN3c104HalfEfiEEvPKT1_PKT_S7_llS7_PKlS7_S7_S7_PT0_ll.num_vgpr, 20
	.set _ZN2at6native12_GLOBAL__N_137compute_grad_weight_atomic_accumulateIN3c104HalfEfiEEvPKT1_PKT_S7_llS7_PKlS7_S7_S7_PT0_ll.num_agpr, 0
	.set _ZN2at6native12_GLOBAL__N_137compute_grad_weight_atomic_accumulateIN3c104HalfEfiEEvPKT1_PKT_S7_llS7_PKlS7_S7_S7_PT0_ll.numbered_sgpr, 28
	.set _ZN2at6native12_GLOBAL__N_137compute_grad_weight_atomic_accumulateIN3c104HalfEfiEEvPKT1_PKT_S7_llS7_PKlS7_S7_S7_PT0_ll.num_named_barrier, 0
	.set _ZN2at6native12_GLOBAL__N_137compute_grad_weight_atomic_accumulateIN3c104HalfEfiEEvPKT1_PKT_S7_llS7_PKlS7_S7_S7_PT0_ll.private_seg_size, 0
	.set _ZN2at6native12_GLOBAL__N_137compute_grad_weight_atomic_accumulateIN3c104HalfEfiEEvPKT1_PKT_S7_llS7_PKlS7_S7_S7_PT0_ll.uses_vcc, 1
	.set _ZN2at6native12_GLOBAL__N_137compute_grad_weight_atomic_accumulateIN3c104HalfEfiEEvPKT1_PKT_S7_llS7_PKlS7_S7_S7_PT0_ll.uses_flat_scratch, 0
	.set _ZN2at6native12_GLOBAL__N_137compute_grad_weight_atomic_accumulateIN3c104HalfEfiEEvPKT1_PKT_S7_llS7_PKlS7_S7_S7_PT0_ll.has_dyn_sized_stack, 0
	.set _ZN2at6native12_GLOBAL__N_137compute_grad_weight_atomic_accumulateIN3c104HalfEfiEEvPKT1_PKT_S7_llS7_PKlS7_S7_S7_PT0_ll.has_recursion, 0
	.set _ZN2at6native12_GLOBAL__N_137compute_grad_weight_atomic_accumulateIN3c104HalfEfiEEvPKT1_PKT_S7_llS7_PKlS7_S7_S7_PT0_ll.has_indirect_call, 0
	.section	.AMDGPU.csdata,"",@progbits
; Kernel info:
; codeLenInByte = 1460
; TotalNumSgprs: 30
; NumVgprs: 20
; ScratchSize: 0
; MemoryBound: 0
; FloatMode: 240
; IeeeMode: 1
; LDSByteSize: 0 bytes/workgroup (compile time only)
; SGPRBlocks: 0
; VGPRBlocks: 1
; NumSGPRsForWavesPerEU: 30
; NumVGPRsForWavesPerEU: 20
; NamedBarCnt: 0
; Occupancy: 16
; WaveLimiterHint : 1
; COMPUTE_PGM_RSRC2:SCRATCH_EN: 0
; COMPUTE_PGM_RSRC2:USER_SGPR: 2
; COMPUTE_PGM_RSRC2:TRAP_HANDLER: 0
; COMPUTE_PGM_RSRC2:TGID_X_EN: 1
; COMPUTE_PGM_RSRC2:TGID_Y_EN: 0
; COMPUTE_PGM_RSRC2:TGID_Z_EN: 0
; COMPUTE_PGM_RSRC2:TIDIG_COMP_CNT: 0
	.section	.text._ZN2at6native12_GLOBAL__N_124compute_grad_weight_bagsIN3c104HalfEiEEvPKT0_PKT_S7_S7_lliS7_SA_lS7_PKlPNS_14AccumulateTypeIS8_Lb1EE4typeEl,"axG",@progbits,_ZN2at6native12_GLOBAL__N_124compute_grad_weight_bagsIN3c104HalfEiEEvPKT0_PKT_S7_S7_lliS7_SA_lS7_PKlPNS_14AccumulateTypeIS8_Lb1EE4typeEl,comdat
	.globl	_ZN2at6native12_GLOBAL__N_124compute_grad_weight_bagsIN3c104HalfEiEEvPKT0_PKT_S7_S7_lliS7_SA_lS7_PKlPNS_14AccumulateTypeIS8_Lb1EE4typeEl ; -- Begin function _ZN2at6native12_GLOBAL__N_124compute_grad_weight_bagsIN3c104HalfEiEEvPKT0_PKT_S7_S7_lliS7_SA_lS7_PKlPNS_14AccumulateTypeIS8_Lb1EE4typeEl
	.p2align	8
	.type	_ZN2at6native12_GLOBAL__N_124compute_grad_weight_bagsIN3c104HalfEiEEvPKT0_PKT_S7_S7_lliS7_SA_lS7_PKlPNS_14AccumulateTypeIS8_Lb1EE4typeEl,@function
_ZN2at6native12_GLOBAL__N_124compute_grad_weight_bagsIN3c104HalfEiEEvPKT0_PKT_S7_S7_lliS7_SA_lS7_PKlPNS_14AccumulateTypeIS8_Lb1EE4typeEl: ; @_ZN2at6native12_GLOBAL__N_124compute_grad_weight_bagsIN3c104HalfEiEEvPKT0_PKT_S7_S7_lliS7_SA_lS7_PKlPNS_14AccumulateTypeIS8_Lb1EE4typeEl
; %bb.0:
	s_load_b32 s2, s[0:1], 0x7c
	s_bfe_u32 s3, ttmp6, 0x4000c
	s_clause 0x1
	s_load_b64 s[4:5], s[0:1], 0x68
	s_load_b128 s[20:23], s[0:1], 0x58
	s_add_co_i32 s3, s3, 1
	s_and_b32 s6, ttmp6, 15
	s_mul_i32 s3, ttmp9, s3
	s_getreg_b32 s7, hwreg(HW_REG_IB_STS2, 6, 4)
	v_mov_b32_e32 v1, 0
	s_add_co_i32 s6, s6, s3
	s_wait_kmcnt 0x0
	s_and_b32 s2, s2, 0xffff
	s_cmp_eq_u32 s7, 0
	s_cselect_b32 s3, ttmp9, s6
	s_delay_alu instid0(SALU_CYCLE_1) | instskip(SKIP_1) | instid1(VALU_DEP_1)
	v_mad_nc_u64_u32 v[2:3], s2, s3, v[0:1]
	s_mov_b32 s3, 0
	v_dual_mov_b32 v4, v1 :: v_dual_bitop2_b32 v5, s5, v3 bitop3:0x54
	s_delay_alu instid0(VALU_DEP_1) | instskip(SKIP_1) | instid1(SALU_CYCLE_1)
	v_cmp_ne_u64_e32 vcc_lo, 0, v[4:5]
                                        ; implicit-def: $vgpr4_vgpr5
	s_and_saveexec_b32 s2, vcc_lo
	s_xor_b32 s10, exec_lo, s2
	s_cbranch_execz .LBB89_2
; %bb.1:
	s_ashr_i32 s6, s5, 31
	v_dual_mov_b32 v9, v1 :: v_dual_ashrrev_i32 v4, 31, v3
	s_mov_b32 s7, s6
	v_mov_b32_e32 v15, v1
	s_add_nc_u64 s[8:9], s[4:5], s[6:7]
	s_delay_alu instid0(VALU_DEP_2) | instskip(SKIP_1) | instid1(SALU_CYCLE_1)
	v_mov_b32_e32 v5, v4
	s_xor_b64 s[8:9], s[8:9], s[6:7]
	s_cvt_f32_u32 s2, s8
	s_cvt_f32_u32 s7, s9
	s_sub_nc_u64 s[14:15], 0, s[8:9]
	v_add_nc_u64_e32 v[6:7], v[2:3], v[4:5]
	s_delay_alu instid0(SALU_CYCLE_1) | instskip(NEXT) | instid1(SALU_CYCLE_3)
	s_fmamk_f32 s2, s7, 0x4f800000, s2
	v_s_rcp_f32 s2, s2
	s_delay_alu instid0(VALU_DEP_1) | instskip(NEXT) | instid1(VALU_DEP_2)
	v_xor_b32_e32 v0, v6, v4
	v_xor_b32_e32 v8, v7, v4
	s_delay_alu instid0(TRANS32_DEP_1) | instskip(NEXT) | instid1(SALU_CYCLE_3)
	s_mul_f32 s2, s2, 0x5f7ffffc
	s_mul_f32 s7, s2, 0x2f800000
	s_delay_alu instid0(SALU_CYCLE_3) | instskip(NEXT) | instid1(SALU_CYCLE_3)
	s_trunc_f32 s7, s7
	s_fmamk_f32 s2, s7, 0xcf800000, s2
	s_cvt_u32_f32 s13, s7
	s_delay_alu instid0(SALU_CYCLE_2) | instskip(NEXT) | instid1(SALU_CYCLE_3)
	s_cvt_u32_f32 s12, s2
	s_mul_u64 s[16:17], s[14:15], s[12:13]
	s_delay_alu instid0(SALU_CYCLE_1)
	s_mul_hi_u32 s19, s12, s17
	s_mul_i32 s18, s12, s17
	s_mul_hi_u32 s2, s12, s16
	s_mul_i32 s11, s13, s16
	s_add_nc_u64 s[18:19], s[2:3], s[18:19]
	s_mul_hi_u32 s7, s13, s16
	s_mul_hi_u32 s24, s13, s17
	s_add_co_u32 s2, s18, s11
	s_add_co_ci_u32 s2, s19, s7
	s_mul_i32 s16, s13, s17
	s_add_co_ci_u32 s17, s24, 0
	s_delay_alu instid0(SALU_CYCLE_1) | instskip(NEXT) | instid1(SALU_CYCLE_1)
	s_add_nc_u64 s[16:17], s[2:3], s[16:17]
	s_add_co_u32 s12, s12, s16
	s_cselect_b32 s2, -1, 0
	s_delay_alu instid0(SALU_CYCLE_1) | instskip(SKIP_1) | instid1(SALU_CYCLE_1)
	s_cmp_lg_u32 s2, 0
	s_add_co_ci_u32 s13, s13, s17
	s_mul_u64 s[14:15], s[14:15], s[12:13]
	s_delay_alu instid0(SALU_CYCLE_1)
	s_mul_hi_u32 s17, s12, s15
	s_mul_i32 s16, s12, s15
	s_mul_hi_u32 s2, s12, s14
	s_mul_i32 s11, s13, s14
	s_add_nc_u64 s[16:17], s[2:3], s[16:17]
	s_mul_hi_u32 s7, s13, s14
	s_mul_hi_u32 s18, s13, s15
	s_add_co_u32 s2, s16, s11
	s_add_co_ci_u32 s2, s17, s7
	s_mul_i32 s14, s13, s15
	s_add_co_ci_u32 s15, s18, 0
	s_delay_alu instid0(SALU_CYCLE_1) | instskip(NEXT) | instid1(SALU_CYCLE_1)
	s_add_nc_u64 s[14:15], s[2:3], s[14:15]
	s_add_co_u32 s12, s12, s14
	s_cselect_b32 s2, -1, 0
	v_mul_hi_u32 v14, v0, s12
	s_cmp_lg_u32 s2, 0
	s_add_co_ci_u32 s2, s13, s15
	s_mov_b64 s[14:15], 0xffffffff
	v_mul_u64_e32 v[10:11], s[2:3], v[0:1]
	s_and_b64 s[14:15], s[12:13], s[14:15]
	v_mul_u64_e32 v[12:13], s[2:3], v[8:9]
	v_mul_u64_e32 v[6:7], s[14:15], v[8:9]
	s_delay_alu instid0(VALU_DEP_3) | instskip(NEXT) | instid1(VALU_DEP_1)
	v_add_nc_u64_e32 v[10:11], v[14:15], v[10:11]
	v_add_co_u32 v1, vcc_lo, v10, v6
	s_delay_alu instid0(VALU_DEP_2) | instskip(SKIP_1) | instid1(VALU_DEP_1)
	v_add_co_ci_u32_e32 v14, vcc_lo, v11, v7, vcc_lo
	v_add_co_ci_u32_e32 v13, vcc_lo, 0, v13, vcc_lo
	v_add_nc_u64_e32 v[6:7], v[14:15], v[12:13]
	s_delay_alu instid0(VALU_DEP_1) | instskip(NEXT) | instid1(VALU_DEP_1)
	v_mul_u64_e32 v[10:11], s[8:9], v[6:7]
	v_sub_nc_u32_e32 v1, v8, v11
	s_delay_alu instid0(VALU_DEP_2) | instskip(NEXT) | instid1(VALU_DEP_1)
	v_sub_co_u32 v0, vcc_lo, v0, v10
	v_sub_co_ci_u32_e64 v10, null, v8, v11, vcc_lo
	s_delay_alu instid0(VALU_DEP_3) | instskip(NEXT) | instid1(VALU_DEP_3)
	v_subrev_co_ci_u32_e64 v1, null, s9, v1, vcc_lo
	v_sub_co_u32 v5, s2, v0, s8
	s_delay_alu instid0(VALU_DEP_1) | instskip(NEXT) | instid1(VALU_DEP_2)
	v_subrev_co_ci_u32_e64 v1, null, 0, v1, s2
	v_cmp_le_u32_e32 vcc_lo, s8, v5
	v_cndmask_b32_e64 v5, 0, -1, vcc_lo
	s_delay_alu instid0(VALU_DEP_3)
	v_cmp_le_u32_e32 vcc_lo, s9, v1
	v_cndmask_b32_e64 v8, 0, -1, vcc_lo
	v_cmp_le_u32_e32 vcc_lo, s8, v0
	v_cndmask_b32_e64 v11, 0, -1, vcc_lo
	v_cmp_le_u32_e32 vcc_lo, s9, v10
	v_cndmask_b32_e64 v12, 0, -1, vcc_lo
	v_cmp_eq_u32_e32 vcc_lo, s9, v1
	v_add_nc_u64_e32 v[0:1], 2, v[6:7]
	v_cndmask_b32_e32 v5, v8, v5, vcc_lo
	v_cmp_eq_u32_e32 vcc_lo, s9, v10
	v_add_nc_u64_e32 v[8:9], 1, v[6:7]
	v_cndmask_b32_e32 v10, v12, v11, vcc_lo
	s_delay_alu instid0(VALU_DEP_4) | instskip(NEXT) | instid1(VALU_DEP_3)
	v_cmp_ne_u32_e32 vcc_lo, 0, v5
	v_cndmask_b32_e32 v1, v9, v1, vcc_lo
	s_delay_alu instid0(VALU_DEP_3) | instskip(SKIP_1) | instid1(VALU_DEP_2)
	v_cmp_ne_u32_e64 s2, 0, v10
	v_cndmask_b32_e32 v5, v8, v0, vcc_lo
	v_dual_cndmask_b32 v4, v7, v1, s2 :: v_dual_bitop2_b32 v0, s6, v4 bitop3:0x14
	s_delay_alu instid0(VALU_DEP_1) | instskip(NEXT) | instid1(VALU_DEP_2)
	v_dual_cndmask_b32 v6, v6, v5, s2 :: v_dual_mov_b32 v1, v0
	v_xor_b32_e32 v5, v4, v0
	s_delay_alu instid0(VALU_DEP_2) | instskip(NEXT) | instid1(VALU_DEP_1)
	v_xor_b32_e32 v4, v6, v0
	v_sub_nc_u64_e32 v[4:5], v[4:5], v[0:1]
.LBB89_2:
	s_or_saveexec_b32 s2, s10
	s_load_b64 s[20:21], s[20:21], 0x0
	s_xor_b32 exec_lo, exec_lo, s2
	s_cbranch_execz .LBB89_4
; %bb.3:
	v_cvt_f32_u32_e32 v0, s4
	s_sub_co_i32 s3, 0, s4
	s_delay_alu instid0(VALU_DEP_1) | instskip(SKIP_1) | instid1(TRANS32_DEP_1)
	v_rcp_iflag_f32_e32 v0, v0
	v_nop
	v_mul_f32_e32 v0, 0x4f7ffffe, v0
	s_delay_alu instid0(VALU_DEP_1) | instskip(NEXT) | instid1(VALU_DEP_1)
	v_cvt_u32_f32_e32 v0, v0
	v_mul_lo_u32 v1, s3, v0
	s_delay_alu instid0(VALU_DEP_1) | instskip(NEXT) | instid1(VALU_DEP_1)
	v_mul_hi_u32 v1, v0, v1
	v_add_nc_u32_e32 v0, v0, v1
	s_delay_alu instid0(VALU_DEP_1) | instskip(NEXT) | instid1(VALU_DEP_1)
	v_mul_hi_u32 v0, v2, v0
	v_mul_lo_u32 v1, v0, s4
	s_delay_alu instid0(VALU_DEP_1) | instskip(NEXT) | instid1(VALU_DEP_1)
	v_sub_nc_u32_e32 v1, v2, v1
	v_subrev_nc_u32_e32 v5, s4, v1
	v_cmp_le_u32_e32 vcc_lo, s4, v1
	s_delay_alu instid0(VALU_DEP_2) | instskip(NEXT) | instid1(VALU_DEP_1)
	v_dual_cndmask_b32 v1, v1, v5 :: v_dual_add_nc_u32 v4, 1, v0
	v_dual_cndmask_b32 v0, v0, v4 :: v_dual_mov_b32 v5, 0
	s_delay_alu instid0(VALU_DEP_2) | instskip(NEXT) | instid1(VALU_DEP_2)
	v_cmp_le_u32_e32 vcc_lo, s4, v1
	v_add_nc_u32_e32 v4, 1, v0
	s_delay_alu instid0(VALU_DEP_1)
	v_cndmask_b32_e32 v4, v0, v4, vcc_lo
.LBB89_4:
	s_or_b32 exec_lo, exec_lo, s2
	s_delay_alu instid0(VALU_DEP_1) | instskip(SKIP_3) | instid1(VALU_DEP_2)
	v_mul_u64_e32 v[0:1], s[4:5], v[4:5]
	s_load_b128 s[24:27], s[0:1], 0x20
	s_wait_kmcnt 0x0
	v_cmp_gt_i64_e64 s2, s[20:21], v[4:5]
	v_sub_nc_u64_e32 v[0:1], v[2:3], v[0:1]
	s_delay_alu instid0(VALU_DEP_1) | instskip(SKIP_1) | instid1(SALU_CYCLE_1)
	v_cmp_gt_i64_e32 vcc_lo, s[26:27], v[0:1]
	s_and_b32 s2, vcc_lo, s2
	s_and_saveexec_b32 s3, s2
	s_cbranch_execz .LBB89_20
; %bb.5:
	s_clause 0x1
	s_load_b256 s[4:11], s[0:1], 0x38
	s_load_b256 s[12:19], s[0:1], 0x0
	s_add_nc_u64 s[2:3], s[20:21], -1
                                        ; implicit-def: $vgpr14
	s_delay_alu instid0(SALU_CYCLE_1)
	v_cmp_ne_u64_e32 vcc_lo, s[2:3], v[4:5]
	s_wait_kmcnt 0x0
	v_lshl_add_u64 v[6:7], v[4:5], 2, s[10:11]
	global_load_b32 v2, v[6:7], off
	s_wait_xcnt 0x0
	s_and_saveexec_b32 s2, vcc_lo
	s_delay_alu instid0(SALU_CYCLE_1)
	s_xor_b32 s2, exec_lo, s2
	s_cbranch_execz .LBB89_7
; %bb.6:
	global_load_b32 v14, v[6:7], off offset:4
.LBB89_7:
	s_wait_xcnt 0x0
	s_and_not1_saveexec_b32 s2, s2
	s_cbranch_execz .LBB89_9
; %bb.8:
	s_wait_loadcnt 0x0
	v_mov_b32_e32 v14, s24
.LBB89_9:
	s_or_b32 exec_lo, exec_lo, s2
	v_mov_b32_e32 v3, 0
	s_mov_b32 s2, exec_lo
	s_wait_loadcnt 0x0
	v_cmpx_lt_i32_e64 v2, v14
	s_cbranch_execz .LBB89_19
; %bb.10:
	s_load_b32 s3, s[0:1], 0x30
	v_ashrrev_i32_e32 v3, 31, v2
	s_cmp_lg_u64 s[18:19], 0
	v_lshl_add_u64 v[6:7], v[0:1], 1, s[14:15]
	s_wait_xcnt 0x0
	s_cselect_b32 s0, -1, 0
	s_cmp_lg_u64 s[6:7], 0
	v_lshlrev_b64_e32 v[10:11], 2, v[2:3]
	v_mov_b32_e32 v3, 0
	s_cselect_b32 s1, -1, 0
	s_mov_b32 s10, 0
	s_delay_alu instid0(VALU_DEP_2)
	v_add_nc_u64_e32 v[8:9], s[12:13], v[10:11]
	v_add_nc_u64_e32 v[10:11], s[18:19], v[10:11]
	s_wait_kmcnt 0x0
	s_cmp_lg_u32 s3, 0
	s_cselect_b32 s3, -1, 0
	s_branch .LBB89_12
.LBB89_11:                              ;   in Loop: Header=BB89_12 Depth=1
	s_delay_alu instid0(VALU_DEP_1) | instskip(SKIP_2) | instid1(VALU_DEP_3)
	v_dual_fmac_f32 v3, v15, v12 :: v_dual_add_nc_u32 v2, 1, v2
	v_add_nc_u64_e32 v[8:9], 4, v[8:9]
	v_add_nc_u64_e32 v[10:11], 4, v[10:11]
	v_cmp_ge_i32_e32 vcc_lo, v2, v14
	s_or_b32 s10, vcc_lo, s10
	s_delay_alu instid0(SALU_CYCLE_1)
	s_and_not1_b32 exec_lo, exec_lo, s10
	s_cbranch_execz .LBB89_18
.LBB89_12:                              ; =>This Inner Loop Header: Depth=1
	global_load_b32 v12, v[8:9], off
	s_and_not1_b32 vcc_lo, exec_lo, s0
	s_wait_loadcnt 0x0
	global_load_b32 v16, v12, s[16:17] scale_offset
	s_cbranch_vccnz .LBB89_17
; %bb.13:                               ;   in Loop: Header=BB89_12 Depth=1
	global_load_b32 v13, v[10:11], off
	s_wait_loadcnt 0x0
	v_cvt_f64_i32_e32 v[18:19], v13
	s_delay_alu instid0(VALU_DEP_1) | instskip(NEXT) | instid1(VALU_DEP_1)
	v_div_scale_f64 v[20:21], null, v[18:19], v[18:19], 1.0
	v_rcp_f64_e32 v[22:23], v[20:21]
	v_nop
	s_delay_alu instid0(TRANS32_DEP_1) | instskip(NEXT) | instid1(VALU_DEP_1)
	v_fma_f64 v[24:25], -v[20:21], v[22:23], 1.0
	v_fmac_f64_e32 v[22:23], v[22:23], v[24:25]
	s_delay_alu instid0(VALU_DEP_1) | instskip(NEXT) | instid1(VALU_DEP_1)
	v_fma_f64 v[24:25], -v[20:21], v[22:23], 1.0
	v_fmac_f64_e32 v[22:23], v[22:23], v[24:25]
	v_div_scale_f64 v[24:25], vcc_lo, 1.0, v[18:19], 1.0
	s_delay_alu instid0(VALU_DEP_1) | instskip(NEXT) | instid1(VALU_DEP_1)
	v_mul_f64_e32 v[26:27], v[24:25], v[22:23]
	v_fma_f64 v[20:21], -v[20:21], v[26:27], v[24:25]
	s_delay_alu instid0(VALU_DEP_1) | instskip(NEXT) | instid1(VALU_DEP_1)
	v_div_fmas_f64 v[20:21], v[20:21], v[22:23], v[26:27]
	v_div_fixup_f64 v[18:19], v[20:21], v[18:19], 1.0
	s_delay_alu instid0(VALU_DEP_1)
	v_cvt_f32_f64_e32 v15, v[18:19]
	s_and_not1_b32 vcc_lo, exec_lo, s1
	s_cbranch_vccnz .LBB89_15
.LBB89_14:                              ;   in Loop: Header=BB89_12 Depth=1
	v_ashrrev_i32_e32 v13, 31, v12
	s_wait_xcnt 0x0
	s_delay_alu instid0(VALU_DEP_1) | instskip(NEXT) | instid1(VALU_DEP_1)
	v_mul_u64_e32 v[12:13], s[8:9], v[12:13]
	v_lshl_add_u64 v[12:13], v[12:13], 1, s[6:7]
	global_load_u16 v12, v[12:13], off
	s_wait_loadcnt 0x0
	v_cvt_f32_f16_e32 v12, v12
	s_delay_alu instid0(VALU_DEP_1)
	v_mul_f32_e32 v15, v15, v12
.LBB89_15:                              ;   in Loop: Header=BB89_12 Depth=1
	s_wait_loadcnt 0x0
	v_mul_lo_u32 v12, v16, s26
	s_and_not1_b32 vcc_lo, exec_lo, s3
	s_delay_alu instid0(VALU_DEP_1) | instskip(NEXT) | instid1(VALU_DEP_1)
	v_ashrrev_i32_e32 v13, 31, v12
	v_lshl_add_u64 v[12:13], v[12:13], 1, v[6:7]
	global_load_u16 v12, v[12:13], off
	s_wait_loadcnt 0x0
	v_cvt_f32_f16_e32 v12, v12
	s_cbranch_vccnz .LBB89_11
; %bb.16:                               ;   in Loop: Header=BB89_12 Depth=1
	global_load_b32 v13, v16, s[4:5] scale_offset
	s_wait_loadcnt 0x0
	v_cvt_f32_i32_e32 v13, v13
	s_delay_alu instid0(VALU_DEP_1) | instskip(NEXT) | instid1(VALU_DEP_1)
	v_div_scale_f32 v16, null, v13, v13, v12
	v_rcp_f32_e32 v17, v16
	v_nop
	s_delay_alu instid0(TRANS32_DEP_1) | instskip(NEXT) | instid1(VALU_DEP_1)
	v_fma_f32 v18, -v16, v17, 1.0
	v_fmac_f32_e32 v17, v18, v17
	v_div_scale_f32 v18, vcc_lo, v12, v13, v12
	s_delay_alu instid0(VALU_DEP_1) | instskip(NEXT) | instid1(VALU_DEP_1)
	v_mul_f32_e32 v19, v18, v17
	v_fma_f32 v20, -v16, v19, v18
	s_delay_alu instid0(VALU_DEP_1) | instskip(NEXT) | instid1(VALU_DEP_1)
	v_fmac_f32_e32 v19, v20, v17
	v_fma_f32 v16, -v16, v19, v18
	s_delay_alu instid0(VALU_DEP_1) | instskip(NEXT) | instid1(VALU_DEP_1)
	v_div_fmas_f32 v16, v16, v17, v19
	v_div_fixup_f32 v12, v16, v13, v12
	s_branch .LBB89_11
.LBB89_17:                              ;   in Loop: Header=BB89_12 Depth=1
	v_mov_b32_e32 v15, 1.0
	s_and_not1_b32 vcc_lo, exec_lo, s1
	s_cbranch_vccz .LBB89_14
	s_branch .LBB89_15
.LBB89_18:
	s_or_b32 exec_lo, exec_lo, s10
.LBB89_19:
	s_delay_alu instid0(SALU_CYCLE_1) | instskip(SKIP_1) | instid1(VALU_DEP_1)
	s_or_b32 exec_lo, exec_lo, s2
	v_mul_u64_e32 v[4:5], s[26:27], v[4:5]
	v_lshl_add_u64 v[4:5], v[4:5], 2, s[22:23]
	s_delay_alu instid0(VALU_DEP_1)
	v_lshl_add_u64 v[0:1], v[0:1], 2, v[4:5]
	global_store_b32 v[0:1], v3, off
.LBB89_20:
	s_endpgm
	.section	.rodata,"a",@progbits
	.p2align	6, 0x0
	.amdhsa_kernel _ZN2at6native12_GLOBAL__N_124compute_grad_weight_bagsIN3c104HalfEiEEvPKT0_PKT_S7_S7_lliS7_SA_lS7_PKlPNS_14AccumulateTypeIS8_Lb1EE4typeEl
		.amdhsa_group_segment_fixed_size 0
		.amdhsa_private_segment_fixed_size 0
		.amdhsa_kernarg_size 368
		.amdhsa_user_sgpr_count 2
		.amdhsa_user_sgpr_dispatch_ptr 0
		.amdhsa_user_sgpr_queue_ptr 0
		.amdhsa_user_sgpr_kernarg_segment_ptr 1
		.amdhsa_user_sgpr_dispatch_id 0
		.amdhsa_user_sgpr_kernarg_preload_length 0
		.amdhsa_user_sgpr_kernarg_preload_offset 0
		.amdhsa_user_sgpr_private_segment_size 0
		.amdhsa_wavefront_size32 1
		.amdhsa_uses_dynamic_stack 0
		.amdhsa_enable_private_segment 0
		.amdhsa_system_sgpr_workgroup_id_x 1
		.amdhsa_system_sgpr_workgroup_id_y 0
		.amdhsa_system_sgpr_workgroup_id_z 0
		.amdhsa_system_sgpr_workgroup_info 0
		.amdhsa_system_vgpr_workitem_id 0
		.amdhsa_next_free_vgpr 28
		.amdhsa_next_free_sgpr 28
		.amdhsa_named_barrier_count 0
		.amdhsa_reserve_vcc 1
		.amdhsa_float_round_mode_32 0
		.amdhsa_float_round_mode_16_64 0
		.amdhsa_float_denorm_mode_32 3
		.amdhsa_float_denorm_mode_16_64 3
		.amdhsa_fp16_overflow 0
		.amdhsa_memory_ordered 1
		.amdhsa_forward_progress 1
		.amdhsa_inst_pref_size 13
		.amdhsa_round_robin_scheduling 0
		.amdhsa_exception_fp_ieee_invalid_op 0
		.amdhsa_exception_fp_denorm_src 0
		.amdhsa_exception_fp_ieee_div_zero 0
		.amdhsa_exception_fp_ieee_overflow 0
		.amdhsa_exception_fp_ieee_underflow 0
		.amdhsa_exception_fp_ieee_inexact 0
		.amdhsa_exception_int_div_zero 0
	.end_amdhsa_kernel
	.section	.text._ZN2at6native12_GLOBAL__N_124compute_grad_weight_bagsIN3c104HalfEiEEvPKT0_PKT_S7_S7_lliS7_SA_lS7_PKlPNS_14AccumulateTypeIS8_Lb1EE4typeEl,"axG",@progbits,_ZN2at6native12_GLOBAL__N_124compute_grad_weight_bagsIN3c104HalfEiEEvPKT0_PKT_S7_S7_lliS7_SA_lS7_PKlPNS_14AccumulateTypeIS8_Lb1EE4typeEl,comdat
.Lfunc_end89:
	.size	_ZN2at6native12_GLOBAL__N_124compute_grad_weight_bagsIN3c104HalfEiEEvPKT0_PKT_S7_S7_lliS7_SA_lS7_PKlPNS_14AccumulateTypeIS8_Lb1EE4typeEl, .Lfunc_end89-_ZN2at6native12_GLOBAL__N_124compute_grad_weight_bagsIN3c104HalfEiEEvPKT0_PKT_S7_S7_lliS7_SA_lS7_PKlPNS_14AccumulateTypeIS8_Lb1EE4typeEl
                                        ; -- End function
	.set _ZN2at6native12_GLOBAL__N_124compute_grad_weight_bagsIN3c104HalfEiEEvPKT0_PKT_S7_S7_lliS7_SA_lS7_PKlPNS_14AccumulateTypeIS8_Lb1EE4typeEl.num_vgpr, 28
	.set _ZN2at6native12_GLOBAL__N_124compute_grad_weight_bagsIN3c104HalfEiEEvPKT0_PKT_S7_S7_lliS7_SA_lS7_PKlPNS_14AccumulateTypeIS8_Lb1EE4typeEl.num_agpr, 0
	.set _ZN2at6native12_GLOBAL__N_124compute_grad_weight_bagsIN3c104HalfEiEEvPKT0_PKT_S7_S7_lliS7_SA_lS7_PKlPNS_14AccumulateTypeIS8_Lb1EE4typeEl.numbered_sgpr, 28
	.set _ZN2at6native12_GLOBAL__N_124compute_grad_weight_bagsIN3c104HalfEiEEvPKT0_PKT_S7_S7_lliS7_SA_lS7_PKlPNS_14AccumulateTypeIS8_Lb1EE4typeEl.num_named_barrier, 0
	.set _ZN2at6native12_GLOBAL__N_124compute_grad_weight_bagsIN3c104HalfEiEEvPKT0_PKT_S7_S7_lliS7_SA_lS7_PKlPNS_14AccumulateTypeIS8_Lb1EE4typeEl.private_seg_size, 0
	.set _ZN2at6native12_GLOBAL__N_124compute_grad_weight_bagsIN3c104HalfEiEEvPKT0_PKT_S7_S7_lliS7_SA_lS7_PKlPNS_14AccumulateTypeIS8_Lb1EE4typeEl.uses_vcc, 1
	.set _ZN2at6native12_GLOBAL__N_124compute_grad_weight_bagsIN3c104HalfEiEEvPKT0_PKT_S7_S7_lliS7_SA_lS7_PKlPNS_14AccumulateTypeIS8_Lb1EE4typeEl.uses_flat_scratch, 0
	.set _ZN2at6native12_GLOBAL__N_124compute_grad_weight_bagsIN3c104HalfEiEEvPKT0_PKT_S7_S7_lliS7_SA_lS7_PKlPNS_14AccumulateTypeIS8_Lb1EE4typeEl.has_dyn_sized_stack, 0
	.set _ZN2at6native12_GLOBAL__N_124compute_grad_weight_bagsIN3c104HalfEiEEvPKT0_PKT_S7_S7_lliS7_SA_lS7_PKlPNS_14AccumulateTypeIS8_Lb1EE4typeEl.has_recursion, 0
	.set _ZN2at6native12_GLOBAL__N_124compute_grad_weight_bagsIN3c104HalfEiEEvPKT0_PKT_S7_S7_lliS7_SA_lS7_PKlPNS_14AccumulateTypeIS8_Lb1EE4typeEl.has_indirect_call, 0
	.section	.AMDGPU.csdata,"",@progbits
; Kernel info:
; codeLenInByte = 1624
; TotalNumSgprs: 30
; NumVgprs: 28
; ScratchSize: 0
; MemoryBound: 0
; FloatMode: 240
; IeeeMode: 1
; LDSByteSize: 0 bytes/workgroup (compile time only)
; SGPRBlocks: 0
; VGPRBlocks: 1
; NumSGPRsForWavesPerEU: 30
; NumVGPRsForWavesPerEU: 28
; NamedBarCnt: 0
; Occupancy: 16
; WaveLimiterHint : 1
; COMPUTE_PGM_RSRC2:SCRATCH_EN: 0
; COMPUTE_PGM_RSRC2:USER_SGPR: 2
; COMPUTE_PGM_RSRC2:TRAP_HANDLER: 0
; COMPUTE_PGM_RSRC2:TGID_X_EN: 1
; COMPUTE_PGM_RSRC2:TGID_Y_EN: 0
; COMPUTE_PGM_RSRC2:TGID_Z_EN: 0
; COMPUTE_PGM_RSRC2:TIDIG_COMP_CNT: 0
	.section	.text._ZN2at6native12_GLOBAL__N_119compute_grad_weightIN3c104HalfEiEEvPKT0_PKT_S7_llS7_PKlPNS_14AccumulateTypeIS8_Lb1EE4typeEl,"axG",@progbits,_ZN2at6native12_GLOBAL__N_119compute_grad_weightIN3c104HalfEiEEvPKT0_PKT_S7_llS7_PKlPNS_14AccumulateTypeIS8_Lb1EE4typeEl,comdat
	.globl	_ZN2at6native12_GLOBAL__N_119compute_grad_weightIN3c104HalfEiEEvPKT0_PKT_S7_llS7_PKlPNS_14AccumulateTypeIS8_Lb1EE4typeEl ; -- Begin function _ZN2at6native12_GLOBAL__N_119compute_grad_weightIN3c104HalfEiEEvPKT0_PKT_S7_llS7_PKlPNS_14AccumulateTypeIS8_Lb1EE4typeEl
	.p2align	8
	.type	_ZN2at6native12_GLOBAL__N_119compute_grad_weightIN3c104HalfEiEEvPKT0_PKT_S7_llS7_PKlPNS_14AccumulateTypeIS8_Lb1EE4typeEl,@function
_ZN2at6native12_GLOBAL__N_119compute_grad_weightIN3c104HalfEiEEvPKT0_PKT_S7_llS7_PKlPNS_14AccumulateTypeIS8_Lb1EE4typeEl: ; @_ZN2at6native12_GLOBAL__N_119compute_grad_weightIN3c104HalfEiEEvPKT0_PKT_S7_llS7_PKlPNS_14AccumulateTypeIS8_Lb1EE4typeEl
; %bb.0:
	s_clause 0x1
	s_load_b32 s4, s[0:1], 0x54
	s_load_b64 s[2:3], s[0:1], 0x40
	s_bfe_u32 s5, ttmp6, 0x4000c
	s_and_b32 s6, ttmp6, 15
	s_add_co_i32 s5, s5, 1
	s_getreg_b32 s7, hwreg(HW_REG_IB_STS2, 6, 4)
	s_mul_i32 s5, ttmp9, s5
	v_mov_b32_e32 v1, 0
	s_add_co_i32 s6, s6, s5
	s_wait_kmcnt 0x0
	s_and_b32 s4, s4, 0xffff
	s_cmp_eq_u32 s7, 0
	s_cselect_b32 s5, ttmp9, s6
	s_delay_alu instid0(SALU_CYCLE_1) | instskip(SKIP_3) | instid1(VALU_DEP_1)
	v_mad_nc_u64_u32 v[2:3], s4, s5, v[0:1]
	s_load_b512 s[4:19], s[0:1], 0x0
	s_wait_xcnt 0x0
	s_mov_b32 s1, 0
	v_dual_mov_b32 v4, v1 :: v_dual_bitop2_b32 v5, s3, v3 bitop3:0x54
	s_delay_alu instid0(VALU_DEP_1)
	v_cmp_ne_u64_e32 vcc_lo, 0, v[4:5]
                                        ; implicit-def: $vgpr4_vgpr5
	s_and_saveexec_b32 s0, vcc_lo
	s_wait_kmcnt 0x0
	s_xor_b32 s11, exec_lo, s0
	s_cbranch_execz .LBB90_2
; %bb.1:
	s_ashr_i32 s20, s3, 31
	v_dual_mov_b32 v9, v1 :: v_dual_ashrrev_i32 v4, 31, v3
	s_mov_b32 s21, s20
	v_mov_b32_e32 v15, v1
	s_add_nc_u64 s[22:23], s[2:3], s[20:21]
	s_delay_alu instid0(VALU_DEP_2) | instskip(SKIP_1) | instid1(SALU_CYCLE_1)
	v_mov_b32_e32 v5, v4
	s_xor_b64 s[22:23], s[22:23], s[20:21]
	s_cvt_f32_u32 s0, s22
	s_cvt_f32_u32 s21, s23
	s_sub_nc_u64 s[26:27], 0, s[22:23]
	v_add_nc_u64_e32 v[6:7], v[2:3], v[4:5]
	s_delay_alu instid0(SALU_CYCLE_1) | instskip(NEXT) | instid1(SALU_CYCLE_3)
	s_fmamk_f32 s0, s21, 0x4f800000, s0
	v_s_rcp_f32 s0, s0
	s_delay_alu instid0(VALU_DEP_1) | instskip(NEXT) | instid1(VALU_DEP_2)
	v_xor_b32_e32 v0, v6, v4
	v_xor_b32_e32 v8, v7, v4
	s_delay_alu instid0(TRANS32_DEP_1) | instskip(NEXT) | instid1(SALU_CYCLE_3)
	s_mul_f32 s0, s0, 0x5f7ffffc
	s_mul_f32 s21, s0, 0x2f800000
	s_delay_alu instid0(SALU_CYCLE_3) | instskip(NEXT) | instid1(SALU_CYCLE_3)
	s_trunc_f32 s21, s21
	s_fmamk_f32 s0, s21, 0xcf800000, s0
	s_cvt_u32_f32 s25, s21
	s_delay_alu instid0(SALU_CYCLE_2) | instskip(NEXT) | instid1(SALU_CYCLE_3)
	s_cvt_u32_f32 s24, s0
	s_mul_u64 s[28:29], s[26:27], s[24:25]
	s_delay_alu instid0(SALU_CYCLE_1)
	s_mul_hi_u32 s31, s24, s29
	s_mul_i32 s30, s24, s29
	s_mul_hi_u32 s0, s24, s28
	s_mul_i32 s33, s25, s28
	s_add_nc_u64 s[30:31], s[0:1], s[30:31]
	s_mul_hi_u32 s21, s25, s28
	s_mul_hi_u32 s34, s25, s29
	s_add_co_u32 s0, s30, s33
	s_add_co_ci_u32 s0, s31, s21
	s_mul_i32 s28, s25, s29
	s_add_co_ci_u32 s29, s34, 0
	s_delay_alu instid0(SALU_CYCLE_1) | instskip(NEXT) | instid1(SALU_CYCLE_1)
	s_add_nc_u64 s[28:29], s[0:1], s[28:29]
	s_add_co_u32 s24, s24, s28
	s_cselect_b32 s0, -1, 0
	s_delay_alu instid0(SALU_CYCLE_1) | instskip(SKIP_1) | instid1(SALU_CYCLE_1)
	s_cmp_lg_u32 s0, 0
	s_add_co_ci_u32 s25, s25, s29
	s_mul_u64 s[26:27], s[26:27], s[24:25]
	s_delay_alu instid0(SALU_CYCLE_1)
	s_mul_hi_u32 s29, s24, s27
	s_mul_i32 s28, s24, s27
	s_mul_hi_u32 s0, s24, s26
	s_mul_i32 s30, s25, s26
	s_add_nc_u64 s[28:29], s[0:1], s[28:29]
	s_mul_hi_u32 s21, s25, s26
	s_mul_hi_u32 s31, s25, s27
	s_add_co_u32 s0, s28, s30
	s_add_co_ci_u32 s0, s29, s21
	s_mul_i32 s26, s25, s27
	s_add_co_ci_u32 s27, s31, 0
	s_delay_alu instid0(SALU_CYCLE_1) | instskip(NEXT) | instid1(SALU_CYCLE_1)
	s_add_nc_u64 s[26:27], s[0:1], s[26:27]
	s_add_co_u32 s24, s24, s26
	s_cselect_b32 s0, -1, 0
	v_mul_hi_u32 v14, v0, s24
	s_cmp_lg_u32 s0, 0
	s_add_co_ci_u32 s0, s25, s27
	s_mov_b64 s[26:27], 0xffffffff
	v_mul_u64_e32 v[10:11], s[0:1], v[0:1]
	s_and_b64 s[26:27], s[24:25], s[26:27]
	v_mul_u64_e32 v[12:13], s[0:1], v[8:9]
	v_mul_u64_e32 v[6:7], s[26:27], v[8:9]
	s_delay_alu instid0(VALU_DEP_3) | instskip(NEXT) | instid1(VALU_DEP_1)
	v_add_nc_u64_e32 v[10:11], v[14:15], v[10:11]
	v_add_co_u32 v1, vcc_lo, v10, v6
	s_delay_alu instid0(VALU_DEP_2) | instskip(SKIP_1) | instid1(VALU_DEP_1)
	v_add_co_ci_u32_e32 v14, vcc_lo, v11, v7, vcc_lo
	v_add_co_ci_u32_e32 v13, vcc_lo, 0, v13, vcc_lo
	v_add_nc_u64_e32 v[6:7], v[14:15], v[12:13]
	s_delay_alu instid0(VALU_DEP_1) | instskip(NEXT) | instid1(VALU_DEP_1)
	v_mul_u64_e32 v[10:11], s[22:23], v[6:7]
	v_sub_nc_u32_e32 v1, v8, v11
	s_delay_alu instid0(VALU_DEP_2) | instskip(NEXT) | instid1(VALU_DEP_1)
	v_sub_co_u32 v0, vcc_lo, v0, v10
	v_sub_co_ci_u32_e64 v10, null, v8, v11, vcc_lo
	s_delay_alu instid0(VALU_DEP_3) | instskip(NEXT) | instid1(VALU_DEP_3)
	v_subrev_co_ci_u32_e64 v1, null, s23, v1, vcc_lo
	v_sub_co_u32 v5, s0, v0, s22
	s_delay_alu instid0(VALU_DEP_1) | instskip(NEXT) | instid1(VALU_DEP_2)
	v_subrev_co_ci_u32_e64 v1, null, 0, v1, s0
	v_cmp_le_u32_e32 vcc_lo, s22, v5
	v_cndmask_b32_e64 v5, 0, -1, vcc_lo
	s_delay_alu instid0(VALU_DEP_3)
	v_cmp_le_u32_e32 vcc_lo, s23, v1
	v_cndmask_b32_e64 v8, 0, -1, vcc_lo
	v_cmp_le_u32_e32 vcc_lo, s22, v0
	v_cndmask_b32_e64 v11, 0, -1, vcc_lo
	;; [unrolled: 2-line block ×3, first 2 shown]
	v_cmp_eq_u32_e32 vcc_lo, s23, v1
	v_add_nc_u64_e32 v[0:1], 2, v[6:7]
	v_cndmask_b32_e32 v5, v8, v5, vcc_lo
	v_cmp_eq_u32_e32 vcc_lo, s23, v10
	v_add_nc_u64_e32 v[8:9], 1, v[6:7]
	v_cndmask_b32_e32 v10, v12, v11, vcc_lo
	s_delay_alu instid0(VALU_DEP_4) | instskip(NEXT) | instid1(VALU_DEP_3)
	v_cmp_ne_u32_e32 vcc_lo, 0, v5
	v_cndmask_b32_e32 v1, v9, v1, vcc_lo
	s_delay_alu instid0(VALU_DEP_3) | instskip(SKIP_1) | instid1(VALU_DEP_2)
	v_cmp_ne_u32_e64 s0, 0, v10
	v_cndmask_b32_e32 v5, v8, v0, vcc_lo
	v_dual_cndmask_b32 v4, v7, v1, s0 :: v_dual_bitop2_b32 v0, s20, v4 bitop3:0x14
	s_delay_alu instid0(VALU_DEP_1) | instskip(NEXT) | instid1(VALU_DEP_2)
	v_dual_cndmask_b32 v6, v6, v5, s0 :: v_dual_mov_b32 v1, v0
	v_xor_b32_e32 v5, v4, v0
	s_delay_alu instid0(VALU_DEP_2) | instskip(NEXT) | instid1(VALU_DEP_1)
	v_xor_b32_e32 v4, v6, v0
	v_sub_nc_u64_e32 v[4:5], v[4:5], v[0:1]
.LBB90_2:
	s_or_saveexec_b32 s0, s11
	s_load_b64 s[16:17], s[16:17], 0x0
	s_xor_b32 exec_lo, exec_lo, s0
	s_cbranch_execz .LBB90_4
; %bb.3:
	v_cvt_f32_u32_e32 v0, s2
	s_sub_co_i32 s1, 0, s2
	s_delay_alu instid0(VALU_DEP_1) | instskip(SKIP_1) | instid1(TRANS32_DEP_1)
	v_rcp_iflag_f32_e32 v0, v0
	v_nop
	v_mul_f32_e32 v0, 0x4f7ffffe, v0
	s_delay_alu instid0(VALU_DEP_1) | instskip(NEXT) | instid1(VALU_DEP_1)
	v_cvt_u32_f32_e32 v0, v0
	v_mul_lo_u32 v1, s1, v0
	s_delay_alu instid0(VALU_DEP_1) | instskip(NEXT) | instid1(VALU_DEP_1)
	v_mul_hi_u32 v1, v0, v1
	v_add_nc_u32_e32 v0, v0, v1
	s_delay_alu instid0(VALU_DEP_1) | instskip(NEXT) | instid1(VALU_DEP_1)
	v_mul_hi_u32 v0, v2, v0
	v_mul_lo_u32 v1, v0, s2
	s_delay_alu instid0(VALU_DEP_1) | instskip(NEXT) | instid1(VALU_DEP_1)
	v_sub_nc_u32_e32 v1, v2, v1
	v_subrev_nc_u32_e32 v5, s2, v1
	v_cmp_le_u32_e32 vcc_lo, s2, v1
	s_delay_alu instid0(VALU_DEP_2) | instskip(NEXT) | instid1(VALU_DEP_1)
	v_dual_cndmask_b32 v1, v1, v5 :: v_dual_add_nc_u32 v4, 1, v0
	v_dual_cndmask_b32 v0, v0, v4 :: v_dual_mov_b32 v5, 0
	s_delay_alu instid0(VALU_DEP_2) | instskip(NEXT) | instid1(VALU_DEP_2)
	v_cmp_le_u32_e32 vcc_lo, s2, v1
	v_add_nc_u32_e32 v4, 1, v0
	s_delay_alu instid0(VALU_DEP_1)
	v_cndmask_b32_e32 v4, v0, v4, vcc_lo
.LBB90_4:
	s_or_b32 exec_lo, exec_lo, s0
	s_delay_alu instid0(VALU_DEP_1) | instskip(SKIP_2) | instid1(VALU_DEP_2)
	v_mul_u64_e32 v[0:1], s[2:3], v[4:5]
	s_wait_kmcnt 0x0
	v_cmp_gt_i64_e64 s0, s[16:17], v[4:5]
	v_sub_nc_u64_e32 v[0:1], v[2:3], v[0:1]
	s_delay_alu instid0(VALU_DEP_1) | instskip(SKIP_1) | instid1(SALU_CYCLE_1)
	v_cmp_gt_i64_e32 vcc_lo, s[12:13], v[0:1]
	s_and_b32 s0, vcc_lo, s0
	s_and_saveexec_b32 s1, s0
	s_cbranch_execz .LBB90_17
; %bb.5:
	v_lshl_add_u64 v[6:7], v[4:5], 2, s[14:15]
	s_add_nc_u64 s[0:1], s[16:17], -1
                                        ; implicit-def: $vgpr14
	s_delay_alu instid0(SALU_CYCLE_1) | instskip(SKIP_3) | instid1(SALU_CYCLE_1)
	v_cmp_ne_u64_e32 vcc_lo, s[0:1], v[4:5]
	global_load_b32 v2, v[6:7], off
	s_wait_xcnt 0x0
	s_and_saveexec_b32 s0, vcc_lo
	s_xor_b32 s0, exec_lo, s0
	s_cbranch_execz .LBB90_7
; %bb.6:
	global_load_b32 v14, v[6:7], off offset:4
.LBB90_7:
	s_wait_xcnt 0x0
	s_and_not1_saveexec_b32 s0, s0
	s_cbranch_execz .LBB90_9
; %bb.8:
	s_wait_loadcnt 0x0
	v_mov_b32_e32 v14, s10
.LBB90_9:
	s_or_b32 exec_lo, exec_lo, s0
	v_mov_b32_e32 v3, 0
	s_mov_b32 s0, exec_lo
	s_wait_loadcnt 0x0
	v_cmpx_lt_i32_e64 v2, v14
	s_cbranch_execz .LBB90_16
; %bb.10:
	v_ashrrev_i32_e32 v3, 31, v2
	v_lshl_add_u64 v[6:7], v[0:1], 1, s[6:7]
	s_cmp_lg_u64 s[8:9], 0
	s_mov_b32 s2, 0
	s_cselect_b32 s1, -1, 0
	v_lshlrev_b64_e32 v[10:11], 2, v[2:3]
	v_mov_b32_e32 v3, 0
	s_delay_alu instid0(VALU_DEP_2)
	v_add_nc_u64_e32 v[8:9], s[4:5], v[10:11]
	v_add_nc_u64_e32 v[10:11], s[8:9], v[10:11]
	s_branch .LBB90_13
.LBB90_11:                              ;   in Loop: Header=BB90_13 Depth=1
	global_load_b32 v13, v[10:11], off
	s_wait_loadcnt 0x0
	v_cvt_f32_i32_e32 v13, v13
	s_delay_alu instid0(VALU_DEP_1) | instskip(NEXT) | instid1(VALU_DEP_1)
	v_div_scale_f32 v15, null, v13, v13, 1.0
	v_rcp_f32_e32 v16, v15
	v_nop
	s_delay_alu instid0(TRANS32_DEP_1) | instskip(NEXT) | instid1(VALU_DEP_1)
	v_fma_f32 v17, -v15, v16, 1.0
	v_fmac_f32_e32 v16, v17, v16
	v_div_scale_f32 v17, vcc_lo, 1.0, v13, 1.0
	s_delay_alu instid0(VALU_DEP_1) | instskip(NEXT) | instid1(VALU_DEP_1)
	v_mul_f32_e32 v18, v17, v16
	v_fma_f32 v19, -v15, v18, v17
	s_delay_alu instid0(VALU_DEP_1) | instskip(NEXT) | instid1(VALU_DEP_1)
	v_fmac_f32_e32 v18, v19, v16
	v_fma_f32 v15, -v15, v18, v17
	s_delay_alu instid0(VALU_DEP_1) | instskip(NEXT) | instid1(VALU_DEP_1)
	v_div_fmas_f32 v15, v15, v16, v18
	v_div_fixup_f32 v15, v15, v13, 1.0
.LBB90_12:                              ;   in Loop: Header=BB90_13 Depth=1
	s_wait_loadcnt 0x0
	v_dual_ashrrev_i32 v13, 31, v12 :: v_dual_add_nc_u32 v2, 1, v2
	v_add_nc_u64_e32 v[8:9], 4, v[8:9]
	v_add_nc_u64_e32 v[10:11], 4, v[10:11]
	s_delay_alu instid0(VALU_DEP_3) | instskip(NEXT) | instid1(VALU_DEP_4)
	v_mul_u64_e32 v[12:13], s[12:13], v[12:13]
	v_cmp_ge_i32_e32 vcc_lo, v2, v14
	s_or_b32 s2, vcc_lo, s2
	s_delay_alu instid0(VALU_DEP_2)
	v_lshl_add_u64 v[12:13], v[12:13], 1, v[6:7]
	global_load_u16 v12, v[12:13], off
	s_wait_loadcnt 0x0
	v_fma_mix_f32 v3, v15, v12, v3 op_sel_hi:[0,1,0]
	s_and_not1_b32 exec_lo, exec_lo, s2
	s_cbranch_execz .LBB90_15
.LBB90_13:                              ; =>This Inner Loop Header: Depth=1
	global_load_b32 v12, v[8:9], off
	s_and_not1_b32 vcc_lo, exec_lo, s1
	s_cbranch_vccz .LBB90_11
; %bb.14:                               ;   in Loop: Header=BB90_13 Depth=1
	v_mov_b32_e32 v15, 1.0
	s_branch .LBB90_12
.LBB90_15:
	s_or_b32 exec_lo, exec_lo, s2
.LBB90_16:
	s_delay_alu instid0(SALU_CYCLE_1) | instskip(SKIP_1) | instid1(VALU_DEP_1)
	s_or_b32 exec_lo, exec_lo, s0
	v_mul_u64_e32 v[4:5], s[12:13], v[4:5]
	v_lshl_add_u64 v[4:5], v[4:5], 2, s[18:19]
	s_delay_alu instid0(VALU_DEP_1)
	v_lshl_add_u64 v[0:1], v[0:1], 2, v[4:5]
	global_store_b32 v[0:1], v3, off
.LBB90_17:
	s_endpgm
	.section	.rodata,"a",@progbits
	.p2align	6, 0x0
	.amdhsa_kernel _ZN2at6native12_GLOBAL__N_119compute_grad_weightIN3c104HalfEiEEvPKT0_PKT_S7_llS7_PKlPNS_14AccumulateTypeIS8_Lb1EE4typeEl
		.amdhsa_group_segment_fixed_size 0
		.amdhsa_private_segment_fixed_size 0
		.amdhsa_kernarg_size 328
		.amdhsa_user_sgpr_count 2
		.amdhsa_user_sgpr_dispatch_ptr 0
		.amdhsa_user_sgpr_queue_ptr 0
		.amdhsa_user_sgpr_kernarg_segment_ptr 1
		.amdhsa_user_sgpr_dispatch_id 0
		.amdhsa_user_sgpr_kernarg_preload_length 0
		.amdhsa_user_sgpr_kernarg_preload_offset 0
		.amdhsa_user_sgpr_private_segment_size 0
		.amdhsa_wavefront_size32 1
		.amdhsa_uses_dynamic_stack 0
		.amdhsa_enable_private_segment 0
		.amdhsa_system_sgpr_workgroup_id_x 1
		.amdhsa_system_sgpr_workgroup_id_y 0
		.amdhsa_system_sgpr_workgroup_id_z 0
		.amdhsa_system_sgpr_workgroup_info 0
		.amdhsa_system_vgpr_workitem_id 0
		.amdhsa_next_free_vgpr 20
		.amdhsa_next_free_sgpr 35
		.amdhsa_named_barrier_count 0
		.amdhsa_reserve_vcc 1
		.amdhsa_float_round_mode_32 0
		.amdhsa_float_round_mode_16_64 0
		.amdhsa_float_denorm_mode_32 3
		.amdhsa_float_denorm_mode_16_64 3
		.amdhsa_fp16_overflow 0
		.amdhsa_memory_ordered 1
		.amdhsa_forward_progress 1
		.amdhsa_inst_pref_size 11
		.amdhsa_round_robin_scheduling 0
		.amdhsa_exception_fp_ieee_invalid_op 0
		.amdhsa_exception_fp_denorm_src 0
		.amdhsa_exception_fp_ieee_div_zero 0
		.amdhsa_exception_fp_ieee_overflow 0
		.amdhsa_exception_fp_ieee_underflow 0
		.amdhsa_exception_fp_ieee_inexact 0
		.amdhsa_exception_int_div_zero 0
	.end_amdhsa_kernel
	.section	.text._ZN2at6native12_GLOBAL__N_119compute_grad_weightIN3c104HalfEiEEvPKT0_PKT_S7_llS7_PKlPNS_14AccumulateTypeIS8_Lb1EE4typeEl,"axG",@progbits,_ZN2at6native12_GLOBAL__N_119compute_grad_weightIN3c104HalfEiEEvPKT0_PKT_S7_llS7_PKlPNS_14AccumulateTypeIS8_Lb1EE4typeEl,comdat
.Lfunc_end90:
	.size	_ZN2at6native12_GLOBAL__N_119compute_grad_weightIN3c104HalfEiEEvPKT0_PKT_S7_llS7_PKlPNS_14AccumulateTypeIS8_Lb1EE4typeEl, .Lfunc_end90-_ZN2at6native12_GLOBAL__N_119compute_grad_weightIN3c104HalfEiEEvPKT0_PKT_S7_llS7_PKlPNS_14AccumulateTypeIS8_Lb1EE4typeEl
                                        ; -- End function
	.set _ZN2at6native12_GLOBAL__N_119compute_grad_weightIN3c104HalfEiEEvPKT0_PKT_S7_llS7_PKlPNS_14AccumulateTypeIS8_Lb1EE4typeEl.num_vgpr, 20
	.set _ZN2at6native12_GLOBAL__N_119compute_grad_weightIN3c104HalfEiEEvPKT0_PKT_S7_llS7_PKlPNS_14AccumulateTypeIS8_Lb1EE4typeEl.num_agpr, 0
	.set _ZN2at6native12_GLOBAL__N_119compute_grad_weightIN3c104HalfEiEEvPKT0_PKT_S7_llS7_PKlPNS_14AccumulateTypeIS8_Lb1EE4typeEl.numbered_sgpr, 35
	.set _ZN2at6native12_GLOBAL__N_119compute_grad_weightIN3c104HalfEiEEvPKT0_PKT_S7_llS7_PKlPNS_14AccumulateTypeIS8_Lb1EE4typeEl.num_named_barrier, 0
	.set _ZN2at6native12_GLOBAL__N_119compute_grad_weightIN3c104HalfEiEEvPKT0_PKT_S7_llS7_PKlPNS_14AccumulateTypeIS8_Lb1EE4typeEl.private_seg_size, 0
	.set _ZN2at6native12_GLOBAL__N_119compute_grad_weightIN3c104HalfEiEEvPKT0_PKT_S7_llS7_PKlPNS_14AccumulateTypeIS8_Lb1EE4typeEl.uses_vcc, 1
	.set _ZN2at6native12_GLOBAL__N_119compute_grad_weightIN3c104HalfEiEEvPKT0_PKT_S7_llS7_PKlPNS_14AccumulateTypeIS8_Lb1EE4typeEl.uses_flat_scratch, 0
	.set _ZN2at6native12_GLOBAL__N_119compute_grad_weightIN3c104HalfEiEEvPKT0_PKT_S7_llS7_PKlPNS_14AccumulateTypeIS8_Lb1EE4typeEl.has_dyn_sized_stack, 0
	.set _ZN2at6native12_GLOBAL__N_119compute_grad_weightIN3c104HalfEiEEvPKT0_PKT_S7_llS7_PKlPNS_14AccumulateTypeIS8_Lb1EE4typeEl.has_recursion, 0
	.set _ZN2at6native12_GLOBAL__N_119compute_grad_weightIN3c104HalfEiEEvPKT0_PKT_S7_llS7_PKlPNS_14AccumulateTypeIS8_Lb1EE4typeEl.has_indirect_call, 0
	.section	.AMDGPU.csdata,"",@progbits
; Kernel info:
; codeLenInByte = 1340
; TotalNumSgprs: 37
; NumVgprs: 20
; ScratchSize: 0
; MemoryBound: 0
; FloatMode: 240
; IeeeMode: 1
; LDSByteSize: 0 bytes/workgroup (compile time only)
; SGPRBlocks: 0
; VGPRBlocks: 1
; NumSGPRsForWavesPerEU: 37
; NumVGPRsForWavesPerEU: 20
; NamedBarCnt: 0
; Occupancy: 16
; WaveLimiterHint : 1
; COMPUTE_PGM_RSRC2:SCRATCH_EN: 0
; COMPUTE_PGM_RSRC2:USER_SGPR: 2
; COMPUTE_PGM_RSRC2:TRAP_HANDLER: 0
; COMPUTE_PGM_RSRC2:TGID_X_EN: 1
; COMPUTE_PGM_RSRC2:TGID_Y_EN: 0
; COMPUTE_PGM_RSRC2:TGID_Z_EN: 0
; COMPUTE_PGM_RSRC2:TIDIG_COMP_CNT: 0
	.section	.text._ZN2at6native12_GLOBAL__N_115sum_and_scatterIN3c104HalfEiEEvPKT0_PT_lS7_PKlPKNS_14AccumulateTypeIS8_Lb1EE4typeES7_SB_ll,"axG",@progbits,_ZN2at6native12_GLOBAL__N_115sum_and_scatterIN3c104HalfEiEEvPKT0_PT_lS7_PKlPKNS_14AccumulateTypeIS8_Lb1EE4typeES7_SB_ll,comdat
	.globl	_ZN2at6native12_GLOBAL__N_115sum_and_scatterIN3c104HalfEiEEvPKT0_PT_lS7_PKlPKNS_14AccumulateTypeIS8_Lb1EE4typeES7_SB_ll ; -- Begin function _ZN2at6native12_GLOBAL__N_115sum_and_scatterIN3c104HalfEiEEvPKT0_PT_lS7_PKlPKNS_14AccumulateTypeIS8_Lb1EE4typeES7_SB_ll
	.p2align	8
	.type	_ZN2at6native12_GLOBAL__N_115sum_and_scatterIN3c104HalfEiEEvPKT0_PT_lS7_PKlPKNS_14AccumulateTypeIS8_Lb1EE4typeES7_SB_ll,@function
_ZN2at6native12_GLOBAL__N_115sum_and_scatterIN3c104HalfEiEEvPKT0_PT_lS7_PKlPKNS_14AccumulateTypeIS8_Lb1EE4typeES7_SB_ll: ; @_ZN2at6native12_GLOBAL__N_115sum_and_scatterIN3c104HalfEiEEvPKT0_PT_lS7_PKlPKNS_14AccumulateTypeIS8_Lb1EE4typeES7_SB_ll
; %bb.0:
	s_clause 0x1
	s_load_b32 s2, s[0:1], 0x5c
	s_load_b128 s[20:23], s[0:1], 0x40
	s_bfe_u32 s3, ttmp6, 0x4000c
	s_and_b32 s4, ttmp6, 15
	s_add_co_i32 s3, s3, 1
	s_getreg_b32 s5, hwreg(HW_REG_IB_STS2, 6, 4)
	s_mul_i32 s3, ttmp9, s3
	v_mov_b32_e32 v1, 0
	s_add_co_i32 s4, s4, s3
	s_wait_kmcnt 0x0
	s_and_b32 s2, s2, 0xffff
	s_cmp_eq_u32 s5, 0
	s_cselect_b32 s3, ttmp9, s4
	s_load_b512 s[4:19], s[0:1], 0x0
	v_mad_nc_u64_u32 v[2:3], s2, s3, v[0:1]
	s_wait_xcnt 0x0
	s_mov_b32 s1, 0
	s_delay_alu instid0(VALU_DEP_1) | instskip(NEXT) | instid1(VALU_DEP_1)
	v_dual_mov_b32 v4, v1 :: v_dual_bitop2_b32 v5, s23, v3 bitop3:0x54
	v_cmp_ne_u64_e32 vcc_lo, 0, v[4:5]
                                        ; implicit-def: $vgpr4_vgpr5
	s_and_saveexec_b32 s0, vcc_lo
	s_delay_alu instid0(SALU_CYCLE_1)
	s_xor_b32 s26, exec_lo, s0
	s_cbranch_execz .LBB91_2
; %bb.1:
	s_ashr_i32 s2, s23, 31
	v_dual_mov_b32 v9, v1 :: v_dual_ashrrev_i32 v4, 31, v3
	s_mov_b32 s3, s2
	v_mov_b32_e32 v15, v1
	s_add_nc_u64 s[24:25], s[22:23], s[2:3]
	s_delay_alu instid0(VALU_DEP_2) | instskip(SKIP_1) | instid1(SALU_CYCLE_1)
	v_mov_b32_e32 v5, v4
	s_xor_b64 s[24:25], s[24:25], s[2:3]
	s_cvt_f32_u32 s0, s24
	s_cvt_f32_u32 s3, s25
	s_sub_nc_u64 s[30:31], 0, s[24:25]
	v_add_nc_u64_e32 v[6:7], v[2:3], v[4:5]
	s_delay_alu instid0(SALU_CYCLE_1) | instskip(NEXT) | instid1(SALU_CYCLE_3)
	s_fmamk_f32 s0, s3, 0x4f800000, s0
	v_s_rcp_f32 s0, s0
	s_delay_alu instid0(VALU_DEP_1) | instskip(NEXT) | instid1(VALU_DEP_2)
	v_xor_b32_e32 v0, v6, v4
	v_xor_b32_e32 v8, v7, v4
	s_delay_alu instid0(TRANS32_DEP_1) | instskip(NEXT) | instid1(SALU_CYCLE_3)
	s_mul_f32 s0, s0, 0x5f7ffffc
	s_mul_f32 s3, s0, 0x2f800000
	s_delay_alu instid0(SALU_CYCLE_3) | instskip(NEXT) | instid1(SALU_CYCLE_3)
	s_trunc_f32 s3, s3
	s_fmamk_f32 s0, s3, 0xcf800000, s0
	s_cvt_u32_f32 s29, s3
	s_delay_alu instid0(SALU_CYCLE_2) | instskip(NEXT) | instid1(SALU_CYCLE_3)
	s_cvt_u32_f32 s28, s0
	s_mul_u64 s[34:35], s[30:31], s[28:29]
	s_delay_alu instid0(SALU_CYCLE_1)
	s_mul_hi_u32 s37, s28, s35
	s_mul_i32 s36, s28, s35
	s_mul_hi_u32 s0, s28, s34
	s_mul_i32 s27, s29, s34
	s_add_nc_u64 s[36:37], s[0:1], s[36:37]
	s_mul_hi_u32 s3, s29, s34
	s_mul_hi_u32 s33, s29, s35
	s_add_co_u32 s0, s36, s27
	s_add_co_ci_u32 s0, s37, s3
	s_mul_i32 s34, s29, s35
	s_add_co_ci_u32 s35, s33, 0
	s_delay_alu instid0(SALU_CYCLE_1) | instskip(NEXT) | instid1(SALU_CYCLE_1)
	s_add_nc_u64 s[34:35], s[0:1], s[34:35]
	s_add_co_u32 s28, s28, s34
	s_cselect_b32 s0, -1, 0
	s_delay_alu instid0(SALU_CYCLE_1) | instskip(SKIP_1) | instid1(SALU_CYCLE_1)
	s_cmp_lg_u32 s0, 0
	s_add_co_ci_u32 s29, s29, s35
	s_mul_u64 s[30:31], s[30:31], s[28:29]
	s_delay_alu instid0(SALU_CYCLE_1)
	s_mul_hi_u32 s35, s28, s31
	s_mul_i32 s34, s28, s31
	s_mul_hi_u32 s0, s28, s30
	s_mul_i32 s27, s29, s30
	s_add_nc_u64 s[34:35], s[0:1], s[34:35]
	s_mul_hi_u32 s3, s29, s30
	s_mul_hi_u32 s33, s29, s31
	s_add_co_u32 s0, s34, s27
	s_add_co_ci_u32 s0, s35, s3
	s_mul_i32 s30, s29, s31
	s_add_co_ci_u32 s31, s33, 0
	s_delay_alu instid0(SALU_CYCLE_1) | instskip(NEXT) | instid1(SALU_CYCLE_1)
	s_add_nc_u64 s[30:31], s[0:1], s[30:31]
	s_add_co_u32 s28, s28, s30
	s_cselect_b32 s0, -1, 0
	v_mul_hi_u32 v14, v0, s28
	s_cmp_lg_u32 s0, 0
	s_add_co_ci_u32 s0, s29, s31
	s_mov_b64 s[30:31], 0xffffffff
	v_mul_u64_e32 v[10:11], s[0:1], v[0:1]
	s_and_b64 s[30:31], s[28:29], s[30:31]
	v_mul_u64_e32 v[12:13], s[0:1], v[8:9]
	v_mul_u64_e32 v[6:7], s[30:31], v[8:9]
	s_delay_alu instid0(VALU_DEP_3) | instskip(NEXT) | instid1(VALU_DEP_1)
	v_add_nc_u64_e32 v[10:11], v[14:15], v[10:11]
	v_add_co_u32 v1, vcc_lo, v10, v6
	s_delay_alu instid0(VALU_DEP_2) | instskip(SKIP_1) | instid1(VALU_DEP_1)
	v_add_co_ci_u32_e32 v14, vcc_lo, v11, v7, vcc_lo
	v_add_co_ci_u32_e32 v13, vcc_lo, 0, v13, vcc_lo
	v_add_nc_u64_e32 v[6:7], v[14:15], v[12:13]
	s_delay_alu instid0(VALU_DEP_1) | instskip(NEXT) | instid1(VALU_DEP_1)
	v_mul_u64_e32 v[10:11], s[24:25], v[6:7]
	v_sub_nc_u32_e32 v1, v8, v11
	s_delay_alu instid0(VALU_DEP_2) | instskip(NEXT) | instid1(VALU_DEP_1)
	v_sub_co_u32 v0, vcc_lo, v0, v10
	v_sub_co_ci_u32_e64 v10, null, v8, v11, vcc_lo
	s_delay_alu instid0(VALU_DEP_3) | instskip(NEXT) | instid1(VALU_DEP_3)
	v_subrev_co_ci_u32_e64 v1, null, s25, v1, vcc_lo
	v_sub_co_u32 v5, s0, v0, s24
	s_delay_alu instid0(VALU_DEP_1) | instskip(NEXT) | instid1(VALU_DEP_2)
	v_subrev_co_ci_u32_e64 v1, null, 0, v1, s0
	v_cmp_le_u32_e32 vcc_lo, s24, v5
	v_cndmask_b32_e64 v5, 0, -1, vcc_lo
	s_delay_alu instid0(VALU_DEP_3)
	v_cmp_le_u32_e32 vcc_lo, s25, v1
	v_cndmask_b32_e64 v8, 0, -1, vcc_lo
	v_cmp_le_u32_e32 vcc_lo, s24, v0
	v_cndmask_b32_e64 v11, 0, -1, vcc_lo
	;; [unrolled: 2-line block ×3, first 2 shown]
	v_cmp_eq_u32_e32 vcc_lo, s25, v1
	v_add_nc_u64_e32 v[0:1], 2, v[6:7]
	v_cndmask_b32_e32 v5, v8, v5, vcc_lo
	v_cmp_eq_u32_e32 vcc_lo, s25, v10
	v_add_nc_u64_e32 v[8:9], 1, v[6:7]
	v_cndmask_b32_e32 v10, v12, v11, vcc_lo
	s_delay_alu instid0(VALU_DEP_4) | instskip(NEXT) | instid1(VALU_DEP_3)
	v_cmp_ne_u32_e32 vcc_lo, 0, v5
	v_cndmask_b32_e32 v1, v9, v1, vcc_lo
	s_delay_alu instid0(VALU_DEP_3) | instskip(SKIP_1) | instid1(VALU_DEP_2)
	v_cmp_ne_u32_e64 s0, 0, v10
	v_cndmask_b32_e32 v5, v8, v0, vcc_lo
	v_dual_cndmask_b32 v4, v7, v1, s0 :: v_dual_bitop2_b32 v0, s2, v4 bitop3:0x14
	s_delay_alu instid0(VALU_DEP_1) | instskip(NEXT) | instid1(VALU_DEP_2)
	v_dual_cndmask_b32 v6, v6, v5, s0 :: v_dual_mov_b32 v1, v0
	v_xor_b32_e32 v5, v4, v0
	s_delay_alu instid0(VALU_DEP_2) | instskip(NEXT) | instid1(VALU_DEP_1)
	v_xor_b32_e32 v4, v6, v0
	v_sub_nc_u64_e32 v[4:5], v[4:5], v[0:1]
.LBB91_2:
	s_or_saveexec_b32 s0, s26
	s_wait_kmcnt 0x0
	s_load_b64 s[2:3], s[12:13], 0x0
	s_xor_b32 exec_lo, exec_lo, s0
	s_cbranch_execz .LBB91_4
; %bb.3:
	v_cvt_f32_u32_e32 v0, s22
	s_sub_co_i32 s1, 0, s22
	s_delay_alu instid0(VALU_DEP_1) | instskip(SKIP_1) | instid1(TRANS32_DEP_1)
	v_rcp_iflag_f32_e32 v0, v0
	v_nop
	v_mul_f32_e32 v0, 0x4f7ffffe, v0
	s_delay_alu instid0(VALU_DEP_1) | instskip(NEXT) | instid1(VALU_DEP_1)
	v_cvt_u32_f32_e32 v0, v0
	v_mul_lo_u32 v1, s1, v0
	s_delay_alu instid0(VALU_DEP_1) | instskip(NEXT) | instid1(VALU_DEP_1)
	v_mul_hi_u32 v1, v0, v1
	v_add_nc_u32_e32 v0, v0, v1
	s_delay_alu instid0(VALU_DEP_1) | instskip(NEXT) | instid1(VALU_DEP_1)
	v_mul_hi_u32 v0, v2, v0
	v_mul_lo_u32 v1, v0, s22
	s_delay_alu instid0(VALU_DEP_1) | instskip(NEXT) | instid1(VALU_DEP_1)
	v_sub_nc_u32_e32 v1, v2, v1
	v_subrev_nc_u32_e32 v5, s22, v1
	v_cmp_le_u32_e32 vcc_lo, s22, v1
	s_delay_alu instid0(VALU_DEP_2) | instskip(NEXT) | instid1(VALU_DEP_1)
	v_dual_cndmask_b32 v1, v1, v5 :: v_dual_add_nc_u32 v4, 1, v0
	v_dual_cndmask_b32 v0, v0, v4 :: v_dual_mov_b32 v5, 0
	s_delay_alu instid0(VALU_DEP_2) | instskip(NEXT) | instid1(VALU_DEP_2)
	v_cmp_le_u32_e32 vcc_lo, s22, v1
	v_add_nc_u32_e32 v4, 1, v0
	s_delay_alu instid0(VALU_DEP_1)
	v_cndmask_b32_e32 v4, v0, v4, vcc_lo
.LBB91_4:
	s_or_b32 exec_lo, exec_lo, s0
	s_delay_alu instid0(VALU_DEP_1) | instskip(SKIP_2) | instid1(VALU_DEP_2)
	v_mul_u64_e32 v[8:9], s[22:23], v[4:5]
	s_wait_kmcnt 0x0
	v_cmp_gt_i64_e64 s0, s[2:3], v[4:5]
	v_sub_nc_u64_e32 v[0:1], v[2:3], v[8:9]
	s_delay_alu instid0(VALU_DEP_1) | instskip(SKIP_1) | instid1(SALU_CYCLE_1)
	v_cmp_gt_i64_e32 vcc_lo, s[8:9], v[0:1]
	s_and_b32 s0, vcc_lo, s0
	s_and_saveexec_b32 s1, s0
	s_cbranch_execz .LBB91_13
; %bb.5:
	v_lshl_add_u64 v[10:11], v[4:5], 2, s[16:17]
	s_load_b64 s[0:1], s[18:19], 0x0
	s_add_nc_u64 s[2:3], s[2:3], -1
	global_load_b32 v6, v[10:11], off
	s_wait_kmcnt 0x0
	v_mov_b32_e32 v12, s0
	s_mov_b32 s0, exec_lo
	s_wait_xcnt 0x0
	v_cmpx_ne_u64_e64 s[2:3], v[4:5]
	s_xor_b32 s0, exec_lo, s0
	s_cbranch_execz .LBB91_7
; %bb.6:
	global_load_b32 v12, v[10:11], off offset:4
.LBB91_7:
	s_wait_xcnt 0x0
	s_and_not1_saveexec_b32 s0, s0
	s_delay_alu instid0(SALU_CYCLE_1)
	s_or_b32 exec_lo, exec_lo, s0
	v_mov_b32_e32 v7, 0
	s_mov_b32 s2, exec_lo
	s_wait_loadcnt 0x0
	v_cmpx_lt_i32_e64 v6, v12
	s_cbranch_execz .LBB91_11
; %bb.8:
	v_ashrrev_i32_e32 v7, 31, v6
	v_lshlrev_b64_e32 v[2:3], 2, v[2:3]
	v_lshlrev_b64_e32 v[8:9], 2, v[8:9]
	s_lshl_b64 s[0:1], s[8:9], 2
	s_mov_b32 s3, 0
	v_mul_u64_e32 v[10:11], s[8:9], v[6:7]
	v_mov_b32_e32 v7, 0
	s_delay_alu instid0(VALU_DEP_2) | instskip(NEXT) | instid1(VALU_DEP_1)
	v_lshl_add_u64 v[2:3], v[10:11], 2, v[2:3]
	v_sub_nc_u64_e32 v[2:3], v[2:3], v[8:9]
	s_delay_alu instid0(VALU_DEP_1)
	v_add_nc_u64_e32 v[2:3], s[14:15], v[2:3]
.LBB91_9:                               ; =>This Inner Loop Header: Depth=1
	global_load_b32 v8, v[2:3], off
	v_add_nc_u32_e32 v6, 1, v6
	s_wait_xcnt 0x0
	v_add_nc_u64_e32 v[2:3], s[0:1], v[2:3]
	s_wait_loadcnt 0x0
	v_add_f32_e32 v7, v7, v8
	v_cmp_ge_i32_e32 vcc_lo, v6, v12
	s_or_b32 s3, vcc_lo, s3
	s_delay_alu instid0(SALU_CYCLE_1)
	s_and_not1_b32 exec_lo, exec_lo, s3
	s_cbranch_execnz .LBB91_9
; %bb.10:
	s_or_b32 exec_lo, exec_lo, s3
	v_cvt_f16_f32_e32 v7, v7
.LBB91_11:
	s_or_b32 exec_lo, exec_lo, s2
	v_lshl_add_u64 v[2:3], v[4:5], 2, s[10:11]
	global_load_b32 v2, v[2:3], off
	s_wait_loadcnt 0x0
	global_load_b32 v2, v2, s[4:5] scale_offset
	s_wait_loadcnt 0x0
	v_ashrrev_i32_e32 v3, 31, v2
	s_delay_alu instid0(VALU_DEP_1)
	v_cmp_ne_u64_e32 vcc_lo, s[20:21], v[2:3]
	s_and_b32 exec_lo, exec_lo, vcc_lo
	s_cbranch_execz .LBB91_13
; %bb.12:
	v_mul_u64_e32 v[2:3], s[8:9], v[2:3]
	s_delay_alu instid0(VALU_DEP_1) | instskip(NEXT) | instid1(VALU_DEP_1)
	v_lshl_add_u64 v[2:3], v[2:3], 1, s[6:7]
	v_lshl_add_u64 v[0:1], v[0:1], 1, v[2:3]
	global_store_b16 v[0:1], v7, off
.LBB91_13:
	s_endpgm
	.section	.rodata,"a",@progbits
	.p2align	6, 0x0
	.amdhsa_kernel _ZN2at6native12_GLOBAL__N_115sum_and_scatterIN3c104HalfEiEEvPKT0_PT_lS7_PKlPKNS_14AccumulateTypeIS8_Lb1EE4typeES7_SB_ll
		.amdhsa_group_segment_fixed_size 0
		.amdhsa_private_segment_fixed_size 0
		.amdhsa_kernarg_size 336
		.amdhsa_user_sgpr_count 2
		.amdhsa_user_sgpr_dispatch_ptr 0
		.amdhsa_user_sgpr_queue_ptr 0
		.amdhsa_user_sgpr_kernarg_segment_ptr 1
		.amdhsa_user_sgpr_dispatch_id 0
		.amdhsa_user_sgpr_kernarg_preload_length 0
		.amdhsa_user_sgpr_kernarg_preload_offset 0
		.amdhsa_user_sgpr_private_segment_size 0
		.amdhsa_wavefront_size32 1
		.amdhsa_uses_dynamic_stack 0
		.amdhsa_enable_private_segment 0
		.amdhsa_system_sgpr_workgroup_id_x 1
		.amdhsa_system_sgpr_workgroup_id_y 0
		.amdhsa_system_sgpr_workgroup_id_z 0
		.amdhsa_system_sgpr_workgroup_info 0
		.amdhsa_system_vgpr_workitem_id 0
		.amdhsa_next_free_vgpr 16
		.amdhsa_next_free_sgpr 38
		.amdhsa_named_barrier_count 0
		.amdhsa_reserve_vcc 1
		.amdhsa_float_round_mode_32 0
		.amdhsa_float_round_mode_16_64 0
		.amdhsa_float_denorm_mode_32 3
		.amdhsa_float_denorm_mode_16_64 3
		.amdhsa_fp16_overflow 0
		.amdhsa_memory_ordered 1
		.amdhsa_forward_progress 1
		.amdhsa_inst_pref_size 10
		.amdhsa_round_robin_scheduling 0
		.amdhsa_exception_fp_ieee_invalid_op 0
		.amdhsa_exception_fp_denorm_src 0
		.amdhsa_exception_fp_ieee_div_zero 0
		.amdhsa_exception_fp_ieee_overflow 0
		.amdhsa_exception_fp_ieee_underflow 0
		.amdhsa_exception_fp_ieee_inexact 0
		.amdhsa_exception_int_div_zero 0
	.end_amdhsa_kernel
	.section	.text._ZN2at6native12_GLOBAL__N_115sum_and_scatterIN3c104HalfEiEEvPKT0_PT_lS7_PKlPKNS_14AccumulateTypeIS8_Lb1EE4typeES7_SB_ll,"axG",@progbits,_ZN2at6native12_GLOBAL__N_115sum_and_scatterIN3c104HalfEiEEvPKT0_PT_lS7_PKlPKNS_14AccumulateTypeIS8_Lb1EE4typeES7_SB_ll,comdat
.Lfunc_end91:
	.size	_ZN2at6native12_GLOBAL__N_115sum_and_scatterIN3c104HalfEiEEvPKT0_PT_lS7_PKlPKNS_14AccumulateTypeIS8_Lb1EE4typeES7_SB_ll, .Lfunc_end91-_ZN2at6native12_GLOBAL__N_115sum_and_scatterIN3c104HalfEiEEvPKT0_PT_lS7_PKlPKNS_14AccumulateTypeIS8_Lb1EE4typeES7_SB_ll
                                        ; -- End function
	.set _ZN2at6native12_GLOBAL__N_115sum_and_scatterIN3c104HalfEiEEvPKT0_PT_lS7_PKlPKNS_14AccumulateTypeIS8_Lb1EE4typeES7_SB_ll.num_vgpr, 16
	.set _ZN2at6native12_GLOBAL__N_115sum_and_scatterIN3c104HalfEiEEvPKT0_PT_lS7_PKlPKNS_14AccumulateTypeIS8_Lb1EE4typeES7_SB_ll.num_agpr, 0
	.set _ZN2at6native12_GLOBAL__N_115sum_and_scatterIN3c104HalfEiEEvPKT0_PT_lS7_PKlPKNS_14AccumulateTypeIS8_Lb1EE4typeES7_SB_ll.numbered_sgpr, 38
	.set _ZN2at6native12_GLOBAL__N_115sum_and_scatterIN3c104HalfEiEEvPKT0_PT_lS7_PKlPKNS_14AccumulateTypeIS8_Lb1EE4typeES7_SB_ll.num_named_barrier, 0
	.set _ZN2at6native12_GLOBAL__N_115sum_and_scatterIN3c104HalfEiEEvPKT0_PT_lS7_PKlPKNS_14AccumulateTypeIS8_Lb1EE4typeES7_SB_ll.private_seg_size, 0
	.set _ZN2at6native12_GLOBAL__N_115sum_and_scatterIN3c104HalfEiEEvPKT0_PT_lS7_PKlPKNS_14AccumulateTypeIS8_Lb1EE4typeES7_SB_ll.uses_vcc, 1
	.set _ZN2at6native12_GLOBAL__N_115sum_and_scatterIN3c104HalfEiEEvPKT0_PT_lS7_PKlPKNS_14AccumulateTypeIS8_Lb1EE4typeES7_SB_ll.uses_flat_scratch, 0
	.set _ZN2at6native12_GLOBAL__N_115sum_and_scatterIN3c104HalfEiEEvPKT0_PT_lS7_PKlPKNS_14AccumulateTypeIS8_Lb1EE4typeES7_SB_ll.has_dyn_sized_stack, 0
	.set _ZN2at6native12_GLOBAL__N_115sum_and_scatterIN3c104HalfEiEEvPKT0_PT_lS7_PKlPKNS_14AccumulateTypeIS8_Lb1EE4typeES7_SB_ll.has_recursion, 0
	.set _ZN2at6native12_GLOBAL__N_115sum_and_scatterIN3c104HalfEiEEvPKT0_PT_lS7_PKlPKNS_14AccumulateTypeIS8_Lb1EE4typeES7_SB_ll.has_indirect_call, 0
	.section	.AMDGPU.csdata,"",@progbits
; Kernel info:
; codeLenInByte = 1236
; TotalNumSgprs: 40
; NumVgprs: 16
; ScratchSize: 0
; MemoryBound: 0
; FloatMode: 240
; IeeeMode: 1
; LDSByteSize: 0 bytes/workgroup (compile time only)
; SGPRBlocks: 0
; VGPRBlocks: 0
; NumSGPRsForWavesPerEU: 40
; NumVGPRsForWavesPerEU: 16
; NamedBarCnt: 0
; Occupancy: 16
; WaveLimiterHint : 1
; COMPUTE_PGM_RSRC2:SCRATCH_EN: 0
; COMPUTE_PGM_RSRC2:USER_SGPR: 2
; COMPUTE_PGM_RSRC2:TRAP_HANDLER: 0
; COMPUTE_PGM_RSRC2:TGID_X_EN: 1
; COMPUTE_PGM_RSRC2:TGID_Y_EN: 0
; COMPUTE_PGM_RSRC2:TGID_Z_EN: 0
; COMPUTE_PGM_RSRC2:TIDIG_COMP_CNT: 0
	.section	.text._ZN2at6native12_GLOBAL__N_137compute_grad_weight_atomic_accumulateIN3c108BFloat16EfiEEvPKT1_PKT_S7_llS7_PKlS7_S7_S7_PT0_ll,"axG",@progbits,_ZN2at6native12_GLOBAL__N_137compute_grad_weight_atomic_accumulateIN3c108BFloat16EfiEEvPKT1_PKT_S7_llS7_PKlS7_S7_S7_PT0_ll,comdat
	.globl	_ZN2at6native12_GLOBAL__N_137compute_grad_weight_atomic_accumulateIN3c108BFloat16EfiEEvPKT1_PKT_S7_llS7_PKlS7_S7_S7_PT0_ll ; -- Begin function _ZN2at6native12_GLOBAL__N_137compute_grad_weight_atomic_accumulateIN3c108BFloat16EfiEEvPKT1_PKT_S7_llS7_PKlS7_S7_S7_PT0_ll
	.p2align	8
	.type	_ZN2at6native12_GLOBAL__N_137compute_grad_weight_atomic_accumulateIN3c108BFloat16EfiEEvPKT1_PKT_S7_llS7_PKlS7_S7_S7_PT0_ll,@function
_ZN2at6native12_GLOBAL__N_137compute_grad_weight_atomic_accumulateIN3c108BFloat16EfiEEvPKT1_PKT_S7_llS7_PKlS7_S7_S7_PT0_ll: ; @_ZN2at6native12_GLOBAL__N_137compute_grad_weight_atomic_accumulateIN3c108BFloat16EfiEEvPKT1_PKT_S7_llS7_PKlS7_S7_S7_PT0_ll
; %bb.0:
	s_clause 0x1
	s_load_b32 s2, s[0:1], 0x74
	s_load_b64 s[20:21], s[0:1], 0x60
	s_bfe_u32 s3, ttmp6, 0x4000c
	s_and_b32 s4, ttmp6, 15
	s_add_co_i32 s3, s3, 1
	s_getreg_b32 s5, hwreg(HW_REG_IB_STS2, 6, 4)
	s_mul_i32 s3, ttmp9, s3
                                        ; implicit-def: $vgpr2_vgpr3
	v_mov_b32_e32 v4, 0
	s_add_co_i32 s4, s4, s3
	s_wait_kmcnt 0x0
	s_and_b32 s2, s2, 0xffff
	s_cmp_eq_u32 s5, 0
	s_cselect_b32 s3, ttmp9, s4
	s_delay_alu instid0(SALU_CYCLE_1) | instskip(SKIP_2) | instid1(VALU_DEP_1)
	v_mad_u32 v0, s3, s2, v0
	s_mov_b32 s3, 0
	s_mov_b32 s2, exec_lo
	v_ashrrev_i32_e32 v1, 31, v0
	s_delay_alu instid0(VALU_DEP_1) | instskip(NEXT) | instid1(VALU_DEP_1)
	v_or_b32_e32 v5, s21, v1
	v_cmpx_ne_u64_e32 0, v[4:5]
	s_xor_b32 s8, exec_lo, s2
	s_cbranch_execz .LBB92_2
; %bb.1:
	s_ashr_i32 s4, s21, 31
	v_dual_mov_b32 v9, v4 :: v_dual_ashrrev_i32 v2, 31, v1
	s_mov_b32 s5, s4
	v_mov_b32_e32 v11, v4
	s_add_nc_u64 s[6:7], s[20:21], s[4:5]
	s_delay_alu instid0(VALU_DEP_2)
	v_mov_b32_e32 v3, v2
	s_xor_b64 s[6:7], s[6:7], s[4:5]
	v_mov_b32_e32 v17, v4
	s_cvt_f32_u32 s2, s6
	s_cvt_f32_u32 s5, s7
	s_sub_nc_u64 s[12:13], 0, s[6:7]
	v_add_nc_u64_e32 v[6:7], v[0:1], v[2:3]
	v_mov_b32_e32 v5, v4
	s_fmamk_f32 s2, s5, 0x4f800000, s2
	s_delay_alu instid0(SALU_CYCLE_3) | instskip(NEXT) | instid1(VALU_DEP_2)
	v_s_rcp_f32 s2, s2
	v_xor_b32_e32 v8, v6, v2
	s_delay_alu instid0(VALU_DEP_3) | instskip(SKIP_1) | instid1(TRANS32_DEP_1)
	v_xor_b32_e32 v10, v7, v2
	v_xor_b32_e32 v2, s4, v2
	s_mul_f32 s2, s2, 0x5f7ffffc
	s_delay_alu instid0(SALU_CYCLE_3) | instskip(NEXT) | instid1(SALU_CYCLE_3)
	s_mul_f32 s5, s2, 0x2f800000
	s_trunc_f32 s5, s5
	s_delay_alu instid0(SALU_CYCLE_3) | instskip(SKIP_1) | instid1(SALU_CYCLE_2)
	s_fmamk_f32 s2, s5, 0xcf800000, s2
	s_cvt_u32_f32 s11, s5
	s_cvt_u32_f32 s10, s2
	s_delay_alu instid0(SALU_CYCLE_3) | instskip(NEXT) | instid1(SALU_CYCLE_1)
	s_mul_u64 s[14:15], s[12:13], s[10:11]
	s_mul_hi_u32 s17, s10, s15
	s_mul_i32 s16, s10, s15
	s_mul_hi_u32 s2, s10, s14
	s_mul_i32 s9, s11, s14
	s_add_nc_u64 s[16:17], s[2:3], s[16:17]
	s_mul_hi_u32 s5, s11, s14
	s_mul_hi_u32 s18, s11, s15
	s_add_co_u32 s2, s16, s9
	s_add_co_ci_u32 s2, s17, s5
	s_mul_i32 s14, s11, s15
	s_add_co_ci_u32 s15, s18, 0
	s_delay_alu instid0(SALU_CYCLE_1) | instskip(NEXT) | instid1(SALU_CYCLE_1)
	s_add_nc_u64 s[14:15], s[2:3], s[14:15]
	s_add_co_u32 s10, s10, s14
	s_cselect_b32 s2, -1, 0
	s_delay_alu instid0(SALU_CYCLE_1) | instskip(SKIP_1) | instid1(SALU_CYCLE_1)
	s_cmp_lg_u32 s2, 0
	s_add_co_ci_u32 s11, s11, s15
	s_mul_u64 s[12:13], s[12:13], s[10:11]
	s_delay_alu instid0(SALU_CYCLE_1)
	s_mul_hi_u32 s15, s10, s13
	s_mul_i32 s14, s10, s13
	s_mul_hi_u32 s2, s10, s12
	s_mul_i32 s9, s11, s12
	s_add_nc_u64 s[14:15], s[2:3], s[14:15]
	s_mul_hi_u32 s5, s11, s12
	s_mul_hi_u32 s16, s11, s13
	s_add_co_u32 s2, s14, s9
	s_add_co_ci_u32 s2, s15, s5
	s_mul_i32 s12, s11, s13
	s_add_co_ci_u32 s13, s16, 0
	s_delay_alu instid0(SALU_CYCLE_1) | instskip(NEXT) | instid1(SALU_CYCLE_1)
	s_add_nc_u64 s[12:13], s[2:3], s[12:13]
	s_add_co_u32 s10, s10, s12
	s_cselect_b32 s2, -1, 0
	v_mul_hi_u32 v16, v8, s10
	s_cmp_lg_u32 s2, 0
	s_add_co_ci_u32 s2, s11, s13
	s_mov_b64 s[12:13], 0xffffffff
	v_mul_u64_e32 v[12:13], s[2:3], v[8:9]
	s_and_b64 s[12:13], s[10:11], s[12:13]
	v_mul_u64_e32 v[14:15], s[2:3], v[10:11]
	v_mul_u64_e32 v[6:7], s[12:13], v[10:11]
	s_delay_alu instid0(VALU_DEP_3) | instskip(NEXT) | instid1(VALU_DEP_1)
	v_add_nc_u64_e32 v[12:13], v[16:17], v[12:13]
	v_add_co_u32 v3, vcc_lo, v12, v6
	s_delay_alu instid0(VALU_DEP_2) | instskip(SKIP_1) | instid1(VALU_DEP_1)
	v_add_co_ci_u32_e32 v4, vcc_lo, v13, v7, vcc_lo
	v_add_co_ci_u32_e32 v15, vcc_lo, 0, v15, vcc_lo
	v_add_nc_u64_e32 v[4:5], v[4:5], v[14:15]
	s_delay_alu instid0(VALU_DEP_1) | instskip(NEXT) | instid1(VALU_DEP_1)
	v_mul_u64_e32 v[6:7], s[6:7], v[4:5]
	v_sub_nc_u32_e32 v3, v10, v7
	s_delay_alu instid0(VALU_DEP_2) | instskip(NEXT) | instid1(VALU_DEP_1)
	v_sub_co_u32 v6, vcc_lo, v8, v6
	v_sub_co_ci_u32_e64 v10, null, v10, v7, vcc_lo
	s_delay_alu instid0(VALU_DEP_3) | instskip(NEXT) | instid1(VALU_DEP_3)
	v_subrev_co_ci_u32_e64 v3, null, s7, v3, vcc_lo
	v_sub_co_u32 v8, s2, v6, s6
	s_delay_alu instid0(VALU_DEP_1) | instskip(NEXT) | instid1(VALU_DEP_2)
	v_subrev_co_ci_u32_e64 v3, null, 0, v3, s2
	v_cmp_le_u32_e32 vcc_lo, s6, v8
	v_cndmask_b32_e64 v7, 0, -1, vcc_lo
	s_delay_alu instid0(VALU_DEP_3)
	v_cmp_le_u32_e32 vcc_lo, s7, v3
	v_cndmask_b32_e64 v8, 0, -1, vcc_lo
	v_cmp_le_u32_e32 vcc_lo, s6, v6
	v_cndmask_b32_e64 v11, 0, -1, vcc_lo
	;; [unrolled: 2-line block ×3, first 2 shown]
	v_cmp_eq_u32_e32 vcc_lo, s7, v3
	v_cndmask_b32_e32 v3, v8, v7, vcc_lo
	v_cmp_eq_u32_e32 vcc_lo, s7, v10
	v_add_nc_u64_e32 v[6:7], 2, v[4:5]
	v_add_nc_u64_e32 v[8:9], 1, v[4:5]
	v_cndmask_b32_e32 v10, v12, v11, vcc_lo
	v_cmp_ne_u32_e32 vcc_lo, 0, v3
	s_delay_alu instid0(VALU_DEP_2) | instskip(NEXT) | instid1(VALU_DEP_4)
	v_cmp_ne_u32_e64 s2, 0, v10
	v_dual_cndmask_b32 v6, v8, v6 :: v_dual_cndmask_b32 v3, v9, v7
	s_delay_alu instid0(VALU_DEP_1) | instskip(NEXT) | instid1(VALU_DEP_1)
	v_dual_cndmask_b32 v4, v4, v6, s2 :: v_dual_cndmask_b32 v5, v5, v3, s2
	v_dual_mov_b32 v3, v2 :: v_dual_bitop2_b32 v4, v4, v2 bitop3:0x14
	s_delay_alu instid0(VALU_DEP_2) | instskip(NEXT) | instid1(VALU_DEP_1)
	v_xor_b32_e32 v5, v5, v2
	v_sub_nc_u64_e32 v[2:3], v[4:5], v[2:3]
.LBB92_2:
	s_or_saveexec_b32 s2, s8
	s_load_b512 s[4:19], s[0:1], 0x0
	s_xor_b32 exec_lo, exec_lo, s2
	s_cbranch_execz .LBB92_4
; %bb.3:
	v_cvt_f32_u32_e32 v2, s20
	s_sub_co_i32 s3, 0, s20
	s_delay_alu instid0(VALU_DEP_1) | instskip(SKIP_1) | instid1(TRANS32_DEP_1)
	v_rcp_iflag_f32_e32 v2, v2
	v_nop
	v_mul_f32_e32 v2, 0x4f7ffffe, v2
	s_delay_alu instid0(VALU_DEP_1) | instskip(NEXT) | instid1(VALU_DEP_1)
	v_cvt_u32_f32_e32 v2, v2
	v_mul_lo_u32 v3, s3, v2
	s_delay_alu instid0(VALU_DEP_1) | instskip(NEXT) | instid1(VALU_DEP_1)
	v_mul_hi_u32 v3, v2, v3
	v_add_nc_u32_e32 v2, v2, v3
	s_delay_alu instid0(VALU_DEP_1) | instskip(NEXT) | instid1(VALU_DEP_1)
	v_mul_hi_u32 v2, v0, v2
	v_mul_lo_u32 v3, v2, s20
	s_delay_alu instid0(VALU_DEP_1) | instskip(NEXT) | instid1(VALU_DEP_1)
	v_dual_add_nc_u32 v4, 1, v2 :: v_dual_sub_nc_u32 v3, v0, v3
	v_subrev_nc_u32_e32 v5, s20, v3
	v_cmp_le_u32_e32 vcc_lo, s20, v3
	s_delay_alu instid0(VALU_DEP_2) | instskip(NEXT) | instid1(VALU_DEP_1)
	v_dual_cndmask_b32 v3, v3, v5 :: v_dual_cndmask_b32 v2, v2, v4
	v_cmp_le_u32_e32 vcc_lo, s20, v3
	s_delay_alu instid0(VALU_DEP_2) | instskip(NEXT) | instid1(VALU_DEP_1)
	v_dual_mov_b32 v3, 0 :: v_dual_add_nc_u32 v4, 1, v2
	v_cndmask_b32_e32 v2, v2, v4, vcc_lo
.LBB92_4:
	s_or_b32 exec_lo, exec_lo, s2
	s_delay_alu instid0(VALU_DEP_1) | instskip(SKIP_1) | instid1(VALU_DEP_1)
	v_mul_u64_e32 v[4:5], s[20:21], v[2:3]
	s_mov_b32 s2, exec_lo
	v_sub_nc_u64_e32 v[0:1], v[0:1], v[4:5]
	s_wait_kmcnt 0x0
	s_delay_alu instid0(VALU_DEP_1)
	v_cmpx_gt_i64_e64 s[12:13], v[0:1]
	s_cbranch_execz .LBB92_19
; %bb.5:
	s_load_b64 s[2:3], s[16:17], 0x0
	v_ashrrev_i32_e32 v3, 31, v2
	s_wait_kmcnt 0x0
	s_delay_alu instid0(VALU_DEP_1)
	v_cmp_gt_i64_e32 vcc_lo, s[2:3], v[2:3]
	s_and_b32 exec_lo, exec_lo, vcc_lo
	s_cbranch_execz .LBB92_19
; %bb.6:
	v_lshl_add_u64 v[4:5], v[2:3], 2, s[14:15]
	s_add_nc_u64 s[2:3], s[2:3], -1
                                        ; implicit-def: $vgpr14
	s_delay_alu instid0(SALU_CYCLE_1) | instskip(SKIP_3) | instid1(SALU_CYCLE_1)
	v_cmp_ne_u64_e32 vcc_lo, s[2:3], v[2:3]
	global_load_b32 v4, v[4:5], off
	s_wait_xcnt 0x0
	s_and_saveexec_b32 s2, vcc_lo
	s_xor_b32 s2, exec_lo, s2
	s_cbranch_execz .LBB92_8
; %bb.7:
	v_dual_mov_b32 v6, 0 :: v_dual_add_nc_u32 v7, 1, v2
	s_delay_alu instid0(VALU_DEP_1) | instskip(NEXT) | instid1(VALU_DEP_1)
	v_ashrrev_i64 v[6:7], 30, v[6:7]
	v_add_nc_u64_e32 v[6:7], s[14:15], v[6:7]
	global_load_b32 v14, v[6:7], off
.LBB92_8:
	s_wait_xcnt 0x0
	s_or_saveexec_b32 s2, s2
	s_load_b256 s[20:27], s[0:1], 0x40
	s_xor_b32 exec_lo, exec_lo, s2
	s_cbranch_execz .LBB92_10
; %bb.9:
	s_wait_loadcnt 0x0
	v_mov_b32_e32 v14, s10
.LBB92_10:
	s_or_b32 exec_lo, exec_lo, s2
	v_mov_b32_e32 v5, 0
	s_wait_xcnt 0x0
	s_mov_b32 s0, exec_lo
	s_wait_loadcnt 0x0
	v_cmpx_lt_i32_e64 v4, v14
	s_cbranch_execz .LBB92_17
; %bb.11:
	v_ashrrev_i32_e32 v5, 31, v4
	v_lshl_add_u64 v[6:7], v[0:1], 1, s[6:7]
	s_cmp_lg_u64 s[8:9], 0
	s_mov_b32 s2, 0
	s_cselect_b32 s1, -1, 0
	v_lshlrev_b64_e32 v[10:11], 2, v[4:5]
	v_mov_b32_e32 v5, 0
	s_delay_alu instid0(VALU_DEP_2)
	v_add_nc_u64_e32 v[8:9], s[4:5], v[10:11]
	v_add_nc_u64_e32 v[10:11], s[8:9], v[10:11]
	s_branch .LBB92_14
.LBB92_12:                              ;   in Loop: Header=BB92_14 Depth=1
	global_load_b32 v13, v[10:11], off
	s_wait_loadcnt 0x0
	v_cvt_f32_i32_e32 v13, v13
	s_delay_alu instid0(VALU_DEP_1) | instskip(NEXT) | instid1(VALU_DEP_1)
	v_div_scale_f32 v15, null, v13, v13, 1.0
	v_rcp_f32_e32 v16, v15
	v_nop
	s_delay_alu instid0(TRANS32_DEP_1) | instskip(NEXT) | instid1(VALU_DEP_1)
	v_fma_f32 v17, -v15, v16, 1.0
	v_fmac_f32_e32 v16, v17, v16
	v_div_scale_f32 v17, vcc_lo, 1.0, v13, 1.0
	s_delay_alu instid0(VALU_DEP_1) | instskip(NEXT) | instid1(VALU_DEP_1)
	v_mul_f32_e32 v18, v17, v16
	v_fma_f32 v19, -v15, v18, v17
	s_delay_alu instid0(VALU_DEP_1) | instskip(NEXT) | instid1(VALU_DEP_1)
	v_fmac_f32_e32 v18, v19, v16
	v_fma_f32 v15, -v15, v18, v17
	s_delay_alu instid0(VALU_DEP_1) | instskip(NEXT) | instid1(VALU_DEP_1)
	v_div_fmas_f32 v15, v15, v16, v18
	v_div_fixup_f32 v15, v15, v13, 1.0
.LBB92_13:                              ;   in Loop: Header=BB92_14 Depth=1
	s_wait_loadcnt 0x0
	v_ashrrev_i32_e32 v13, 31, v12
	v_add_nc_u32_e32 v4, 1, v4
	v_add_nc_u64_e32 v[8:9], 4, v[8:9]
	v_add_nc_u64_e32 v[10:11], 4, v[10:11]
	s_delay_alu instid0(VALU_DEP_4) | instskip(NEXT) | instid1(VALU_DEP_4)
	v_mul_u64_e32 v[12:13], s[12:13], v[12:13]
	v_cmp_ge_i32_e32 vcc_lo, v4, v14
	s_or_b32 s2, vcc_lo, s2
	s_delay_alu instid0(VALU_DEP_2)
	v_lshl_add_u64 v[12:13], v[12:13], 1, v[6:7]
	global_load_u16 v12, v[12:13], off
	s_wait_loadcnt 0x0
	v_fma_mix_f32_bf16 v5, v15, v12, v5 op_sel_hi:[0,1,0]
	s_and_not1_b32 exec_lo, exec_lo, s2
	s_cbranch_execz .LBB92_16
.LBB92_14:                              ; =>This Inner Loop Header: Depth=1
	global_load_b32 v12, v[8:9], off
	s_and_not1_b32 vcc_lo, exec_lo, s1
	s_cbranch_vccz .LBB92_12
; %bb.15:                               ;   in Loop: Header=BB92_14 Depth=1
	v_mov_b32_e32 v15, 1.0
	s_branch .LBB92_13
.LBB92_16:
	s_or_b32 exec_lo, exec_lo, s2
.LBB92_17:
	s_delay_alu instid0(SALU_CYCLE_1)
	s_or_b32 exec_lo, exec_lo, s0
	s_wait_kmcnt 0x0
	v_lshl_add_u64 v[2:3], v[2:3], 2, s[20:21]
	global_load_b32 v2, v[2:3], off
	s_wait_loadcnt 0x0
	global_load_b32 v2, v2, s[22:23] scale_offset
	s_wait_loadcnt 0x0
	global_load_b32 v2, v2, s[18:19] scale_offset
	s_wait_loadcnt 0x0
	v_ashrrev_i32_e32 v3, 31, v2
	s_delay_alu instid0(VALU_DEP_1)
	v_cmp_ne_u64_e32 vcc_lo, s[26:27], v[2:3]
	s_and_b32 exec_lo, exec_lo, vcc_lo
	s_cbranch_execz .LBB92_19
; %bb.18:
	v_mul_u64_e32 v[2:3], s[12:13], v[2:3]
	s_delay_alu instid0(VALU_DEP_1) | instskip(NEXT) | instid1(VALU_DEP_1)
	v_lshl_add_u64 v[2:3], v[2:3], 2, s[24:25]
	v_lshl_add_u64 v[0:1], v[0:1], 2, v[2:3]
	global_atomic_add_f32 v[0:1], v5, off scope:SCOPE_DEV
.LBB92_19:
	s_endpgm
	.section	.rodata,"a",@progbits
	.p2align	6, 0x0
	.amdhsa_kernel _ZN2at6native12_GLOBAL__N_137compute_grad_weight_atomic_accumulateIN3c108BFloat16EfiEEvPKT1_PKT_S7_llS7_PKlS7_S7_S7_PT0_ll
		.amdhsa_group_segment_fixed_size 0
		.amdhsa_private_segment_fixed_size 0
		.amdhsa_kernarg_size 360
		.amdhsa_user_sgpr_count 2
		.amdhsa_user_sgpr_dispatch_ptr 0
		.amdhsa_user_sgpr_queue_ptr 0
		.amdhsa_user_sgpr_kernarg_segment_ptr 1
		.amdhsa_user_sgpr_dispatch_id 0
		.amdhsa_user_sgpr_kernarg_preload_length 0
		.amdhsa_user_sgpr_kernarg_preload_offset 0
		.amdhsa_user_sgpr_private_segment_size 0
		.amdhsa_wavefront_size32 1
		.amdhsa_uses_dynamic_stack 0
		.amdhsa_enable_private_segment 0
		.amdhsa_system_sgpr_workgroup_id_x 1
		.amdhsa_system_sgpr_workgroup_id_y 0
		.amdhsa_system_sgpr_workgroup_id_z 0
		.amdhsa_system_sgpr_workgroup_info 0
		.amdhsa_system_vgpr_workitem_id 0
		.amdhsa_next_free_vgpr 20
		.amdhsa_next_free_sgpr 28
		.amdhsa_named_barrier_count 0
		.amdhsa_reserve_vcc 1
		.amdhsa_float_round_mode_32 0
		.amdhsa_float_round_mode_16_64 0
		.amdhsa_float_denorm_mode_32 3
		.amdhsa_float_denorm_mode_16_64 3
		.amdhsa_fp16_overflow 0
		.amdhsa_memory_ordered 1
		.amdhsa_forward_progress 1
		.amdhsa_inst_pref_size 12
		.amdhsa_round_robin_scheduling 0
		.amdhsa_exception_fp_ieee_invalid_op 0
		.amdhsa_exception_fp_denorm_src 0
		.amdhsa_exception_fp_ieee_div_zero 0
		.amdhsa_exception_fp_ieee_overflow 0
		.amdhsa_exception_fp_ieee_underflow 0
		.amdhsa_exception_fp_ieee_inexact 0
		.amdhsa_exception_int_div_zero 0
	.end_amdhsa_kernel
	.section	.text._ZN2at6native12_GLOBAL__N_137compute_grad_weight_atomic_accumulateIN3c108BFloat16EfiEEvPKT1_PKT_S7_llS7_PKlS7_S7_S7_PT0_ll,"axG",@progbits,_ZN2at6native12_GLOBAL__N_137compute_grad_weight_atomic_accumulateIN3c108BFloat16EfiEEvPKT1_PKT_S7_llS7_PKlS7_S7_S7_PT0_ll,comdat
.Lfunc_end92:
	.size	_ZN2at6native12_GLOBAL__N_137compute_grad_weight_atomic_accumulateIN3c108BFloat16EfiEEvPKT1_PKT_S7_llS7_PKlS7_S7_S7_PT0_ll, .Lfunc_end92-_ZN2at6native12_GLOBAL__N_137compute_grad_weight_atomic_accumulateIN3c108BFloat16EfiEEvPKT1_PKT_S7_llS7_PKlS7_S7_S7_PT0_ll
                                        ; -- End function
	.set _ZN2at6native12_GLOBAL__N_137compute_grad_weight_atomic_accumulateIN3c108BFloat16EfiEEvPKT1_PKT_S7_llS7_PKlS7_S7_S7_PT0_ll.num_vgpr, 20
	.set _ZN2at6native12_GLOBAL__N_137compute_grad_weight_atomic_accumulateIN3c108BFloat16EfiEEvPKT1_PKT_S7_llS7_PKlS7_S7_S7_PT0_ll.num_agpr, 0
	.set _ZN2at6native12_GLOBAL__N_137compute_grad_weight_atomic_accumulateIN3c108BFloat16EfiEEvPKT1_PKT_S7_llS7_PKlS7_S7_S7_PT0_ll.numbered_sgpr, 28
	.set _ZN2at6native12_GLOBAL__N_137compute_grad_weight_atomic_accumulateIN3c108BFloat16EfiEEvPKT1_PKT_S7_llS7_PKlS7_S7_S7_PT0_ll.num_named_barrier, 0
	.set _ZN2at6native12_GLOBAL__N_137compute_grad_weight_atomic_accumulateIN3c108BFloat16EfiEEvPKT1_PKT_S7_llS7_PKlS7_S7_S7_PT0_ll.private_seg_size, 0
	.set _ZN2at6native12_GLOBAL__N_137compute_grad_weight_atomic_accumulateIN3c108BFloat16EfiEEvPKT1_PKT_S7_llS7_PKlS7_S7_S7_PT0_ll.uses_vcc, 1
	.set _ZN2at6native12_GLOBAL__N_137compute_grad_weight_atomic_accumulateIN3c108BFloat16EfiEEvPKT1_PKT_S7_llS7_PKlS7_S7_S7_PT0_ll.uses_flat_scratch, 0
	.set _ZN2at6native12_GLOBAL__N_137compute_grad_weight_atomic_accumulateIN3c108BFloat16EfiEEvPKT1_PKT_S7_llS7_PKlS7_S7_S7_PT0_ll.has_dyn_sized_stack, 0
	.set _ZN2at6native12_GLOBAL__N_137compute_grad_weight_atomic_accumulateIN3c108BFloat16EfiEEvPKT1_PKT_S7_llS7_PKlS7_S7_S7_PT0_ll.has_recursion, 0
	.set _ZN2at6native12_GLOBAL__N_137compute_grad_weight_atomic_accumulateIN3c108BFloat16EfiEEvPKT1_PKT_S7_llS7_PKlS7_S7_S7_PT0_ll.has_indirect_call, 0
	.section	.AMDGPU.csdata,"",@progbits
; Kernel info:
; codeLenInByte = 1460
; TotalNumSgprs: 30
; NumVgprs: 20
; ScratchSize: 0
; MemoryBound: 0
; FloatMode: 240
; IeeeMode: 1
; LDSByteSize: 0 bytes/workgroup (compile time only)
; SGPRBlocks: 0
; VGPRBlocks: 1
; NumSGPRsForWavesPerEU: 30
; NumVGPRsForWavesPerEU: 20
; NamedBarCnt: 0
; Occupancy: 16
; WaveLimiterHint : 1
; COMPUTE_PGM_RSRC2:SCRATCH_EN: 0
; COMPUTE_PGM_RSRC2:USER_SGPR: 2
; COMPUTE_PGM_RSRC2:TRAP_HANDLER: 0
; COMPUTE_PGM_RSRC2:TGID_X_EN: 1
; COMPUTE_PGM_RSRC2:TGID_Y_EN: 0
; COMPUTE_PGM_RSRC2:TGID_Z_EN: 0
; COMPUTE_PGM_RSRC2:TIDIG_COMP_CNT: 0
	.section	.text._ZN2at6native12_GLOBAL__N_124compute_grad_weight_bagsIN3c108BFloat16EiEEvPKT0_PKT_S7_S7_lliS7_SA_lS7_PKlPNS_14AccumulateTypeIS8_Lb1EE4typeEl,"axG",@progbits,_ZN2at6native12_GLOBAL__N_124compute_grad_weight_bagsIN3c108BFloat16EiEEvPKT0_PKT_S7_S7_lliS7_SA_lS7_PKlPNS_14AccumulateTypeIS8_Lb1EE4typeEl,comdat
	.globl	_ZN2at6native12_GLOBAL__N_124compute_grad_weight_bagsIN3c108BFloat16EiEEvPKT0_PKT_S7_S7_lliS7_SA_lS7_PKlPNS_14AccumulateTypeIS8_Lb1EE4typeEl ; -- Begin function _ZN2at6native12_GLOBAL__N_124compute_grad_weight_bagsIN3c108BFloat16EiEEvPKT0_PKT_S7_S7_lliS7_SA_lS7_PKlPNS_14AccumulateTypeIS8_Lb1EE4typeEl
	.p2align	8
	.type	_ZN2at6native12_GLOBAL__N_124compute_grad_weight_bagsIN3c108BFloat16EiEEvPKT0_PKT_S7_S7_lliS7_SA_lS7_PKlPNS_14AccumulateTypeIS8_Lb1EE4typeEl,@function
_ZN2at6native12_GLOBAL__N_124compute_grad_weight_bagsIN3c108BFloat16EiEEvPKT0_PKT_S7_S7_lliS7_SA_lS7_PKlPNS_14AccumulateTypeIS8_Lb1EE4typeEl: ; @_ZN2at6native12_GLOBAL__N_124compute_grad_weight_bagsIN3c108BFloat16EiEEvPKT0_PKT_S7_S7_lliS7_SA_lS7_PKlPNS_14AccumulateTypeIS8_Lb1EE4typeEl
; %bb.0:
	s_load_b32 s2, s[0:1], 0x7c
	s_bfe_u32 s3, ttmp6, 0x4000c
	s_clause 0x1
	s_load_b64 s[4:5], s[0:1], 0x68
	s_load_b128 s[20:23], s[0:1], 0x58
	s_add_co_i32 s3, s3, 1
	s_and_b32 s6, ttmp6, 15
	s_mul_i32 s3, ttmp9, s3
	s_getreg_b32 s7, hwreg(HW_REG_IB_STS2, 6, 4)
	v_mov_b32_e32 v1, 0
	s_add_co_i32 s6, s6, s3
	s_wait_kmcnt 0x0
	s_and_b32 s2, s2, 0xffff
	s_cmp_eq_u32 s7, 0
	s_cselect_b32 s3, ttmp9, s6
	s_delay_alu instid0(SALU_CYCLE_1) | instskip(SKIP_1) | instid1(VALU_DEP_1)
	v_mad_nc_u64_u32 v[2:3], s2, s3, v[0:1]
	s_mov_b32 s3, 0
	v_dual_mov_b32 v4, v1 :: v_dual_bitop2_b32 v5, s5, v3 bitop3:0x54
	s_delay_alu instid0(VALU_DEP_1) | instskip(SKIP_1) | instid1(SALU_CYCLE_1)
	v_cmp_ne_u64_e32 vcc_lo, 0, v[4:5]
                                        ; implicit-def: $vgpr4_vgpr5
	s_and_saveexec_b32 s2, vcc_lo
	s_xor_b32 s10, exec_lo, s2
	s_cbranch_execz .LBB93_2
; %bb.1:
	s_ashr_i32 s6, s5, 31
	v_dual_mov_b32 v9, v1 :: v_dual_ashrrev_i32 v4, 31, v3
	s_mov_b32 s7, s6
	v_mov_b32_e32 v15, v1
	s_add_nc_u64 s[8:9], s[4:5], s[6:7]
	s_delay_alu instid0(VALU_DEP_2) | instskip(SKIP_1) | instid1(SALU_CYCLE_1)
	v_mov_b32_e32 v5, v4
	s_xor_b64 s[8:9], s[8:9], s[6:7]
	s_cvt_f32_u32 s2, s8
	s_cvt_f32_u32 s7, s9
	s_sub_nc_u64 s[14:15], 0, s[8:9]
	v_add_nc_u64_e32 v[6:7], v[2:3], v[4:5]
	s_delay_alu instid0(SALU_CYCLE_1) | instskip(NEXT) | instid1(SALU_CYCLE_3)
	s_fmamk_f32 s2, s7, 0x4f800000, s2
	v_s_rcp_f32 s2, s2
	s_delay_alu instid0(VALU_DEP_1) | instskip(NEXT) | instid1(VALU_DEP_2)
	v_xor_b32_e32 v0, v6, v4
	v_xor_b32_e32 v8, v7, v4
	s_delay_alu instid0(TRANS32_DEP_1) | instskip(NEXT) | instid1(SALU_CYCLE_3)
	s_mul_f32 s2, s2, 0x5f7ffffc
	s_mul_f32 s7, s2, 0x2f800000
	s_delay_alu instid0(SALU_CYCLE_3) | instskip(NEXT) | instid1(SALU_CYCLE_3)
	s_trunc_f32 s7, s7
	s_fmamk_f32 s2, s7, 0xcf800000, s2
	s_cvt_u32_f32 s13, s7
	s_delay_alu instid0(SALU_CYCLE_2) | instskip(NEXT) | instid1(SALU_CYCLE_3)
	s_cvt_u32_f32 s12, s2
	s_mul_u64 s[16:17], s[14:15], s[12:13]
	s_delay_alu instid0(SALU_CYCLE_1)
	s_mul_hi_u32 s19, s12, s17
	s_mul_i32 s18, s12, s17
	s_mul_hi_u32 s2, s12, s16
	s_mul_i32 s11, s13, s16
	s_add_nc_u64 s[18:19], s[2:3], s[18:19]
	s_mul_hi_u32 s7, s13, s16
	s_mul_hi_u32 s24, s13, s17
	s_add_co_u32 s2, s18, s11
	s_add_co_ci_u32 s2, s19, s7
	s_mul_i32 s16, s13, s17
	s_add_co_ci_u32 s17, s24, 0
	s_delay_alu instid0(SALU_CYCLE_1) | instskip(NEXT) | instid1(SALU_CYCLE_1)
	s_add_nc_u64 s[16:17], s[2:3], s[16:17]
	s_add_co_u32 s12, s12, s16
	s_cselect_b32 s2, -1, 0
	s_delay_alu instid0(SALU_CYCLE_1) | instskip(SKIP_1) | instid1(SALU_CYCLE_1)
	s_cmp_lg_u32 s2, 0
	s_add_co_ci_u32 s13, s13, s17
	s_mul_u64 s[14:15], s[14:15], s[12:13]
	s_delay_alu instid0(SALU_CYCLE_1)
	s_mul_hi_u32 s17, s12, s15
	s_mul_i32 s16, s12, s15
	s_mul_hi_u32 s2, s12, s14
	s_mul_i32 s11, s13, s14
	s_add_nc_u64 s[16:17], s[2:3], s[16:17]
	s_mul_hi_u32 s7, s13, s14
	s_mul_hi_u32 s18, s13, s15
	s_add_co_u32 s2, s16, s11
	s_add_co_ci_u32 s2, s17, s7
	s_mul_i32 s14, s13, s15
	s_add_co_ci_u32 s15, s18, 0
	s_delay_alu instid0(SALU_CYCLE_1) | instskip(NEXT) | instid1(SALU_CYCLE_1)
	s_add_nc_u64 s[14:15], s[2:3], s[14:15]
	s_add_co_u32 s12, s12, s14
	s_cselect_b32 s2, -1, 0
	v_mul_hi_u32 v14, v0, s12
	s_cmp_lg_u32 s2, 0
	s_add_co_ci_u32 s2, s13, s15
	s_mov_b64 s[14:15], 0xffffffff
	v_mul_u64_e32 v[10:11], s[2:3], v[0:1]
	s_and_b64 s[14:15], s[12:13], s[14:15]
	v_mul_u64_e32 v[12:13], s[2:3], v[8:9]
	v_mul_u64_e32 v[6:7], s[14:15], v[8:9]
	s_delay_alu instid0(VALU_DEP_3) | instskip(NEXT) | instid1(VALU_DEP_1)
	v_add_nc_u64_e32 v[10:11], v[14:15], v[10:11]
	v_add_co_u32 v1, vcc_lo, v10, v6
	s_delay_alu instid0(VALU_DEP_2) | instskip(SKIP_1) | instid1(VALU_DEP_1)
	v_add_co_ci_u32_e32 v14, vcc_lo, v11, v7, vcc_lo
	v_add_co_ci_u32_e32 v13, vcc_lo, 0, v13, vcc_lo
	v_add_nc_u64_e32 v[6:7], v[14:15], v[12:13]
	s_delay_alu instid0(VALU_DEP_1) | instskip(NEXT) | instid1(VALU_DEP_1)
	v_mul_u64_e32 v[10:11], s[8:9], v[6:7]
	v_sub_nc_u32_e32 v1, v8, v11
	s_delay_alu instid0(VALU_DEP_2) | instskip(NEXT) | instid1(VALU_DEP_1)
	v_sub_co_u32 v0, vcc_lo, v0, v10
	v_sub_co_ci_u32_e64 v10, null, v8, v11, vcc_lo
	s_delay_alu instid0(VALU_DEP_3) | instskip(NEXT) | instid1(VALU_DEP_3)
	v_subrev_co_ci_u32_e64 v1, null, s9, v1, vcc_lo
	v_sub_co_u32 v5, s2, v0, s8
	s_delay_alu instid0(VALU_DEP_1) | instskip(NEXT) | instid1(VALU_DEP_2)
	v_subrev_co_ci_u32_e64 v1, null, 0, v1, s2
	v_cmp_le_u32_e32 vcc_lo, s8, v5
	v_cndmask_b32_e64 v5, 0, -1, vcc_lo
	s_delay_alu instid0(VALU_DEP_3)
	v_cmp_le_u32_e32 vcc_lo, s9, v1
	v_cndmask_b32_e64 v8, 0, -1, vcc_lo
	v_cmp_le_u32_e32 vcc_lo, s8, v0
	v_cndmask_b32_e64 v11, 0, -1, vcc_lo
	;; [unrolled: 2-line block ×3, first 2 shown]
	v_cmp_eq_u32_e32 vcc_lo, s9, v1
	v_add_nc_u64_e32 v[0:1], 2, v[6:7]
	v_cndmask_b32_e32 v5, v8, v5, vcc_lo
	v_cmp_eq_u32_e32 vcc_lo, s9, v10
	v_add_nc_u64_e32 v[8:9], 1, v[6:7]
	v_cndmask_b32_e32 v10, v12, v11, vcc_lo
	s_delay_alu instid0(VALU_DEP_4) | instskip(NEXT) | instid1(VALU_DEP_3)
	v_cmp_ne_u32_e32 vcc_lo, 0, v5
	v_cndmask_b32_e32 v1, v9, v1, vcc_lo
	s_delay_alu instid0(VALU_DEP_3) | instskip(SKIP_1) | instid1(VALU_DEP_2)
	v_cmp_ne_u32_e64 s2, 0, v10
	v_cndmask_b32_e32 v5, v8, v0, vcc_lo
	v_dual_cndmask_b32 v4, v7, v1, s2 :: v_dual_bitop2_b32 v0, s6, v4 bitop3:0x14
	s_delay_alu instid0(VALU_DEP_1) | instskip(NEXT) | instid1(VALU_DEP_2)
	v_dual_cndmask_b32 v6, v6, v5, s2 :: v_dual_mov_b32 v1, v0
	v_xor_b32_e32 v5, v4, v0
	s_delay_alu instid0(VALU_DEP_2) | instskip(NEXT) | instid1(VALU_DEP_1)
	v_xor_b32_e32 v4, v6, v0
	v_sub_nc_u64_e32 v[4:5], v[4:5], v[0:1]
.LBB93_2:
	s_or_saveexec_b32 s2, s10
	s_load_b64 s[20:21], s[20:21], 0x0
	s_xor_b32 exec_lo, exec_lo, s2
	s_cbranch_execz .LBB93_4
; %bb.3:
	v_cvt_f32_u32_e32 v0, s4
	s_sub_co_i32 s3, 0, s4
	s_delay_alu instid0(VALU_DEP_1) | instskip(SKIP_1) | instid1(TRANS32_DEP_1)
	v_rcp_iflag_f32_e32 v0, v0
	v_nop
	v_mul_f32_e32 v0, 0x4f7ffffe, v0
	s_delay_alu instid0(VALU_DEP_1) | instskip(NEXT) | instid1(VALU_DEP_1)
	v_cvt_u32_f32_e32 v0, v0
	v_mul_lo_u32 v1, s3, v0
	s_delay_alu instid0(VALU_DEP_1) | instskip(NEXT) | instid1(VALU_DEP_1)
	v_mul_hi_u32 v1, v0, v1
	v_add_nc_u32_e32 v0, v0, v1
	s_delay_alu instid0(VALU_DEP_1) | instskip(NEXT) | instid1(VALU_DEP_1)
	v_mul_hi_u32 v0, v2, v0
	v_mul_lo_u32 v1, v0, s4
	s_delay_alu instid0(VALU_DEP_1) | instskip(NEXT) | instid1(VALU_DEP_1)
	v_sub_nc_u32_e32 v1, v2, v1
	v_subrev_nc_u32_e32 v5, s4, v1
	v_cmp_le_u32_e32 vcc_lo, s4, v1
	s_delay_alu instid0(VALU_DEP_2) | instskip(NEXT) | instid1(VALU_DEP_1)
	v_dual_cndmask_b32 v1, v1, v5 :: v_dual_add_nc_u32 v4, 1, v0
	v_dual_cndmask_b32 v0, v0, v4 :: v_dual_mov_b32 v5, 0
	s_delay_alu instid0(VALU_DEP_2) | instskip(NEXT) | instid1(VALU_DEP_2)
	v_cmp_le_u32_e32 vcc_lo, s4, v1
	v_add_nc_u32_e32 v4, 1, v0
	s_delay_alu instid0(VALU_DEP_1)
	v_cndmask_b32_e32 v4, v0, v4, vcc_lo
.LBB93_4:
	s_or_b32 exec_lo, exec_lo, s2
	s_delay_alu instid0(VALU_DEP_1) | instskip(SKIP_3) | instid1(VALU_DEP_2)
	v_mul_u64_e32 v[0:1], s[4:5], v[4:5]
	s_load_b128 s[24:27], s[0:1], 0x20
	s_wait_kmcnt 0x0
	v_cmp_gt_i64_e64 s2, s[20:21], v[4:5]
	v_sub_nc_u64_e32 v[0:1], v[2:3], v[0:1]
	s_delay_alu instid0(VALU_DEP_1) | instskip(SKIP_1) | instid1(SALU_CYCLE_1)
	v_cmp_gt_i64_e32 vcc_lo, s[26:27], v[0:1]
	s_and_b32 s2, vcc_lo, s2
	s_and_saveexec_b32 s3, s2
	s_cbranch_execz .LBB93_20
; %bb.5:
	s_clause 0x1
	s_load_b256 s[4:11], s[0:1], 0x38
	s_load_b256 s[12:19], s[0:1], 0x0
	s_add_nc_u64 s[2:3], s[20:21], -1
                                        ; implicit-def: $vgpr14
	s_delay_alu instid0(SALU_CYCLE_1)
	v_cmp_ne_u64_e32 vcc_lo, s[2:3], v[4:5]
	s_wait_kmcnt 0x0
	v_lshl_add_u64 v[6:7], v[4:5], 2, s[10:11]
	global_load_b32 v2, v[6:7], off
	s_wait_xcnt 0x0
	s_and_saveexec_b32 s2, vcc_lo
	s_delay_alu instid0(SALU_CYCLE_1)
	s_xor_b32 s2, exec_lo, s2
	s_cbranch_execz .LBB93_7
; %bb.6:
	global_load_b32 v14, v[6:7], off offset:4
.LBB93_7:
	s_wait_xcnt 0x0
	s_and_not1_saveexec_b32 s2, s2
	s_cbranch_execz .LBB93_9
; %bb.8:
	s_wait_loadcnt 0x0
	v_mov_b32_e32 v14, s24
.LBB93_9:
	s_or_b32 exec_lo, exec_lo, s2
	v_mov_b32_e32 v3, 0
	s_mov_b32 s2, exec_lo
	s_wait_loadcnt 0x0
	v_cmpx_lt_i32_e64 v2, v14
	s_cbranch_execz .LBB93_19
; %bb.10:
	s_load_b32 s3, s[0:1], 0x30
	v_ashrrev_i32_e32 v3, 31, v2
	s_cmp_lg_u64 s[18:19], 0
	v_lshl_add_u64 v[6:7], v[0:1], 1, s[14:15]
	s_wait_xcnt 0x0
	s_cselect_b32 s0, -1, 0
	s_cmp_lg_u64 s[6:7], 0
	v_lshlrev_b64_e32 v[10:11], 2, v[2:3]
	v_mov_b32_e32 v3, 0
	s_cselect_b32 s1, -1, 0
	s_mov_b32 s10, 0
	s_delay_alu instid0(VALU_DEP_2)
	v_add_nc_u64_e32 v[8:9], s[12:13], v[10:11]
	v_add_nc_u64_e32 v[10:11], s[18:19], v[10:11]
	s_wait_kmcnt 0x0
	s_cmp_lg_u32 s3, 0
	s_cselect_b32 s3, -1, 0
	s_branch .LBB93_12
.LBB93_11:                              ;   in Loop: Header=BB93_12 Depth=1
	s_delay_alu instid0(VALU_DEP_1) | instskip(SKIP_2) | instid1(VALU_DEP_3)
	v_dual_fmac_f32 v3, v15, v12 :: v_dual_add_nc_u32 v2, 1, v2
	v_add_nc_u64_e32 v[8:9], 4, v[8:9]
	v_add_nc_u64_e32 v[10:11], 4, v[10:11]
	v_cmp_ge_i32_e32 vcc_lo, v2, v14
	s_or_b32 s10, vcc_lo, s10
	s_delay_alu instid0(SALU_CYCLE_1)
	s_and_not1_b32 exec_lo, exec_lo, s10
	s_cbranch_execz .LBB93_18
.LBB93_12:                              ; =>This Inner Loop Header: Depth=1
	global_load_b32 v12, v[8:9], off
	s_and_not1_b32 vcc_lo, exec_lo, s0
	s_wait_loadcnt 0x0
	global_load_b32 v16, v12, s[16:17] scale_offset
	s_cbranch_vccnz .LBB93_17
; %bb.13:                               ;   in Loop: Header=BB93_12 Depth=1
	global_load_b32 v13, v[10:11], off
	s_wait_loadcnt 0x0
	v_cvt_f64_i32_e32 v[18:19], v13
	s_delay_alu instid0(VALU_DEP_1) | instskip(NEXT) | instid1(VALU_DEP_1)
	v_div_scale_f64 v[20:21], null, v[18:19], v[18:19], 1.0
	v_rcp_f64_e32 v[22:23], v[20:21]
	v_nop
	s_delay_alu instid0(TRANS32_DEP_1) | instskip(NEXT) | instid1(VALU_DEP_1)
	v_fma_f64 v[24:25], -v[20:21], v[22:23], 1.0
	v_fmac_f64_e32 v[22:23], v[22:23], v[24:25]
	s_delay_alu instid0(VALU_DEP_1) | instskip(NEXT) | instid1(VALU_DEP_1)
	v_fma_f64 v[24:25], -v[20:21], v[22:23], 1.0
	v_fmac_f64_e32 v[22:23], v[22:23], v[24:25]
	v_div_scale_f64 v[24:25], vcc_lo, 1.0, v[18:19], 1.0
	s_delay_alu instid0(VALU_DEP_1) | instskip(NEXT) | instid1(VALU_DEP_1)
	v_mul_f64_e32 v[26:27], v[24:25], v[22:23]
	v_fma_f64 v[20:21], -v[20:21], v[26:27], v[24:25]
	s_delay_alu instid0(VALU_DEP_1) | instskip(NEXT) | instid1(VALU_DEP_1)
	v_div_fmas_f64 v[20:21], v[20:21], v[22:23], v[26:27]
	v_div_fixup_f64 v[18:19], v[20:21], v[18:19], 1.0
	s_delay_alu instid0(VALU_DEP_1)
	v_cvt_f32_f64_e32 v15, v[18:19]
	s_and_not1_b32 vcc_lo, exec_lo, s1
	s_cbranch_vccnz .LBB93_15
.LBB93_14:                              ;   in Loop: Header=BB93_12 Depth=1
	v_ashrrev_i32_e32 v13, 31, v12
	s_wait_xcnt 0x0
	s_delay_alu instid0(VALU_DEP_1) | instskip(NEXT) | instid1(VALU_DEP_1)
	v_mul_u64_e32 v[12:13], s[8:9], v[12:13]
	v_lshl_add_u64 v[12:13], v[12:13], 1, s[6:7]
	global_load_u16 v12, v[12:13], off
	s_wait_loadcnt 0x0
	v_lshlrev_b32_e32 v12, 16, v12
	s_delay_alu instid0(VALU_DEP_1)
	v_mul_f32_e32 v15, v15, v12
.LBB93_15:                              ;   in Loop: Header=BB93_12 Depth=1
	s_wait_loadcnt 0x0
	v_mul_lo_u32 v12, v16, s26
	s_and_not1_b32 vcc_lo, exec_lo, s3
	s_delay_alu instid0(VALU_DEP_1) | instskip(NEXT) | instid1(VALU_DEP_1)
	v_ashrrev_i32_e32 v13, 31, v12
	v_lshl_add_u64 v[12:13], v[12:13], 1, v[6:7]
	global_load_u16 v12, v[12:13], off
	s_wait_loadcnt 0x0
	v_lshlrev_b32_e32 v12, 16, v12
	s_cbranch_vccnz .LBB93_11
; %bb.16:                               ;   in Loop: Header=BB93_12 Depth=1
	global_load_b32 v13, v16, s[4:5] scale_offset
	s_wait_loadcnt 0x0
	v_cvt_f32_i32_e32 v13, v13
	s_delay_alu instid0(VALU_DEP_1) | instskip(NEXT) | instid1(VALU_DEP_1)
	v_div_scale_f32 v16, null, v13, v13, v12
	v_rcp_f32_e32 v17, v16
	v_nop
	s_delay_alu instid0(TRANS32_DEP_1) | instskip(NEXT) | instid1(VALU_DEP_1)
	v_fma_f32 v18, -v16, v17, 1.0
	v_fmac_f32_e32 v17, v18, v17
	v_div_scale_f32 v18, vcc_lo, v12, v13, v12
	s_delay_alu instid0(VALU_DEP_1) | instskip(NEXT) | instid1(VALU_DEP_1)
	v_mul_f32_e32 v19, v18, v17
	v_fma_f32 v20, -v16, v19, v18
	s_delay_alu instid0(VALU_DEP_1) | instskip(NEXT) | instid1(VALU_DEP_1)
	v_fmac_f32_e32 v19, v20, v17
	v_fma_f32 v16, -v16, v19, v18
	s_delay_alu instid0(VALU_DEP_1) | instskip(NEXT) | instid1(VALU_DEP_1)
	v_div_fmas_f32 v16, v16, v17, v19
	v_div_fixup_f32 v12, v16, v13, v12
	s_branch .LBB93_11
.LBB93_17:                              ;   in Loop: Header=BB93_12 Depth=1
	v_mov_b32_e32 v15, 1.0
	s_and_not1_b32 vcc_lo, exec_lo, s1
	s_cbranch_vccz .LBB93_14
	s_branch .LBB93_15
.LBB93_18:
	s_or_b32 exec_lo, exec_lo, s10
.LBB93_19:
	s_delay_alu instid0(SALU_CYCLE_1) | instskip(SKIP_1) | instid1(VALU_DEP_1)
	s_or_b32 exec_lo, exec_lo, s2
	v_mul_u64_e32 v[4:5], s[26:27], v[4:5]
	v_lshl_add_u64 v[4:5], v[4:5], 2, s[22:23]
	s_delay_alu instid0(VALU_DEP_1)
	v_lshl_add_u64 v[0:1], v[0:1], 2, v[4:5]
	global_store_b32 v[0:1], v3, off
.LBB93_20:
	s_endpgm
	.section	.rodata,"a",@progbits
	.p2align	6, 0x0
	.amdhsa_kernel _ZN2at6native12_GLOBAL__N_124compute_grad_weight_bagsIN3c108BFloat16EiEEvPKT0_PKT_S7_S7_lliS7_SA_lS7_PKlPNS_14AccumulateTypeIS8_Lb1EE4typeEl
		.amdhsa_group_segment_fixed_size 0
		.amdhsa_private_segment_fixed_size 0
		.amdhsa_kernarg_size 368
		.amdhsa_user_sgpr_count 2
		.amdhsa_user_sgpr_dispatch_ptr 0
		.amdhsa_user_sgpr_queue_ptr 0
		.amdhsa_user_sgpr_kernarg_segment_ptr 1
		.amdhsa_user_sgpr_dispatch_id 0
		.amdhsa_user_sgpr_kernarg_preload_length 0
		.amdhsa_user_sgpr_kernarg_preload_offset 0
		.amdhsa_user_sgpr_private_segment_size 0
		.amdhsa_wavefront_size32 1
		.amdhsa_uses_dynamic_stack 0
		.amdhsa_enable_private_segment 0
		.amdhsa_system_sgpr_workgroup_id_x 1
		.amdhsa_system_sgpr_workgroup_id_y 0
		.amdhsa_system_sgpr_workgroup_id_z 0
		.amdhsa_system_sgpr_workgroup_info 0
		.amdhsa_system_vgpr_workitem_id 0
		.amdhsa_next_free_vgpr 28
		.amdhsa_next_free_sgpr 28
		.amdhsa_named_barrier_count 0
		.amdhsa_reserve_vcc 1
		.amdhsa_float_round_mode_32 0
		.amdhsa_float_round_mode_16_64 0
		.amdhsa_float_denorm_mode_32 3
		.amdhsa_float_denorm_mode_16_64 3
		.amdhsa_fp16_overflow 0
		.amdhsa_memory_ordered 1
		.amdhsa_forward_progress 1
		.amdhsa_inst_pref_size 13
		.amdhsa_round_robin_scheduling 0
		.amdhsa_exception_fp_ieee_invalid_op 0
		.amdhsa_exception_fp_denorm_src 0
		.amdhsa_exception_fp_ieee_div_zero 0
		.amdhsa_exception_fp_ieee_overflow 0
		.amdhsa_exception_fp_ieee_underflow 0
		.amdhsa_exception_fp_ieee_inexact 0
		.amdhsa_exception_int_div_zero 0
	.end_amdhsa_kernel
	.section	.text._ZN2at6native12_GLOBAL__N_124compute_grad_weight_bagsIN3c108BFloat16EiEEvPKT0_PKT_S7_S7_lliS7_SA_lS7_PKlPNS_14AccumulateTypeIS8_Lb1EE4typeEl,"axG",@progbits,_ZN2at6native12_GLOBAL__N_124compute_grad_weight_bagsIN3c108BFloat16EiEEvPKT0_PKT_S7_S7_lliS7_SA_lS7_PKlPNS_14AccumulateTypeIS8_Lb1EE4typeEl,comdat
.Lfunc_end93:
	.size	_ZN2at6native12_GLOBAL__N_124compute_grad_weight_bagsIN3c108BFloat16EiEEvPKT0_PKT_S7_S7_lliS7_SA_lS7_PKlPNS_14AccumulateTypeIS8_Lb1EE4typeEl, .Lfunc_end93-_ZN2at6native12_GLOBAL__N_124compute_grad_weight_bagsIN3c108BFloat16EiEEvPKT0_PKT_S7_S7_lliS7_SA_lS7_PKlPNS_14AccumulateTypeIS8_Lb1EE4typeEl
                                        ; -- End function
	.set _ZN2at6native12_GLOBAL__N_124compute_grad_weight_bagsIN3c108BFloat16EiEEvPKT0_PKT_S7_S7_lliS7_SA_lS7_PKlPNS_14AccumulateTypeIS8_Lb1EE4typeEl.num_vgpr, 28
	.set _ZN2at6native12_GLOBAL__N_124compute_grad_weight_bagsIN3c108BFloat16EiEEvPKT0_PKT_S7_S7_lliS7_SA_lS7_PKlPNS_14AccumulateTypeIS8_Lb1EE4typeEl.num_agpr, 0
	.set _ZN2at6native12_GLOBAL__N_124compute_grad_weight_bagsIN3c108BFloat16EiEEvPKT0_PKT_S7_S7_lliS7_SA_lS7_PKlPNS_14AccumulateTypeIS8_Lb1EE4typeEl.numbered_sgpr, 28
	.set _ZN2at6native12_GLOBAL__N_124compute_grad_weight_bagsIN3c108BFloat16EiEEvPKT0_PKT_S7_S7_lliS7_SA_lS7_PKlPNS_14AccumulateTypeIS8_Lb1EE4typeEl.num_named_barrier, 0
	.set _ZN2at6native12_GLOBAL__N_124compute_grad_weight_bagsIN3c108BFloat16EiEEvPKT0_PKT_S7_S7_lliS7_SA_lS7_PKlPNS_14AccumulateTypeIS8_Lb1EE4typeEl.private_seg_size, 0
	.set _ZN2at6native12_GLOBAL__N_124compute_grad_weight_bagsIN3c108BFloat16EiEEvPKT0_PKT_S7_S7_lliS7_SA_lS7_PKlPNS_14AccumulateTypeIS8_Lb1EE4typeEl.uses_vcc, 1
	.set _ZN2at6native12_GLOBAL__N_124compute_grad_weight_bagsIN3c108BFloat16EiEEvPKT0_PKT_S7_S7_lliS7_SA_lS7_PKlPNS_14AccumulateTypeIS8_Lb1EE4typeEl.uses_flat_scratch, 0
	.set _ZN2at6native12_GLOBAL__N_124compute_grad_weight_bagsIN3c108BFloat16EiEEvPKT0_PKT_S7_S7_lliS7_SA_lS7_PKlPNS_14AccumulateTypeIS8_Lb1EE4typeEl.has_dyn_sized_stack, 0
	.set _ZN2at6native12_GLOBAL__N_124compute_grad_weight_bagsIN3c108BFloat16EiEEvPKT0_PKT_S7_S7_lliS7_SA_lS7_PKlPNS_14AccumulateTypeIS8_Lb1EE4typeEl.has_recursion, 0
	.set _ZN2at6native12_GLOBAL__N_124compute_grad_weight_bagsIN3c108BFloat16EiEEvPKT0_PKT_S7_S7_lliS7_SA_lS7_PKlPNS_14AccumulateTypeIS8_Lb1EE4typeEl.has_indirect_call, 0
	.section	.AMDGPU.csdata,"",@progbits
; Kernel info:
; codeLenInByte = 1624
; TotalNumSgprs: 30
; NumVgprs: 28
; ScratchSize: 0
; MemoryBound: 0
; FloatMode: 240
; IeeeMode: 1
; LDSByteSize: 0 bytes/workgroup (compile time only)
; SGPRBlocks: 0
; VGPRBlocks: 1
; NumSGPRsForWavesPerEU: 30
; NumVGPRsForWavesPerEU: 28
; NamedBarCnt: 0
; Occupancy: 16
; WaveLimiterHint : 1
; COMPUTE_PGM_RSRC2:SCRATCH_EN: 0
; COMPUTE_PGM_RSRC2:USER_SGPR: 2
; COMPUTE_PGM_RSRC2:TRAP_HANDLER: 0
; COMPUTE_PGM_RSRC2:TGID_X_EN: 1
; COMPUTE_PGM_RSRC2:TGID_Y_EN: 0
; COMPUTE_PGM_RSRC2:TGID_Z_EN: 0
; COMPUTE_PGM_RSRC2:TIDIG_COMP_CNT: 0
	.section	.text._ZN2at6native12_GLOBAL__N_119compute_grad_weightIN3c108BFloat16EiEEvPKT0_PKT_S7_llS7_PKlPNS_14AccumulateTypeIS8_Lb1EE4typeEl,"axG",@progbits,_ZN2at6native12_GLOBAL__N_119compute_grad_weightIN3c108BFloat16EiEEvPKT0_PKT_S7_llS7_PKlPNS_14AccumulateTypeIS8_Lb1EE4typeEl,comdat
	.globl	_ZN2at6native12_GLOBAL__N_119compute_grad_weightIN3c108BFloat16EiEEvPKT0_PKT_S7_llS7_PKlPNS_14AccumulateTypeIS8_Lb1EE4typeEl ; -- Begin function _ZN2at6native12_GLOBAL__N_119compute_grad_weightIN3c108BFloat16EiEEvPKT0_PKT_S7_llS7_PKlPNS_14AccumulateTypeIS8_Lb1EE4typeEl
	.p2align	8
	.type	_ZN2at6native12_GLOBAL__N_119compute_grad_weightIN3c108BFloat16EiEEvPKT0_PKT_S7_llS7_PKlPNS_14AccumulateTypeIS8_Lb1EE4typeEl,@function
_ZN2at6native12_GLOBAL__N_119compute_grad_weightIN3c108BFloat16EiEEvPKT0_PKT_S7_llS7_PKlPNS_14AccumulateTypeIS8_Lb1EE4typeEl: ; @_ZN2at6native12_GLOBAL__N_119compute_grad_weightIN3c108BFloat16EiEEvPKT0_PKT_S7_llS7_PKlPNS_14AccumulateTypeIS8_Lb1EE4typeEl
; %bb.0:
	s_clause 0x1
	s_load_b32 s4, s[0:1], 0x54
	s_load_b64 s[2:3], s[0:1], 0x40
	s_bfe_u32 s5, ttmp6, 0x4000c
	s_and_b32 s6, ttmp6, 15
	s_add_co_i32 s5, s5, 1
	s_getreg_b32 s7, hwreg(HW_REG_IB_STS2, 6, 4)
	s_mul_i32 s5, ttmp9, s5
	v_mov_b32_e32 v1, 0
	s_add_co_i32 s6, s6, s5
	s_wait_kmcnt 0x0
	s_and_b32 s4, s4, 0xffff
	s_cmp_eq_u32 s7, 0
	s_cselect_b32 s5, ttmp9, s6
	s_delay_alu instid0(SALU_CYCLE_1) | instskip(SKIP_3) | instid1(VALU_DEP_1)
	v_mad_nc_u64_u32 v[2:3], s4, s5, v[0:1]
	s_load_b512 s[4:19], s[0:1], 0x0
	s_wait_xcnt 0x0
	s_mov_b32 s1, 0
	v_dual_mov_b32 v4, v1 :: v_dual_bitop2_b32 v5, s3, v3 bitop3:0x54
	s_delay_alu instid0(VALU_DEP_1)
	v_cmp_ne_u64_e32 vcc_lo, 0, v[4:5]
                                        ; implicit-def: $vgpr4_vgpr5
	s_and_saveexec_b32 s0, vcc_lo
	s_wait_kmcnt 0x0
	s_xor_b32 s11, exec_lo, s0
	s_cbranch_execz .LBB94_2
; %bb.1:
	s_ashr_i32 s20, s3, 31
	v_dual_mov_b32 v9, v1 :: v_dual_ashrrev_i32 v4, 31, v3
	s_mov_b32 s21, s20
	v_mov_b32_e32 v15, v1
	s_add_nc_u64 s[22:23], s[2:3], s[20:21]
	s_delay_alu instid0(VALU_DEP_2) | instskip(SKIP_1) | instid1(SALU_CYCLE_1)
	v_mov_b32_e32 v5, v4
	s_xor_b64 s[22:23], s[22:23], s[20:21]
	s_cvt_f32_u32 s0, s22
	s_cvt_f32_u32 s21, s23
	s_sub_nc_u64 s[26:27], 0, s[22:23]
	v_add_nc_u64_e32 v[6:7], v[2:3], v[4:5]
	s_delay_alu instid0(SALU_CYCLE_1) | instskip(NEXT) | instid1(SALU_CYCLE_3)
	s_fmamk_f32 s0, s21, 0x4f800000, s0
	v_s_rcp_f32 s0, s0
	s_delay_alu instid0(VALU_DEP_1) | instskip(NEXT) | instid1(VALU_DEP_2)
	v_xor_b32_e32 v0, v6, v4
	v_xor_b32_e32 v8, v7, v4
	s_delay_alu instid0(TRANS32_DEP_1) | instskip(NEXT) | instid1(SALU_CYCLE_3)
	s_mul_f32 s0, s0, 0x5f7ffffc
	s_mul_f32 s21, s0, 0x2f800000
	s_delay_alu instid0(SALU_CYCLE_3) | instskip(NEXT) | instid1(SALU_CYCLE_3)
	s_trunc_f32 s21, s21
	s_fmamk_f32 s0, s21, 0xcf800000, s0
	s_cvt_u32_f32 s25, s21
	s_delay_alu instid0(SALU_CYCLE_2) | instskip(NEXT) | instid1(SALU_CYCLE_3)
	s_cvt_u32_f32 s24, s0
	s_mul_u64 s[28:29], s[26:27], s[24:25]
	s_delay_alu instid0(SALU_CYCLE_1)
	s_mul_hi_u32 s31, s24, s29
	s_mul_i32 s30, s24, s29
	s_mul_hi_u32 s0, s24, s28
	s_mul_i32 s33, s25, s28
	s_add_nc_u64 s[30:31], s[0:1], s[30:31]
	s_mul_hi_u32 s21, s25, s28
	s_mul_hi_u32 s34, s25, s29
	s_add_co_u32 s0, s30, s33
	s_add_co_ci_u32 s0, s31, s21
	s_mul_i32 s28, s25, s29
	s_add_co_ci_u32 s29, s34, 0
	s_delay_alu instid0(SALU_CYCLE_1) | instskip(NEXT) | instid1(SALU_CYCLE_1)
	s_add_nc_u64 s[28:29], s[0:1], s[28:29]
	s_add_co_u32 s24, s24, s28
	s_cselect_b32 s0, -1, 0
	s_delay_alu instid0(SALU_CYCLE_1) | instskip(SKIP_1) | instid1(SALU_CYCLE_1)
	s_cmp_lg_u32 s0, 0
	s_add_co_ci_u32 s25, s25, s29
	s_mul_u64 s[26:27], s[26:27], s[24:25]
	s_delay_alu instid0(SALU_CYCLE_1)
	s_mul_hi_u32 s29, s24, s27
	s_mul_i32 s28, s24, s27
	s_mul_hi_u32 s0, s24, s26
	s_mul_i32 s30, s25, s26
	s_add_nc_u64 s[28:29], s[0:1], s[28:29]
	s_mul_hi_u32 s21, s25, s26
	s_mul_hi_u32 s31, s25, s27
	s_add_co_u32 s0, s28, s30
	s_add_co_ci_u32 s0, s29, s21
	s_mul_i32 s26, s25, s27
	s_add_co_ci_u32 s27, s31, 0
	s_delay_alu instid0(SALU_CYCLE_1) | instskip(NEXT) | instid1(SALU_CYCLE_1)
	s_add_nc_u64 s[26:27], s[0:1], s[26:27]
	s_add_co_u32 s24, s24, s26
	s_cselect_b32 s0, -1, 0
	v_mul_hi_u32 v14, v0, s24
	s_cmp_lg_u32 s0, 0
	s_add_co_ci_u32 s0, s25, s27
	s_mov_b64 s[26:27], 0xffffffff
	v_mul_u64_e32 v[10:11], s[0:1], v[0:1]
	s_and_b64 s[26:27], s[24:25], s[26:27]
	v_mul_u64_e32 v[12:13], s[0:1], v[8:9]
	v_mul_u64_e32 v[6:7], s[26:27], v[8:9]
	s_delay_alu instid0(VALU_DEP_3) | instskip(NEXT) | instid1(VALU_DEP_1)
	v_add_nc_u64_e32 v[10:11], v[14:15], v[10:11]
	v_add_co_u32 v1, vcc_lo, v10, v6
	s_delay_alu instid0(VALU_DEP_2) | instskip(SKIP_1) | instid1(VALU_DEP_1)
	v_add_co_ci_u32_e32 v14, vcc_lo, v11, v7, vcc_lo
	v_add_co_ci_u32_e32 v13, vcc_lo, 0, v13, vcc_lo
	v_add_nc_u64_e32 v[6:7], v[14:15], v[12:13]
	s_delay_alu instid0(VALU_DEP_1) | instskip(NEXT) | instid1(VALU_DEP_1)
	v_mul_u64_e32 v[10:11], s[22:23], v[6:7]
	v_sub_nc_u32_e32 v1, v8, v11
	s_delay_alu instid0(VALU_DEP_2) | instskip(NEXT) | instid1(VALU_DEP_1)
	v_sub_co_u32 v0, vcc_lo, v0, v10
	v_sub_co_ci_u32_e64 v10, null, v8, v11, vcc_lo
	s_delay_alu instid0(VALU_DEP_3) | instskip(NEXT) | instid1(VALU_DEP_3)
	v_subrev_co_ci_u32_e64 v1, null, s23, v1, vcc_lo
	v_sub_co_u32 v5, s0, v0, s22
	s_delay_alu instid0(VALU_DEP_1) | instskip(NEXT) | instid1(VALU_DEP_2)
	v_subrev_co_ci_u32_e64 v1, null, 0, v1, s0
	v_cmp_le_u32_e32 vcc_lo, s22, v5
	v_cndmask_b32_e64 v5, 0, -1, vcc_lo
	s_delay_alu instid0(VALU_DEP_3)
	v_cmp_le_u32_e32 vcc_lo, s23, v1
	v_cndmask_b32_e64 v8, 0, -1, vcc_lo
	v_cmp_le_u32_e32 vcc_lo, s22, v0
	v_cndmask_b32_e64 v11, 0, -1, vcc_lo
	v_cmp_le_u32_e32 vcc_lo, s23, v10
	v_cndmask_b32_e64 v12, 0, -1, vcc_lo
	v_cmp_eq_u32_e32 vcc_lo, s23, v1
	v_add_nc_u64_e32 v[0:1], 2, v[6:7]
	v_cndmask_b32_e32 v5, v8, v5, vcc_lo
	v_cmp_eq_u32_e32 vcc_lo, s23, v10
	v_add_nc_u64_e32 v[8:9], 1, v[6:7]
	v_cndmask_b32_e32 v10, v12, v11, vcc_lo
	s_delay_alu instid0(VALU_DEP_4) | instskip(NEXT) | instid1(VALU_DEP_3)
	v_cmp_ne_u32_e32 vcc_lo, 0, v5
	v_cndmask_b32_e32 v1, v9, v1, vcc_lo
	s_delay_alu instid0(VALU_DEP_3) | instskip(SKIP_1) | instid1(VALU_DEP_2)
	v_cmp_ne_u32_e64 s0, 0, v10
	v_cndmask_b32_e32 v5, v8, v0, vcc_lo
	v_dual_cndmask_b32 v4, v7, v1, s0 :: v_dual_bitop2_b32 v0, s20, v4 bitop3:0x14
	s_delay_alu instid0(VALU_DEP_1) | instskip(NEXT) | instid1(VALU_DEP_2)
	v_dual_cndmask_b32 v6, v6, v5, s0 :: v_dual_mov_b32 v1, v0
	v_xor_b32_e32 v5, v4, v0
	s_delay_alu instid0(VALU_DEP_2) | instskip(NEXT) | instid1(VALU_DEP_1)
	v_xor_b32_e32 v4, v6, v0
	v_sub_nc_u64_e32 v[4:5], v[4:5], v[0:1]
.LBB94_2:
	s_or_saveexec_b32 s0, s11
	s_load_b64 s[16:17], s[16:17], 0x0
	s_xor_b32 exec_lo, exec_lo, s0
	s_cbranch_execz .LBB94_4
; %bb.3:
	v_cvt_f32_u32_e32 v0, s2
	s_sub_co_i32 s1, 0, s2
	s_delay_alu instid0(VALU_DEP_1) | instskip(SKIP_1) | instid1(TRANS32_DEP_1)
	v_rcp_iflag_f32_e32 v0, v0
	v_nop
	v_mul_f32_e32 v0, 0x4f7ffffe, v0
	s_delay_alu instid0(VALU_DEP_1) | instskip(NEXT) | instid1(VALU_DEP_1)
	v_cvt_u32_f32_e32 v0, v0
	v_mul_lo_u32 v1, s1, v0
	s_delay_alu instid0(VALU_DEP_1) | instskip(NEXT) | instid1(VALU_DEP_1)
	v_mul_hi_u32 v1, v0, v1
	v_add_nc_u32_e32 v0, v0, v1
	s_delay_alu instid0(VALU_DEP_1) | instskip(NEXT) | instid1(VALU_DEP_1)
	v_mul_hi_u32 v0, v2, v0
	v_mul_lo_u32 v1, v0, s2
	s_delay_alu instid0(VALU_DEP_1) | instskip(NEXT) | instid1(VALU_DEP_1)
	v_sub_nc_u32_e32 v1, v2, v1
	v_subrev_nc_u32_e32 v5, s2, v1
	v_cmp_le_u32_e32 vcc_lo, s2, v1
	s_delay_alu instid0(VALU_DEP_2) | instskip(NEXT) | instid1(VALU_DEP_1)
	v_dual_cndmask_b32 v1, v1, v5 :: v_dual_add_nc_u32 v4, 1, v0
	v_dual_cndmask_b32 v0, v0, v4 :: v_dual_mov_b32 v5, 0
	s_delay_alu instid0(VALU_DEP_2) | instskip(NEXT) | instid1(VALU_DEP_2)
	v_cmp_le_u32_e32 vcc_lo, s2, v1
	v_add_nc_u32_e32 v4, 1, v0
	s_delay_alu instid0(VALU_DEP_1)
	v_cndmask_b32_e32 v4, v0, v4, vcc_lo
.LBB94_4:
	s_or_b32 exec_lo, exec_lo, s0
	s_delay_alu instid0(VALU_DEP_1) | instskip(SKIP_2) | instid1(VALU_DEP_2)
	v_mul_u64_e32 v[0:1], s[2:3], v[4:5]
	s_wait_kmcnt 0x0
	v_cmp_gt_i64_e64 s0, s[16:17], v[4:5]
	v_sub_nc_u64_e32 v[0:1], v[2:3], v[0:1]
	s_delay_alu instid0(VALU_DEP_1) | instskip(SKIP_1) | instid1(SALU_CYCLE_1)
	v_cmp_gt_i64_e32 vcc_lo, s[12:13], v[0:1]
	s_and_b32 s0, vcc_lo, s0
	s_and_saveexec_b32 s1, s0
	s_cbranch_execz .LBB94_17
; %bb.5:
	v_lshl_add_u64 v[6:7], v[4:5], 2, s[14:15]
	s_add_nc_u64 s[0:1], s[16:17], -1
                                        ; implicit-def: $vgpr14
	s_delay_alu instid0(SALU_CYCLE_1) | instskip(SKIP_3) | instid1(SALU_CYCLE_1)
	v_cmp_ne_u64_e32 vcc_lo, s[0:1], v[4:5]
	global_load_b32 v2, v[6:7], off
	s_wait_xcnt 0x0
	s_and_saveexec_b32 s0, vcc_lo
	s_xor_b32 s0, exec_lo, s0
	s_cbranch_execz .LBB94_7
; %bb.6:
	global_load_b32 v14, v[6:7], off offset:4
.LBB94_7:
	s_wait_xcnt 0x0
	s_and_not1_saveexec_b32 s0, s0
	s_cbranch_execz .LBB94_9
; %bb.8:
	s_wait_loadcnt 0x0
	v_mov_b32_e32 v14, s10
.LBB94_9:
	s_or_b32 exec_lo, exec_lo, s0
	v_mov_b32_e32 v3, 0
	s_mov_b32 s0, exec_lo
	s_wait_loadcnt 0x0
	v_cmpx_lt_i32_e64 v2, v14
	s_cbranch_execz .LBB94_16
; %bb.10:
	v_ashrrev_i32_e32 v3, 31, v2
	v_lshl_add_u64 v[6:7], v[0:1], 1, s[6:7]
	s_cmp_lg_u64 s[8:9], 0
	s_mov_b32 s2, 0
	s_cselect_b32 s1, -1, 0
	v_lshlrev_b64_e32 v[10:11], 2, v[2:3]
	v_mov_b32_e32 v3, 0
	s_delay_alu instid0(VALU_DEP_2)
	v_add_nc_u64_e32 v[8:9], s[4:5], v[10:11]
	v_add_nc_u64_e32 v[10:11], s[8:9], v[10:11]
	s_branch .LBB94_13
.LBB94_11:                              ;   in Loop: Header=BB94_13 Depth=1
	global_load_b32 v13, v[10:11], off
	s_wait_loadcnt 0x0
	v_cvt_f32_i32_e32 v13, v13
	s_delay_alu instid0(VALU_DEP_1) | instskip(NEXT) | instid1(VALU_DEP_1)
	v_div_scale_f32 v15, null, v13, v13, 1.0
	v_rcp_f32_e32 v16, v15
	v_nop
	s_delay_alu instid0(TRANS32_DEP_1) | instskip(NEXT) | instid1(VALU_DEP_1)
	v_fma_f32 v17, -v15, v16, 1.0
	v_fmac_f32_e32 v16, v17, v16
	v_div_scale_f32 v17, vcc_lo, 1.0, v13, 1.0
	s_delay_alu instid0(VALU_DEP_1) | instskip(NEXT) | instid1(VALU_DEP_1)
	v_mul_f32_e32 v18, v17, v16
	v_fma_f32 v19, -v15, v18, v17
	s_delay_alu instid0(VALU_DEP_1) | instskip(NEXT) | instid1(VALU_DEP_1)
	v_fmac_f32_e32 v18, v19, v16
	v_fma_f32 v15, -v15, v18, v17
	s_delay_alu instid0(VALU_DEP_1) | instskip(NEXT) | instid1(VALU_DEP_1)
	v_div_fmas_f32 v15, v15, v16, v18
	v_div_fixup_f32 v15, v15, v13, 1.0
.LBB94_12:                              ;   in Loop: Header=BB94_13 Depth=1
	s_wait_loadcnt 0x0
	v_dual_ashrrev_i32 v13, 31, v12 :: v_dual_add_nc_u32 v2, 1, v2
	v_add_nc_u64_e32 v[8:9], 4, v[8:9]
	v_add_nc_u64_e32 v[10:11], 4, v[10:11]
	s_delay_alu instid0(VALU_DEP_3) | instskip(NEXT) | instid1(VALU_DEP_4)
	v_mul_u64_e32 v[12:13], s[12:13], v[12:13]
	v_cmp_ge_i32_e32 vcc_lo, v2, v14
	s_or_b32 s2, vcc_lo, s2
	s_delay_alu instid0(VALU_DEP_2)
	v_lshl_add_u64 v[12:13], v[12:13], 1, v[6:7]
	global_load_u16 v12, v[12:13], off
	s_wait_loadcnt 0x0
	v_fma_mix_f32_bf16 v3, v15, v12, v3 op_sel_hi:[0,1,0]
	s_and_not1_b32 exec_lo, exec_lo, s2
	s_cbranch_execz .LBB94_15
.LBB94_13:                              ; =>This Inner Loop Header: Depth=1
	global_load_b32 v12, v[8:9], off
	s_and_not1_b32 vcc_lo, exec_lo, s1
	s_cbranch_vccz .LBB94_11
; %bb.14:                               ;   in Loop: Header=BB94_13 Depth=1
	v_mov_b32_e32 v15, 1.0
	s_branch .LBB94_12
.LBB94_15:
	s_or_b32 exec_lo, exec_lo, s2
.LBB94_16:
	s_delay_alu instid0(SALU_CYCLE_1) | instskip(SKIP_1) | instid1(VALU_DEP_1)
	s_or_b32 exec_lo, exec_lo, s0
	v_mul_u64_e32 v[4:5], s[12:13], v[4:5]
	v_lshl_add_u64 v[4:5], v[4:5], 2, s[18:19]
	s_delay_alu instid0(VALU_DEP_1)
	v_lshl_add_u64 v[0:1], v[0:1], 2, v[4:5]
	global_store_b32 v[0:1], v3, off
.LBB94_17:
	s_endpgm
	.section	.rodata,"a",@progbits
	.p2align	6, 0x0
	.amdhsa_kernel _ZN2at6native12_GLOBAL__N_119compute_grad_weightIN3c108BFloat16EiEEvPKT0_PKT_S7_llS7_PKlPNS_14AccumulateTypeIS8_Lb1EE4typeEl
		.amdhsa_group_segment_fixed_size 0
		.amdhsa_private_segment_fixed_size 0
		.amdhsa_kernarg_size 328
		.amdhsa_user_sgpr_count 2
		.amdhsa_user_sgpr_dispatch_ptr 0
		.amdhsa_user_sgpr_queue_ptr 0
		.amdhsa_user_sgpr_kernarg_segment_ptr 1
		.amdhsa_user_sgpr_dispatch_id 0
		.amdhsa_user_sgpr_kernarg_preload_length 0
		.amdhsa_user_sgpr_kernarg_preload_offset 0
		.amdhsa_user_sgpr_private_segment_size 0
		.amdhsa_wavefront_size32 1
		.amdhsa_uses_dynamic_stack 0
		.amdhsa_enable_private_segment 0
		.amdhsa_system_sgpr_workgroup_id_x 1
		.amdhsa_system_sgpr_workgroup_id_y 0
		.amdhsa_system_sgpr_workgroup_id_z 0
		.amdhsa_system_sgpr_workgroup_info 0
		.amdhsa_system_vgpr_workitem_id 0
		.amdhsa_next_free_vgpr 20
		.amdhsa_next_free_sgpr 35
		.amdhsa_named_barrier_count 0
		.amdhsa_reserve_vcc 1
		.amdhsa_float_round_mode_32 0
		.amdhsa_float_round_mode_16_64 0
		.amdhsa_float_denorm_mode_32 3
		.amdhsa_float_denorm_mode_16_64 3
		.amdhsa_fp16_overflow 0
		.amdhsa_memory_ordered 1
		.amdhsa_forward_progress 1
		.amdhsa_inst_pref_size 11
		.amdhsa_round_robin_scheduling 0
		.amdhsa_exception_fp_ieee_invalid_op 0
		.amdhsa_exception_fp_denorm_src 0
		.amdhsa_exception_fp_ieee_div_zero 0
		.amdhsa_exception_fp_ieee_overflow 0
		.amdhsa_exception_fp_ieee_underflow 0
		.amdhsa_exception_fp_ieee_inexact 0
		.amdhsa_exception_int_div_zero 0
	.end_amdhsa_kernel
	.section	.text._ZN2at6native12_GLOBAL__N_119compute_grad_weightIN3c108BFloat16EiEEvPKT0_PKT_S7_llS7_PKlPNS_14AccumulateTypeIS8_Lb1EE4typeEl,"axG",@progbits,_ZN2at6native12_GLOBAL__N_119compute_grad_weightIN3c108BFloat16EiEEvPKT0_PKT_S7_llS7_PKlPNS_14AccumulateTypeIS8_Lb1EE4typeEl,comdat
.Lfunc_end94:
	.size	_ZN2at6native12_GLOBAL__N_119compute_grad_weightIN3c108BFloat16EiEEvPKT0_PKT_S7_llS7_PKlPNS_14AccumulateTypeIS8_Lb1EE4typeEl, .Lfunc_end94-_ZN2at6native12_GLOBAL__N_119compute_grad_weightIN3c108BFloat16EiEEvPKT0_PKT_S7_llS7_PKlPNS_14AccumulateTypeIS8_Lb1EE4typeEl
                                        ; -- End function
	.set _ZN2at6native12_GLOBAL__N_119compute_grad_weightIN3c108BFloat16EiEEvPKT0_PKT_S7_llS7_PKlPNS_14AccumulateTypeIS8_Lb1EE4typeEl.num_vgpr, 20
	.set _ZN2at6native12_GLOBAL__N_119compute_grad_weightIN3c108BFloat16EiEEvPKT0_PKT_S7_llS7_PKlPNS_14AccumulateTypeIS8_Lb1EE4typeEl.num_agpr, 0
	.set _ZN2at6native12_GLOBAL__N_119compute_grad_weightIN3c108BFloat16EiEEvPKT0_PKT_S7_llS7_PKlPNS_14AccumulateTypeIS8_Lb1EE4typeEl.numbered_sgpr, 35
	.set _ZN2at6native12_GLOBAL__N_119compute_grad_weightIN3c108BFloat16EiEEvPKT0_PKT_S7_llS7_PKlPNS_14AccumulateTypeIS8_Lb1EE4typeEl.num_named_barrier, 0
	.set _ZN2at6native12_GLOBAL__N_119compute_grad_weightIN3c108BFloat16EiEEvPKT0_PKT_S7_llS7_PKlPNS_14AccumulateTypeIS8_Lb1EE4typeEl.private_seg_size, 0
	.set _ZN2at6native12_GLOBAL__N_119compute_grad_weightIN3c108BFloat16EiEEvPKT0_PKT_S7_llS7_PKlPNS_14AccumulateTypeIS8_Lb1EE4typeEl.uses_vcc, 1
	.set _ZN2at6native12_GLOBAL__N_119compute_grad_weightIN3c108BFloat16EiEEvPKT0_PKT_S7_llS7_PKlPNS_14AccumulateTypeIS8_Lb1EE4typeEl.uses_flat_scratch, 0
	.set _ZN2at6native12_GLOBAL__N_119compute_grad_weightIN3c108BFloat16EiEEvPKT0_PKT_S7_llS7_PKlPNS_14AccumulateTypeIS8_Lb1EE4typeEl.has_dyn_sized_stack, 0
	.set _ZN2at6native12_GLOBAL__N_119compute_grad_weightIN3c108BFloat16EiEEvPKT0_PKT_S7_llS7_PKlPNS_14AccumulateTypeIS8_Lb1EE4typeEl.has_recursion, 0
	.set _ZN2at6native12_GLOBAL__N_119compute_grad_weightIN3c108BFloat16EiEEvPKT0_PKT_S7_llS7_PKlPNS_14AccumulateTypeIS8_Lb1EE4typeEl.has_indirect_call, 0
	.section	.AMDGPU.csdata,"",@progbits
; Kernel info:
; codeLenInByte = 1340
; TotalNumSgprs: 37
; NumVgprs: 20
; ScratchSize: 0
; MemoryBound: 0
; FloatMode: 240
; IeeeMode: 1
; LDSByteSize: 0 bytes/workgroup (compile time only)
; SGPRBlocks: 0
; VGPRBlocks: 1
; NumSGPRsForWavesPerEU: 37
; NumVGPRsForWavesPerEU: 20
; NamedBarCnt: 0
; Occupancy: 16
; WaveLimiterHint : 1
; COMPUTE_PGM_RSRC2:SCRATCH_EN: 0
; COMPUTE_PGM_RSRC2:USER_SGPR: 2
; COMPUTE_PGM_RSRC2:TRAP_HANDLER: 0
; COMPUTE_PGM_RSRC2:TGID_X_EN: 1
; COMPUTE_PGM_RSRC2:TGID_Y_EN: 0
; COMPUTE_PGM_RSRC2:TGID_Z_EN: 0
; COMPUTE_PGM_RSRC2:TIDIG_COMP_CNT: 0
	.section	.text._ZN2at6native12_GLOBAL__N_115sum_and_scatterIN3c108BFloat16EiEEvPKT0_PT_lS7_PKlPKNS_14AccumulateTypeIS8_Lb1EE4typeES7_SB_ll,"axG",@progbits,_ZN2at6native12_GLOBAL__N_115sum_and_scatterIN3c108BFloat16EiEEvPKT0_PT_lS7_PKlPKNS_14AccumulateTypeIS8_Lb1EE4typeES7_SB_ll,comdat
	.globl	_ZN2at6native12_GLOBAL__N_115sum_and_scatterIN3c108BFloat16EiEEvPKT0_PT_lS7_PKlPKNS_14AccumulateTypeIS8_Lb1EE4typeES7_SB_ll ; -- Begin function _ZN2at6native12_GLOBAL__N_115sum_and_scatterIN3c108BFloat16EiEEvPKT0_PT_lS7_PKlPKNS_14AccumulateTypeIS8_Lb1EE4typeES7_SB_ll
	.p2align	8
	.type	_ZN2at6native12_GLOBAL__N_115sum_and_scatterIN3c108BFloat16EiEEvPKT0_PT_lS7_PKlPKNS_14AccumulateTypeIS8_Lb1EE4typeES7_SB_ll,@function
_ZN2at6native12_GLOBAL__N_115sum_and_scatterIN3c108BFloat16EiEEvPKT0_PT_lS7_PKlPKNS_14AccumulateTypeIS8_Lb1EE4typeES7_SB_ll: ; @_ZN2at6native12_GLOBAL__N_115sum_and_scatterIN3c108BFloat16EiEEvPKT0_PT_lS7_PKlPKNS_14AccumulateTypeIS8_Lb1EE4typeES7_SB_ll
; %bb.0:
	s_clause 0x1
	s_load_b32 s2, s[0:1], 0x5c
	s_load_b128 s[20:23], s[0:1], 0x40
	s_bfe_u32 s3, ttmp6, 0x4000c
	s_and_b32 s4, ttmp6, 15
	s_add_co_i32 s3, s3, 1
	s_getreg_b32 s5, hwreg(HW_REG_IB_STS2, 6, 4)
	s_mul_i32 s3, ttmp9, s3
	v_mov_b32_e32 v1, 0
	s_add_co_i32 s4, s4, s3
	s_wait_kmcnt 0x0
	s_and_b32 s2, s2, 0xffff
	s_cmp_eq_u32 s5, 0
	s_cselect_b32 s3, ttmp9, s4
	s_load_b512 s[4:19], s[0:1], 0x0
	v_mad_nc_u64_u32 v[2:3], s2, s3, v[0:1]
	s_wait_xcnt 0x0
	s_mov_b32 s1, 0
	s_delay_alu instid0(VALU_DEP_1) | instskip(NEXT) | instid1(VALU_DEP_1)
	v_dual_mov_b32 v4, v1 :: v_dual_bitop2_b32 v5, s23, v3 bitop3:0x54
	v_cmp_ne_u64_e32 vcc_lo, 0, v[4:5]
                                        ; implicit-def: $vgpr4_vgpr5
	s_and_saveexec_b32 s0, vcc_lo
	s_delay_alu instid0(SALU_CYCLE_1)
	s_xor_b32 s26, exec_lo, s0
	s_cbranch_execz .LBB95_2
; %bb.1:
	s_ashr_i32 s2, s23, 31
	v_dual_mov_b32 v9, v1 :: v_dual_ashrrev_i32 v4, 31, v3
	s_mov_b32 s3, s2
	v_mov_b32_e32 v15, v1
	s_add_nc_u64 s[24:25], s[22:23], s[2:3]
	s_delay_alu instid0(VALU_DEP_2) | instskip(SKIP_1) | instid1(SALU_CYCLE_1)
	v_mov_b32_e32 v5, v4
	s_xor_b64 s[24:25], s[24:25], s[2:3]
	s_cvt_f32_u32 s0, s24
	s_cvt_f32_u32 s3, s25
	s_sub_nc_u64 s[30:31], 0, s[24:25]
	v_add_nc_u64_e32 v[6:7], v[2:3], v[4:5]
	s_delay_alu instid0(SALU_CYCLE_1) | instskip(NEXT) | instid1(SALU_CYCLE_3)
	s_fmamk_f32 s0, s3, 0x4f800000, s0
	v_s_rcp_f32 s0, s0
	s_delay_alu instid0(VALU_DEP_1) | instskip(NEXT) | instid1(VALU_DEP_2)
	v_xor_b32_e32 v0, v6, v4
	v_xor_b32_e32 v8, v7, v4
	s_delay_alu instid0(TRANS32_DEP_1) | instskip(NEXT) | instid1(SALU_CYCLE_3)
	s_mul_f32 s0, s0, 0x5f7ffffc
	s_mul_f32 s3, s0, 0x2f800000
	s_delay_alu instid0(SALU_CYCLE_3) | instskip(NEXT) | instid1(SALU_CYCLE_3)
	s_trunc_f32 s3, s3
	s_fmamk_f32 s0, s3, 0xcf800000, s0
	s_cvt_u32_f32 s29, s3
	s_delay_alu instid0(SALU_CYCLE_2) | instskip(NEXT) | instid1(SALU_CYCLE_3)
	s_cvt_u32_f32 s28, s0
	s_mul_u64 s[34:35], s[30:31], s[28:29]
	s_delay_alu instid0(SALU_CYCLE_1)
	s_mul_hi_u32 s37, s28, s35
	s_mul_i32 s36, s28, s35
	s_mul_hi_u32 s0, s28, s34
	s_mul_i32 s27, s29, s34
	s_add_nc_u64 s[36:37], s[0:1], s[36:37]
	s_mul_hi_u32 s3, s29, s34
	s_mul_hi_u32 s33, s29, s35
	s_add_co_u32 s0, s36, s27
	s_add_co_ci_u32 s0, s37, s3
	s_mul_i32 s34, s29, s35
	s_add_co_ci_u32 s35, s33, 0
	s_delay_alu instid0(SALU_CYCLE_1) | instskip(NEXT) | instid1(SALU_CYCLE_1)
	s_add_nc_u64 s[34:35], s[0:1], s[34:35]
	s_add_co_u32 s28, s28, s34
	s_cselect_b32 s0, -1, 0
	s_delay_alu instid0(SALU_CYCLE_1) | instskip(SKIP_1) | instid1(SALU_CYCLE_1)
	s_cmp_lg_u32 s0, 0
	s_add_co_ci_u32 s29, s29, s35
	s_mul_u64 s[30:31], s[30:31], s[28:29]
	s_delay_alu instid0(SALU_CYCLE_1)
	s_mul_hi_u32 s35, s28, s31
	s_mul_i32 s34, s28, s31
	s_mul_hi_u32 s0, s28, s30
	s_mul_i32 s27, s29, s30
	s_add_nc_u64 s[34:35], s[0:1], s[34:35]
	s_mul_hi_u32 s3, s29, s30
	s_mul_hi_u32 s33, s29, s31
	s_add_co_u32 s0, s34, s27
	s_add_co_ci_u32 s0, s35, s3
	s_mul_i32 s30, s29, s31
	s_add_co_ci_u32 s31, s33, 0
	s_delay_alu instid0(SALU_CYCLE_1) | instskip(NEXT) | instid1(SALU_CYCLE_1)
	s_add_nc_u64 s[30:31], s[0:1], s[30:31]
	s_add_co_u32 s28, s28, s30
	s_cselect_b32 s0, -1, 0
	v_mul_hi_u32 v14, v0, s28
	s_cmp_lg_u32 s0, 0
	s_add_co_ci_u32 s0, s29, s31
	s_mov_b64 s[30:31], 0xffffffff
	v_mul_u64_e32 v[10:11], s[0:1], v[0:1]
	s_and_b64 s[30:31], s[28:29], s[30:31]
	v_mul_u64_e32 v[12:13], s[0:1], v[8:9]
	v_mul_u64_e32 v[6:7], s[30:31], v[8:9]
	s_delay_alu instid0(VALU_DEP_3) | instskip(NEXT) | instid1(VALU_DEP_1)
	v_add_nc_u64_e32 v[10:11], v[14:15], v[10:11]
	v_add_co_u32 v1, vcc_lo, v10, v6
	s_delay_alu instid0(VALU_DEP_2) | instskip(SKIP_1) | instid1(VALU_DEP_1)
	v_add_co_ci_u32_e32 v14, vcc_lo, v11, v7, vcc_lo
	v_add_co_ci_u32_e32 v13, vcc_lo, 0, v13, vcc_lo
	v_add_nc_u64_e32 v[6:7], v[14:15], v[12:13]
	s_delay_alu instid0(VALU_DEP_1) | instskip(NEXT) | instid1(VALU_DEP_1)
	v_mul_u64_e32 v[10:11], s[24:25], v[6:7]
	v_sub_nc_u32_e32 v1, v8, v11
	s_delay_alu instid0(VALU_DEP_2) | instskip(NEXT) | instid1(VALU_DEP_1)
	v_sub_co_u32 v0, vcc_lo, v0, v10
	v_sub_co_ci_u32_e64 v10, null, v8, v11, vcc_lo
	s_delay_alu instid0(VALU_DEP_3) | instskip(NEXT) | instid1(VALU_DEP_3)
	v_subrev_co_ci_u32_e64 v1, null, s25, v1, vcc_lo
	v_sub_co_u32 v5, s0, v0, s24
	s_delay_alu instid0(VALU_DEP_1) | instskip(NEXT) | instid1(VALU_DEP_2)
	v_subrev_co_ci_u32_e64 v1, null, 0, v1, s0
	v_cmp_le_u32_e32 vcc_lo, s24, v5
	v_cndmask_b32_e64 v5, 0, -1, vcc_lo
	s_delay_alu instid0(VALU_DEP_3)
	v_cmp_le_u32_e32 vcc_lo, s25, v1
	v_cndmask_b32_e64 v8, 0, -1, vcc_lo
	v_cmp_le_u32_e32 vcc_lo, s24, v0
	v_cndmask_b32_e64 v11, 0, -1, vcc_lo
	;; [unrolled: 2-line block ×3, first 2 shown]
	v_cmp_eq_u32_e32 vcc_lo, s25, v1
	v_add_nc_u64_e32 v[0:1], 2, v[6:7]
	v_cndmask_b32_e32 v5, v8, v5, vcc_lo
	v_cmp_eq_u32_e32 vcc_lo, s25, v10
	v_add_nc_u64_e32 v[8:9], 1, v[6:7]
	v_cndmask_b32_e32 v10, v12, v11, vcc_lo
	s_delay_alu instid0(VALU_DEP_4) | instskip(NEXT) | instid1(VALU_DEP_3)
	v_cmp_ne_u32_e32 vcc_lo, 0, v5
	v_cndmask_b32_e32 v1, v9, v1, vcc_lo
	s_delay_alu instid0(VALU_DEP_3) | instskip(SKIP_1) | instid1(VALU_DEP_2)
	v_cmp_ne_u32_e64 s0, 0, v10
	v_cndmask_b32_e32 v5, v8, v0, vcc_lo
	v_dual_cndmask_b32 v4, v7, v1, s0 :: v_dual_bitop2_b32 v0, s2, v4 bitop3:0x14
	s_delay_alu instid0(VALU_DEP_1) | instskip(NEXT) | instid1(VALU_DEP_2)
	v_dual_cndmask_b32 v6, v6, v5, s0 :: v_dual_mov_b32 v1, v0
	v_xor_b32_e32 v5, v4, v0
	s_delay_alu instid0(VALU_DEP_2) | instskip(NEXT) | instid1(VALU_DEP_1)
	v_xor_b32_e32 v4, v6, v0
	v_sub_nc_u64_e32 v[4:5], v[4:5], v[0:1]
.LBB95_2:
	s_or_saveexec_b32 s0, s26
	s_wait_kmcnt 0x0
	s_load_b64 s[2:3], s[12:13], 0x0
	s_xor_b32 exec_lo, exec_lo, s0
	s_cbranch_execz .LBB95_4
; %bb.3:
	v_cvt_f32_u32_e32 v0, s22
	s_sub_co_i32 s1, 0, s22
	s_delay_alu instid0(VALU_DEP_1) | instskip(SKIP_1) | instid1(TRANS32_DEP_1)
	v_rcp_iflag_f32_e32 v0, v0
	v_nop
	v_mul_f32_e32 v0, 0x4f7ffffe, v0
	s_delay_alu instid0(VALU_DEP_1) | instskip(NEXT) | instid1(VALU_DEP_1)
	v_cvt_u32_f32_e32 v0, v0
	v_mul_lo_u32 v1, s1, v0
	s_delay_alu instid0(VALU_DEP_1) | instskip(NEXT) | instid1(VALU_DEP_1)
	v_mul_hi_u32 v1, v0, v1
	v_add_nc_u32_e32 v0, v0, v1
	s_delay_alu instid0(VALU_DEP_1) | instskip(NEXT) | instid1(VALU_DEP_1)
	v_mul_hi_u32 v0, v2, v0
	v_mul_lo_u32 v1, v0, s22
	s_delay_alu instid0(VALU_DEP_1) | instskip(NEXT) | instid1(VALU_DEP_1)
	v_sub_nc_u32_e32 v1, v2, v1
	v_subrev_nc_u32_e32 v5, s22, v1
	v_cmp_le_u32_e32 vcc_lo, s22, v1
	s_delay_alu instid0(VALU_DEP_2) | instskip(NEXT) | instid1(VALU_DEP_1)
	v_dual_cndmask_b32 v1, v1, v5 :: v_dual_add_nc_u32 v4, 1, v0
	v_dual_cndmask_b32 v0, v0, v4 :: v_dual_mov_b32 v5, 0
	s_delay_alu instid0(VALU_DEP_2) | instskip(NEXT) | instid1(VALU_DEP_2)
	v_cmp_le_u32_e32 vcc_lo, s22, v1
	v_add_nc_u32_e32 v4, 1, v0
	s_delay_alu instid0(VALU_DEP_1)
	v_cndmask_b32_e32 v4, v0, v4, vcc_lo
.LBB95_4:
	s_or_b32 exec_lo, exec_lo, s0
	s_delay_alu instid0(VALU_DEP_1) | instskip(SKIP_2) | instid1(VALU_DEP_2)
	v_mul_u64_e32 v[8:9], s[22:23], v[4:5]
	s_wait_kmcnt 0x0
	v_cmp_gt_i64_e64 s0, s[2:3], v[4:5]
	v_sub_nc_u64_e32 v[0:1], v[2:3], v[8:9]
	s_delay_alu instid0(VALU_DEP_1) | instskip(SKIP_1) | instid1(SALU_CYCLE_1)
	v_cmp_gt_i64_e32 vcc_lo, s[8:9], v[0:1]
	s_and_b32 s0, vcc_lo, s0
	s_and_saveexec_b32 s1, s0
	s_cbranch_execz .LBB95_13
; %bb.5:
	v_lshl_add_u64 v[10:11], v[4:5], 2, s[16:17]
	s_load_b64 s[0:1], s[18:19], 0x0
	s_add_nc_u64 s[2:3], s[2:3], -1
	global_load_b32 v6, v[10:11], off
	s_wait_kmcnt 0x0
	v_mov_b32_e32 v12, s0
	s_mov_b32 s0, exec_lo
	s_wait_xcnt 0x0
	v_cmpx_ne_u64_e64 s[2:3], v[4:5]
	s_xor_b32 s0, exec_lo, s0
	s_cbranch_execz .LBB95_7
; %bb.6:
	global_load_b32 v12, v[10:11], off offset:4
.LBB95_7:
	s_wait_xcnt 0x0
	s_and_not1_saveexec_b32 s0, s0
	s_delay_alu instid0(SALU_CYCLE_1)
	s_or_b32 exec_lo, exec_lo, s0
	v_mov_b32_e32 v7, 0
	s_mov_b32 s2, exec_lo
	s_wait_loadcnt 0x0
	v_cmpx_lt_i32_e64 v6, v12
	s_cbranch_execz .LBB95_11
; %bb.8:
	v_ashrrev_i32_e32 v7, 31, v6
	v_lshlrev_b64_e32 v[2:3], 2, v[2:3]
	v_lshlrev_b64_e32 v[8:9], 2, v[8:9]
	s_lshl_b64 s[0:1], s[8:9], 2
	s_mov_b32 s3, 0
	v_mul_u64_e32 v[10:11], s[8:9], v[6:7]
	v_mov_b32_e32 v7, 0
	s_delay_alu instid0(VALU_DEP_2) | instskip(NEXT) | instid1(VALU_DEP_1)
	v_lshl_add_u64 v[2:3], v[10:11], 2, v[2:3]
	v_sub_nc_u64_e32 v[2:3], v[2:3], v[8:9]
	s_delay_alu instid0(VALU_DEP_1)
	v_add_nc_u64_e32 v[2:3], s[14:15], v[2:3]
.LBB95_9:                               ; =>This Inner Loop Header: Depth=1
	global_load_b32 v8, v[2:3], off
	v_add_nc_u32_e32 v6, 1, v6
	s_wait_xcnt 0x0
	v_add_nc_u64_e32 v[2:3], s[0:1], v[2:3]
	s_wait_loadcnt 0x0
	v_add_f32_e32 v7, v7, v8
	v_cmp_ge_i32_e32 vcc_lo, v6, v12
	s_or_b32 s3, vcc_lo, s3
	s_delay_alu instid0(SALU_CYCLE_1)
	s_and_not1_b32 exec_lo, exec_lo, s3
	s_cbranch_execnz .LBB95_9
; %bb.10:
	s_or_b32 exec_lo, exec_lo, s3
.LBB95_11:
	s_delay_alu instid0(SALU_CYCLE_1)
	s_or_b32 exec_lo, exec_lo, s2
	v_lshl_add_u64 v[2:3], v[4:5], 2, s[10:11]
	global_load_b32 v2, v[2:3], off
	s_wait_loadcnt 0x0
	global_load_b32 v2, v2, s[4:5] scale_offset
	s_wait_loadcnt 0x0
	v_ashrrev_i32_e32 v3, 31, v2
	s_delay_alu instid0(VALU_DEP_1)
	v_cmp_ne_u64_e32 vcc_lo, s[20:21], v[2:3]
	s_and_b32 exec_lo, exec_lo, vcc_lo
	s_cbranch_execz .LBB95_13
; %bb.12:
	v_mul_u64_e32 v[2:3], s[8:9], v[2:3]
	v_bfe_u32 v4, v7, 16, 1
	v_cmp_o_f32_e32 vcc_lo, v7, v7
	s_delay_alu instid0(VALU_DEP_2) | instskip(NEXT) | instid1(VALU_DEP_1)
	v_add3_u32 v4, v7, v4, 0x7fff
	v_lshrrev_b32_e32 v4, 16, v4
	s_delay_alu instid0(VALU_DEP_1) | instskip(SKIP_1) | instid1(VALU_DEP_1)
	v_cndmask_b32_e32 v4, 0x7fc0, v4, vcc_lo
	v_lshl_add_u64 v[2:3], v[2:3], 1, s[6:7]
	v_lshl_add_u64 v[0:1], v[0:1], 1, v[2:3]
	global_store_b16 v[0:1], v4, off
.LBB95_13:
	s_endpgm
	.section	.rodata,"a",@progbits
	.p2align	6, 0x0
	.amdhsa_kernel _ZN2at6native12_GLOBAL__N_115sum_and_scatterIN3c108BFloat16EiEEvPKT0_PT_lS7_PKlPKNS_14AccumulateTypeIS8_Lb1EE4typeES7_SB_ll
		.amdhsa_group_segment_fixed_size 0
		.amdhsa_private_segment_fixed_size 0
		.amdhsa_kernarg_size 336
		.amdhsa_user_sgpr_count 2
		.amdhsa_user_sgpr_dispatch_ptr 0
		.amdhsa_user_sgpr_queue_ptr 0
		.amdhsa_user_sgpr_kernarg_segment_ptr 1
		.amdhsa_user_sgpr_dispatch_id 0
		.amdhsa_user_sgpr_kernarg_preload_length 0
		.amdhsa_user_sgpr_kernarg_preload_offset 0
		.amdhsa_user_sgpr_private_segment_size 0
		.amdhsa_wavefront_size32 1
		.amdhsa_uses_dynamic_stack 0
		.amdhsa_enable_private_segment 0
		.amdhsa_system_sgpr_workgroup_id_x 1
		.amdhsa_system_sgpr_workgroup_id_y 0
		.amdhsa_system_sgpr_workgroup_id_z 0
		.amdhsa_system_sgpr_workgroup_info 0
		.amdhsa_system_vgpr_workitem_id 0
		.amdhsa_next_free_vgpr 16
		.amdhsa_next_free_sgpr 38
		.amdhsa_named_barrier_count 0
		.amdhsa_reserve_vcc 1
		.amdhsa_float_round_mode_32 0
		.amdhsa_float_round_mode_16_64 0
		.amdhsa_float_denorm_mode_32 3
		.amdhsa_float_denorm_mode_16_64 3
		.amdhsa_fp16_overflow 0
		.amdhsa_memory_ordered 1
		.amdhsa_forward_progress 1
		.amdhsa_inst_pref_size 10
		.amdhsa_round_robin_scheduling 0
		.amdhsa_exception_fp_ieee_invalid_op 0
		.amdhsa_exception_fp_denorm_src 0
		.amdhsa_exception_fp_ieee_div_zero 0
		.amdhsa_exception_fp_ieee_overflow 0
		.amdhsa_exception_fp_ieee_underflow 0
		.amdhsa_exception_fp_ieee_inexact 0
		.amdhsa_exception_int_div_zero 0
	.end_amdhsa_kernel
	.section	.text._ZN2at6native12_GLOBAL__N_115sum_and_scatterIN3c108BFloat16EiEEvPKT0_PT_lS7_PKlPKNS_14AccumulateTypeIS8_Lb1EE4typeES7_SB_ll,"axG",@progbits,_ZN2at6native12_GLOBAL__N_115sum_and_scatterIN3c108BFloat16EiEEvPKT0_PT_lS7_PKlPKNS_14AccumulateTypeIS8_Lb1EE4typeES7_SB_ll,comdat
.Lfunc_end95:
	.size	_ZN2at6native12_GLOBAL__N_115sum_and_scatterIN3c108BFloat16EiEEvPKT0_PT_lS7_PKlPKNS_14AccumulateTypeIS8_Lb1EE4typeES7_SB_ll, .Lfunc_end95-_ZN2at6native12_GLOBAL__N_115sum_and_scatterIN3c108BFloat16EiEEvPKT0_PT_lS7_PKlPKNS_14AccumulateTypeIS8_Lb1EE4typeES7_SB_ll
                                        ; -- End function
	.set _ZN2at6native12_GLOBAL__N_115sum_and_scatterIN3c108BFloat16EiEEvPKT0_PT_lS7_PKlPKNS_14AccumulateTypeIS8_Lb1EE4typeES7_SB_ll.num_vgpr, 16
	.set _ZN2at6native12_GLOBAL__N_115sum_and_scatterIN3c108BFloat16EiEEvPKT0_PT_lS7_PKlPKNS_14AccumulateTypeIS8_Lb1EE4typeES7_SB_ll.num_agpr, 0
	.set _ZN2at6native12_GLOBAL__N_115sum_and_scatterIN3c108BFloat16EiEEvPKT0_PT_lS7_PKlPKNS_14AccumulateTypeIS8_Lb1EE4typeES7_SB_ll.numbered_sgpr, 38
	.set _ZN2at6native12_GLOBAL__N_115sum_and_scatterIN3c108BFloat16EiEEvPKT0_PT_lS7_PKlPKNS_14AccumulateTypeIS8_Lb1EE4typeES7_SB_ll.num_named_barrier, 0
	.set _ZN2at6native12_GLOBAL__N_115sum_and_scatterIN3c108BFloat16EiEEvPKT0_PT_lS7_PKlPKNS_14AccumulateTypeIS8_Lb1EE4typeES7_SB_ll.private_seg_size, 0
	.set _ZN2at6native12_GLOBAL__N_115sum_and_scatterIN3c108BFloat16EiEEvPKT0_PT_lS7_PKlPKNS_14AccumulateTypeIS8_Lb1EE4typeES7_SB_ll.uses_vcc, 1
	.set _ZN2at6native12_GLOBAL__N_115sum_and_scatterIN3c108BFloat16EiEEvPKT0_PT_lS7_PKlPKNS_14AccumulateTypeIS8_Lb1EE4typeES7_SB_ll.uses_flat_scratch, 0
	.set _ZN2at6native12_GLOBAL__N_115sum_and_scatterIN3c108BFloat16EiEEvPKT0_PT_lS7_PKlPKNS_14AccumulateTypeIS8_Lb1EE4typeES7_SB_ll.has_dyn_sized_stack, 0
	.set _ZN2at6native12_GLOBAL__N_115sum_and_scatterIN3c108BFloat16EiEEvPKT0_PT_lS7_PKlPKNS_14AccumulateTypeIS8_Lb1EE4typeES7_SB_ll.has_recursion, 0
	.set _ZN2at6native12_GLOBAL__N_115sum_and_scatterIN3c108BFloat16EiEEvPKT0_PT_lS7_PKlPKNS_14AccumulateTypeIS8_Lb1EE4typeES7_SB_ll.has_indirect_call, 0
	.section	.AMDGPU.csdata,"",@progbits
; Kernel info:
; codeLenInByte = 1276
; TotalNumSgprs: 40
; NumVgprs: 16
; ScratchSize: 0
; MemoryBound: 0
; FloatMode: 240
; IeeeMode: 1
; LDSByteSize: 0 bytes/workgroup (compile time only)
; SGPRBlocks: 0
; VGPRBlocks: 0
; NumSGPRsForWavesPerEU: 40
; NumVGPRsForWavesPerEU: 16
; NamedBarCnt: 0
; Occupancy: 16
; WaveLimiterHint : 1
; COMPUTE_PGM_RSRC2:SCRATCH_EN: 0
; COMPUTE_PGM_RSRC2:USER_SGPR: 2
; COMPUTE_PGM_RSRC2:TRAP_HANDLER: 0
; COMPUTE_PGM_RSRC2:TGID_X_EN: 1
; COMPUTE_PGM_RSRC2:TGID_Y_EN: 0
; COMPUTE_PGM_RSRC2:TGID_Z_EN: 0
; COMPUTE_PGM_RSRC2:TIDIG_COMP_CNT: 0
	.section	.text._ZN2at6native12_GLOBAL__N_124krn_partials_per_segmentIlEEvPT_PKS3_PKll,"axG",@progbits,_ZN2at6native12_GLOBAL__N_124krn_partials_per_segmentIlEEvPT_PKS3_PKll,comdat
	.globl	_ZN2at6native12_GLOBAL__N_124krn_partials_per_segmentIlEEvPT_PKS3_PKll ; -- Begin function _ZN2at6native12_GLOBAL__N_124krn_partials_per_segmentIlEEvPT_PKS3_PKll
	.p2align	8
	.type	_ZN2at6native12_GLOBAL__N_124krn_partials_per_segmentIlEEvPT_PKS3_PKll,@function
_ZN2at6native12_GLOBAL__N_124krn_partials_per_segmentIlEEvPT_PKS3_PKll: ; @_ZN2at6native12_GLOBAL__N_124krn_partials_per_segmentIlEEvPT_PKS3_PKll
; %bb.0:
	s_clause 0x1
	s_load_b256 s[4:11], s[0:1], 0x0
	s_load_b32 s2, s[0:1], 0x2c
	s_wait_xcnt 0x0
	s_bfe_u32 s0, ttmp6, 0x4000c
	s_and_b32 s3, ttmp6, 15
	s_add_co_i32 s0, s0, 1
	s_getreg_b32 s12, hwreg(HW_REG_IB_STS2, 6, 4)
	s_mul_i32 s13, ttmp9, s0
	s_delay_alu instid0(SALU_CYCLE_1)
	s_add_co_i32 s3, s3, s13
	s_wait_kmcnt 0x0
	s_load_b64 s[0:1], s[8:9], 0x0
	s_and_b32 s2, s2, 0xffff
	s_cmp_eq_u32 s12, 0
	s_cselect_b32 s3, ttmp9, s3
	s_delay_alu instid0(SALU_CYCLE_1) | instskip(SKIP_1) | instid1(VALU_DEP_1)
	v_mad_u32 v0, s3, s2, v0
	s_mov_b32 s2, exec_lo
	v_ashrrev_i32_e32 v1, 31, v0
	s_wait_kmcnt 0x0
	s_delay_alu instid0(VALU_DEP_1)
	v_cmpx_gt_i64_e64 s[0:1], v[0:1]
	s_cbranch_execz .LBB96_4
; %bb.1:
	v_lshl_add_u64 v[6:7], v[0:1], 3, s[6:7]
	s_add_nc_u64 s[0:1], s[0:1], -1
	v_mov_b64_e32 v[4:5], s[10:11]
	v_cmp_ne_u64_e32 vcc_lo, s[0:1], v[0:1]
	global_load_b64 v[2:3], v[6:7], off
	s_wait_xcnt 0x0
	s_and_saveexec_b32 s0, vcc_lo
	s_cbranch_execz .LBB96_3
; %bb.2:
	global_load_b64 v[4:5], v[6:7], off offset:8
.LBB96_3:
	s_wait_xcnt 0x0
	s_or_b32 exec_lo, exec_lo, s0
	s_wait_loadcnt 0x0
	v_sub_nc_u64_e32 v[2:3], v[4:5], v[2:3]
	v_lshl_add_u64 v[0:1], v[0:1], 3, s[4:5]
	s_delay_alu instid0(VALU_DEP_2) | instskip(NEXT) | instid1(VALU_DEP_1)
	v_add_nc_u64_e32 v[2:3], 9, v[2:3]
	v_dual_mov_b32 v5, 0 :: v_dual_mov_b32 v4, v2
	s_delay_alu instid0(VALU_DEP_1) | instskip(NEXT) | instid1(VALU_DEP_1)
	v_mul_u64_e32 v[6:7], 0x66666667, v[4:5]
	v_mov_b32_e32 v4, v7
	s_delay_alu instid0(VALU_DEP_1) | instskip(NEXT) | instid1(VALU_DEP_1)
	v_mad_nc_u64_u32 v[6:7], 0x66666667, v3, v[4:5]
	v_dual_mov_b32 v4, v7 :: v_dual_mov_b32 v7, v5
	s_delay_alu instid0(VALU_DEP_1) | instskip(NEXT) | instid1(VALU_DEP_1)
	v_mad_nc_u64_u32 v[6:7], 0x66666666, v2, v[6:7]
	v_dual_mov_b32 v6, v7 :: v_dual_mov_b32 v7, v5
	s_delay_alu instid0(VALU_DEP_1) | instskip(SKIP_1) | instid1(VALU_DEP_2)
	v_add_nc_u64_e32 v[6:7], v[4:5], v[6:7]
	v_ashrrev_i32_e32 v4, 31, v3
	v_mad_nc_u64_u32 v[6:7], 0x66666666, v3, v[6:7]
	s_delay_alu instid0(VALU_DEP_1) | instskip(NEXT) | instid1(VALU_DEP_1)
	v_mad_nc_u64_u32 v[2:3], 0x66666667, v4, v[6:7]
	v_mad_u32 v3, 0x66666667, v4, v3
	s_delay_alu instid0(VALU_DEP_1) | instskip(NEXT) | instid1(VALU_DEP_1)
	v_mad_u32 v3, 0x66666666, v4, v3
	v_ashrrev_i64 v[6:7], 2, v[2:3]
	v_lshrrev_b32_e32 v4, 31, v3
	s_delay_alu instid0(VALU_DEP_1)
	v_add_nc_u64_e32 v[2:3], v[6:7], v[4:5]
	global_store_b64 v[0:1], v[2:3], off
.LBB96_4:
	s_endpgm
	.section	.rodata,"a",@progbits
	.p2align	6, 0x0
	.amdhsa_kernel _ZN2at6native12_GLOBAL__N_124krn_partials_per_segmentIlEEvPT_PKS3_PKll
		.amdhsa_group_segment_fixed_size 0
		.amdhsa_private_segment_fixed_size 0
		.amdhsa_kernarg_size 288
		.amdhsa_user_sgpr_count 2
		.amdhsa_user_sgpr_dispatch_ptr 0
		.amdhsa_user_sgpr_queue_ptr 0
		.amdhsa_user_sgpr_kernarg_segment_ptr 1
		.amdhsa_user_sgpr_dispatch_id 0
		.amdhsa_user_sgpr_kernarg_preload_length 0
		.amdhsa_user_sgpr_kernarg_preload_offset 0
		.amdhsa_user_sgpr_private_segment_size 0
		.amdhsa_wavefront_size32 1
		.amdhsa_uses_dynamic_stack 0
		.amdhsa_enable_private_segment 0
		.amdhsa_system_sgpr_workgroup_id_x 1
		.amdhsa_system_sgpr_workgroup_id_y 0
		.amdhsa_system_sgpr_workgroup_id_z 0
		.amdhsa_system_sgpr_workgroup_info 0
		.amdhsa_system_vgpr_workitem_id 0
		.amdhsa_next_free_vgpr 8
		.amdhsa_next_free_sgpr 14
		.amdhsa_named_barrier_count 0
		.amdhsa_reserve_vcc 1
		.amdhsa_float_round_mode_32 0
		.amdhsa_float_round_mode_16_64 0
		.amdhsa_float_denorm_mode_32 3
		.amdhsa_float_denorm_mode_16_64 3
		.amdhsa_fp16_overflow 0
		.amdhsa_memory_ordered 1
		.amdhsa_forward_progress 1
		.amdhsa_inst_pref_size 4
		.amdhsa_round_robin_scheduling 0
		.amdhsa_exception_fp_ieee_invalid_op 0
		.amdhsa_exception_fp_denorm_src 0
		.amdhsa_exception_fp_ieee_div_zero 0
		.amdhsa_exception_fp_ieee_overflow 0
		.amdhsa_exception_fp_ieee_underflow 0
		.amdhsa_exception_fp_ieee_inexact 0
		.amdhsa_exception_int_div_zero 0
	.end_amdhsa_kernel
	.section	.text._ZN2at6native12_GLOBAL__N_124krn_partials_per_segmentIlEEvPT_PKS3_PKll,"axG",@progbits,_ZN2at6native12_GLOBAL__N_124krn_partials_per_segmentIlEEvPT_PKS3_PKll,comdat
.Lfunc_end96:
	.size	_ZN2at6native12_GLOBAL__N_124krn_partials_per_segmentIlEEvPT_PKS3_PKll, .Lfunc_end96-_ZN2at6native12_GLOBAL__N_124krn_partials_per_segmentIlEEvPT_PKS3_PKll
                                        ; -- End function
	.set _ZN2at6native12_GLOBAL__N_124krn_partials_per_segmentIlEEvPT_PKS3_PKll.num_vgpr, 8
	.set _ZN2at6native12_GLOBAL__N_124krn_partials_per_segmentIlEEvPT_PKS3_PKll.num_agpr, 0
	.set _ZN2at6native12_GLOBAL__N_124krn_partials_per_segmentIlEEvPT_PKS3_PKll.numbered_sgpr, 14
	.set _ZN2at6native12_GLOBAL__N_124krn_partials_per_segmentIlEEvPT_PKS3_PKll.num_named_barrier, 0
	.set _ZN2at6native12_GLOBAL__N_124krn_partials_per_segmentIlEEvPT_PKS3_PKll.private_seg_size, 0
	.set _ZN2at6native12_GLOBAL__N_124krn_partials_per_segmentIlEEvPT_PKS3_PKll.uses_vcc, 1
	.set _ZN2at6native12_GLOBAL__N_124krn_partials_per_segmentIlEEvPT_PKS3_PKll.uses_flat_scratch, 0
	.set _ZN2at6native12_GLOBAL__N_124krn_partials_per_segmentIlEEvPT_PKS3_PKll.has_dyn_sized_stack, 0
	.set _ZN2at6native12_GLOBAL__N_124krn_partials_per_segmentIlEEvPT_PKS3_PKll.has_recursion, 0
	.set _ZN2at6native12_GLOBAL__N_124krn_partials_per_segmentIlEEvPT_PKS3_PKll.has_indirect_call, 0
	.section	.AMDGPU.csdata,"",@progbits
; Kernel info:
; codeLenInByte = 388
; TotalNumSgprs: 16
; NumVgprs: 8
; ScratchSize: 0
; MemoryBound: 0
; FloatMode: 240
; IeeeMode: 1
; LDSByteSize: 0 bytes/workgroup (compile time only)
; SGPRBlocks: 0
; VGPRBlocks: 0
; NumSGPRsForWavesPerEU: 16
; NumVGPRsForWavesPerEU: 8
; NamedBarCnt: 0
; Occupancy: 16
; WaveLimiterHint : 0
; COMPUTE_PGM_RSRC2:SCRATCH_EN: 0
; COMPUTE_PGM_RSRC2:USER_SGPR: 2
; COMPUTE_PGM_RSRC2:TRAP_HANDLER: 0
; COMPUTE_PGM_RSRC2:TGID_X_EN: 1
; COMPUTE_PGM_RSRC2:TGID_Y_EN: 0
; COMPUTE_PGM_RSRC2:TGID_Z_EN: 0
; COMPUTE_PGM_RSRC2:TIDIG_COMP_CNT: 0
	.section	.text._ZN2at6native12_GLOBAL__N_131compute_num_of_partial_segmentsIlEEvPKT_S5_PKlPl,"axG",@progbits,_ZN2at6native12_GLOBAL__N_131compute_num_of_partial_segmentsIlEEvPKT_S5_PKlPl,comdat
	.globl	_ZN2at6native12_GLOBAL__N_131compute_num_of_partial_segmentsIlEEvPKT_S5_PKlPl ; -- Begin function _ZN2at6native12_GLOBAL__N_131compute_num_of_partial_segmentsIlEEvPKT_S5_PKlPl
	.p2align	8
	.type	_ZN2at6native12_GLOBAL__N_131compute_num_of_partial_segmentsIlEEvPKT_S5_PKlPl,@function
_ZN2at6native12_GLOBAL__N_131compute_num_of_partial_segmentsIlEEvPKT_S5_PKlPl: ; @_ZN2at6native12_GLOBAL__N_131compute_num_of_partial_segmentsIlEEvPKT_S5_PKlPl
; %bb.0:
	s_load_b256 s[4:11], s[0:1], 0x0
	v_mov_b32_e32 v2, 0
	s_wait_kmcnt 0x0
	s_load_b64 s[0:1], s[8:9], 0x0
	s_wait_kmcnt 0x0
	s_lshl_b64 s[0:1], s[0:1], 3
	s_delay_alu instid0(SALU_CYCLE_1)
	s_add_nc_u64 s[2:3], s[4:5], s[0:1]
	s_add_nc_u64 s[0:1], s[6:7], s[0:1]
	s_add_nc_u64 s[2:3], s[2:3], -8
	s_add_nc_u64 s[0:1], s[0:1], -8
	s_load_b64 s[4:5], s[2:3], 0x0
	s_load_b64 s[6:7], s[0:1], 0x0
	s_wait_kmcnt 0x0
	s_add_nc_u64 s[0:1], s[6:7], s[4:5]
	s_delay_alu instid0(SALU_CYCLE_1)
	v_mov_b64_e32 v[0:1], s[0:1]
	global_store_b64 v2, v[0:1], s[10:11]
	s_endpgm
	.section	.rodata,"a",@progbits
	.p2align	6, 0x0
	.amdhsa_kernel _ZN2at6native12_GLOBAL__N_131compute_num_of_partial_segmentsIlEEvPKT_S5_PKlPl
		.amdhsa_group_segment_fixed_size 0
		.amdhsa_private_segment_fixed_size 0
		.amdhsa_kernarg_size 32
		.amdhsa_user_sgpr_count 2
		.amdhsa_user_sgpr_dispatch_ptr 0
		.amdhsa_user_sgpr_queue_ptr 0
		.amdhsa_user_sgpr_kernarg_segment_ptr 1
		.amdhsa_user_sgpr_dispatch_id 0
		.amdhsa_user_sgpr_kernarg_preload_length 0
		.amdhsa_user_sgpr_kernarg_preload_offset 0
		.amdhsa_user_sgpr_private_segment_size 0
		.amdhsa_wavefront_size32 1
		.amdhsa_uses_dynamic_stack 0
		.amdhsa_enable_private_segment 0
		.amdhsa_system_sgpr_workgroup_id_x 1
		.amdhsa_system_sgpr_workgroup_id_y 0
		.amdhsa_system_sgpr_workgroup_id_z 0
		.amdhsa_system_sgpr_workgroup_info 0
		.amdhsa_system_vgpr_workitem_id 0
		.amdhsa_next_free_vgpr 3
		.amdhsa_next_free_sgpr 12
		.amdhsa_named_barrier_count 0
		.amdhsa_reserve_vcc 0
		.amdhsa_float_round_mode_32 0
		.amdhsa_float_round_mode_16_64 0
		.amdhsa_float_denorm_mode_32 3
		.amdhsa_float_denorm_mode_16_64 3
		.amdhsa_fp16_overflow 0
		.amdhsa_memory_ordered 1
		.amdhsa_forward_progress 1
		.amdhsa_inst_pref_size 1
		.amdhsa_round_robin_scheduling 0
		.amdhsa_exception_fp_ieee_invalid_op 0
		.amdhsa_exception_fp_denorm_src 0
		.amdhsa_exception_fp_ieee_div_zero 0
		.amdhsa_exception_fp_ieee_overflow 0
		.amdhsa_exception_fp_ieee_underflow 0
		.amdhsa_exception_fp_ieee_inexact 0
		.amdhsa_exception_int_div_zero 0
	.end_amdhsa_kernel
	.section	.text._ZN2at6native12_GLOBAL__N_131compute_num_of_partial_segmentsIlEEvPKT_S5_PKlPl,"axG",@progbits,_ZN2at6native12_GLOBAL__N_131compute_num_of_partial_segmentsIlEEvPKT_S5_PKlPl,comdat
.Lfunc_end97:
	.size	_ZN2at6native12_GLOBAL__N_131compute_num_of_partial_segmentsIlEEvPKT_S5_PKlPl, .Lfunc_end97-_ZN2at6native12_GLOBAL__N_131compute_num_of_partial_segmentsIlEEvPKT_S5_PKlPl
                                        ; -- End function
	.set _ZN2at6native12_GLOBAL__N_131compute_num_of_partial_segmentsIlEEvPKT_S5_PKlPl.num_vgpr, 3
	.set _ZN2at6native12_GLOBAL__N_131compute_num_of_partial_segmentsIlEEvPKT_S5_PKlPl.num_agpr, 0
	.set _ZN2at6native12_GLOBAL__N_131compute_num_of_partial_segmentsIlEEvPKT_S5_PKlPl.numbered_sgpr, 12
	.set _ZN2at6native12_GLOBAL__N_131compute_num_of_partial_segmentsIlEEvPKT_S5_PKlPl.num_named_barrier, 0
	.set _ZN2at6native12_GLOBAL__N_131compute_num_of_partial_segmentsIlEEvPKT_S5_PKlPl.private_seg_size, 0
	.set _ZN2at6native12_GLOBAL__N_131compute_num_of_partial_segmentsIlEEvPKT_S5_PKlPl.uses_vcc, 0
	.set _ZN2at6native12_GLOBAL__N_131compute_num_of_partial_segmentsIlEEvPKT_S5_PKlPl.uses_flat_scratch, 0
	.set _ZN2at6native12_GLOBAL__N_131compute_num_of_partial_segmentsIlEEvPKT_S5_PKlPl.has_dyn_sized_stack, 0
	.set _ZN2at6native12_GLOBAL__N_131compute_num_of_partial_segmentsIlEEvPKT_S5_PKlPl.has_recursion, 0
	.set _ZN2at6native12_GLOBAL__N_131compute_num_of_partial_segmentsIlEEvPKT_S5_PKlPl.has_indirect_call, 0
	.section	.AMDGPU.csdata,"",@progbits
; Kernel info:
; codeLenInByte = 100
; TotalNumSgprs: 12
; NumVgprs: 3
; ScratchSize: 0
; MemoryBound: 1
; FloatMode: 240
; IeeeMode: 1
; LDSByteSize: 0 bytes/workgroup (compile time only)
; SGPRBlocks: 0
; VGPRBlocks: 0
; NumSGPRsForWavesPerEU: 12
; NumVGPRsForWavesPerEU: 3
; NamedBarCnt: 0
; Occupancy: 16
; WaveLimiterHint : 1
; COMPUTE_PGM_RSRC2:SCRATCH_EN: 0
; COMPUTE_PGM_RSRC2:USER_SGPR: 2
; COMPUTE_PGM_RSRC2:TRAP_HANDLER: 0
; COMPUTE_PGM_RSRC2:TGID_X_EN: 1
; COMPUTE_PGM_RSRC2:TGID_Y_EN: 0
; COMPUTE_PGM_RSRC2:TGID_Z_EN: 0
; COMPUTE_PGM_RSRC2:TIDIG_COMP_CNT: 0
	.section	.text._ZN2at6native12_GLOBAL__N_126krn_partial_segment_offsetIlEEvPT_PKS3_S6_S6_PKl,"axG",@progbits,_ZN2at6native12_GLOBAL__N_126krn_partial_segment_offsetIlEEvPT_PKS3_S6_S6_PKl,comdat
	.globl	_ZN2at6native12_GLOBAL__N_126krn_partial_segment_offsetIlEEvPT_PKS3_S6_S6_PKl ; -- Begin function _ZN2at6native12_GLOBAL__N_126krn_partial_segment_offsetIlEEvPT_PKS3_S6_S6_PKl
	.p2align	8
	.type	_ZN2at6native12_GLOBAL__N_126krn_partial_segment_offsetIlEEvPT_PKS3_S6_S6_PKl,@function
_ZN2at6native12_GLOBAL__N_126krn_partial_segment_offsetIlEEvPT_PKS3_S6_S6_PKl: ; @_ZN2at6native12_GLOBAL__N_126krn_partial_segment_offsetIlEEvPT_PKS3_S6_S6_PKl
; %bb.0:
	s_clause 0x1
	s_load_b64 s[2:3], s[0:1], 0x20
	s_load_b32 s4, s[0:1], 0x34
	s_bfe_u32 s5, ttmp6, 0x4000c
	s_and_b32 s6, ttmp6, 15
	s_add_co_i32 s5, s5, 1
	s_getreg_b32 s7, hwreg(HW_REG_IB_STS2, 6, 4)
	s_mul_i32 s5, ttmp9, s5
	s_delay_alu instid0(SALU_CYCLE_1)
	s_add_co_i32 s6, s6, s5
	s_wait_kmcnt 0x0
	s_load_b64 s[2:3], s[2:3], 0x0
	s_and_b32 s4, s4, 0xffff
	s_cmp_eq_u32 s7, 0
	s_cselect_b32 s5, ttmp9, s6
	s_delay_alu instid0(SALU_CYCLE_1) | instskip(NEXT) | instid1(VALU_DEP_1)
	v_mad_u32 v2, s5, s4, v0
	v_ashrrev_i32_e32 v3, 31, v2
	s_wait_kmcnt 0x0
	s_delay_alu instid0(VALU_DEP_1)
	v_cmp_gt_i64_e32 vcc_lo, s[2:3], v[2:3]
	s_and_saveexec_b32 s2, vcc_lo
	s_cbranch_execz .LBB98_4
; %bb.1:
	s_load_b256 s[4:11], s[0:1], 0x0
	s_wait_kmcnt 0x0
	v_lshl_add_u64 v[0:1], v[2:3], 3, s[6:7]
	global_load_b64 v[0:1], v[0:1], off
	s_wait_loadcnt 0x0
	v_cmp_lt_i64_e32 vcc_lo, 0, v[0:1]
	s_and_b32 exec_lo, exec_lo, vcc_lo
	s_cbranch_execz .LBB98_4
; %bb.2:
	v_lshlrev_b64_e32 v[2:3], 3, v[2:3]
	s_mov_b32 s0, 0
	s_delay_alu instid0(VALU_DEP_1)
	v_add_nc_u64_e32 v[4:5], s[8:9], v[2:3]
	v_add_nc_u64_e32 v[6:7], s[10:11], v[2:3]
	global_load_b64 v[8:9], v[4:5], off
	global_load_b64 v[2:3], v[6:7], off
	s_wait_loadcnt 0x1
	s_wait_xcnt 0x1
	v_lshl_add_u64 v[4:5], v[8:9], 3, s[4:5]
.LBB98_3:                               ; =>This Inner Loop Header: Depth=1
	v_add_nc_u64_e32 v[0:1], -1, v[0:1]
	s_wait_loadcnt 0x0
	global_store_b64 v[4:5], v[2:3], off
	s_wait_xcnt 0x0
	v_add_nc_u64_e32 v[2:3], 10, v[2:3]
	v_add_nc_u64_e32 v[4:5], 8, v[4:5]
	v_cmp_eq_u64_e32 vcc_lo, 0, v[0:1]
	s_or_b32 s0, vcc_lo, s0
	s_delay_alu instid0(SALU_CYCLE_1)
	s_and_not1_b32 exec_lo, exec_lo, s0
	s_cbranch_execnz .LBB98_3
.LBB98_4:
	s_endpgm
	.section	.rodata,"a",@progbits
	.p2align	6, 0x0
	.amdhsa_kernel _ZN2at6native12_GLOBAL__N_126krn_partial_segment_offsetIlEEvPT_PKS3_S6_S6_PKl
		.amdhsa_group_segment_fixed_size 0
		.amdhsa_private_segment_fixed_size 0
		.amdhsa_kernarg_size 296
		.amdhsa_user_sgpr_count 2
		.amdhsa_user_sgpr_dispatch_ptr 0
		.amdhsa_user_sgpr_queue_ptr 0
		.amdhsa_user_sgpr_kernarg_segment_ptr 1
		.amdhsa_user_sgpr_dispatch_id 0
		.amdhsa_user_sgpr_kernarg_preload_length 0
		.amdhsa_user_sgpr_kernarg_preload_offset 0
		.amdhsa_user_sgpr_private_segment_size 0
		.amdhsa_wavefront_size32 1
		.amdhsa_uses_dynamic_stack 0
		.amdhsa_enable_private_segment 0
		.amdhsa_system_sgpr_workgroup_id_x 1
		.amdhsa_system_sgpr_workgroup_id_y 0
		.amdhsa_system_sgpr_workgroup_id_z 0
		.amdhsa_system_sgpr_workgroup_info 0
		.amdhsa_system_vgpr_workitem_id 0
		.amdhsa_next_free_vgpr 10
		.amdhsa_next_free_sgpr 12
		.amdhsa_named_barrier_count 0
		.amdhsa_reserve_vcc 1
		.amdhsa_float_round_mode_32 0
		.amdhsa_float_round_mode_16_64 0
		.amdhsa_float_denorm_mode_32 3
		.amdhsa_float_denorm_mode_16_64 3
		.amdhsa_fp16_overflow 0
		.amdhsa_memory_ordered 1
		.amdhsa_forward_progress 1
		.amdhsa_inst_pref_size 3
		.amdhsa_round_robin_scheduling 0
		.amdhsa_exception_fp_ieee_invalid_op 0
		.amdhsa_exception_fp_denorm_src 0
		.amdhsa_exception_fp_ieee_div_zero 0
		.amdhsa_exception_fp_ieee_overflow 0
		.amdhsa_exception_fp_ieee_underflow 0
		.amdhsa_exception_fp_ieee_inexact 0
		.amdhsa_exception_int_div_zero 0
	.end_amdhsa_kernel
	.section	.text._ZN2at6native12_GLOBAL__N_126krn_partial_segment_offsetIlEEvPT_PKS3_S6_S6_PKl,"axG",@progbits,_ZN2at6native12_GLOBAL__N_126krn_partial_segment_offsetIlEEvPT_PKS3_S6_S6_PKl,comdat
.Lfunc_end98:
	.size	_ZN2at6native12_GLOBAL__N_126krn_partial_segment_offsetIlEEvPT_PKS3_S6_S6_PKl, .Lfunc_end98-_ZN2at6native12_GLOBAL__N_126krn_partial_segment_offsetIlEEvPT_PKS3_S6_S6_PKl
                                        ; -- End function
	.set _ZN2at6native12_GLOBAL__N_126krn_partial_segment_offsetIlEEvPT_PKS3_S6_S6_PKl.num_vgpr, 10
	.set _ZN2at6native12_GLOBAL__N_126krn_partial_segment_offsetIlEEvPT_PKS3_S6_S6_PKl.num_agpr, 0
	.set _ZN2at6native12_GLOBAL__N_126krn_partial_segment_offsetIlEEvPT_PKS3_S6_S6_PKl.numbered_sgpr, 12
	.set _ZN2at6native12_GLOBAL__N_126krn_partial_segment_offsetIlEEvPT_PKS3_S6_S6_PKl.num_named_barrier, 0
	.set _ZN2at6native12_GLOBAL__N_126krn_partial_segment_offsetIlEEvPT_PKS3_S6_S6_PKl.private_seg_size, 0
	.set _ZN2at6native12_GLOBAL__N_126krn_partial_segment_offsetIlEEvPT_PKS3_S6_S6_PKl.uses_vcc, 1
	.set _ZN2at6native12_GLOBAL__N_126krn_partial_segment_offsetIlEEvPT_PKS3_S6_S6_PKl.uses_flat_scratch, 0
	.set _ZN2at6native12_GLOBAL__N_126krn_partial_segment_offsetIlEEvPT_PKS3_S6_S6_PKl.has_dyn_sized_stack, 0
	.set _ZN2at6native12_GLOBAL__N_126krn_partial_segment_offsetIlEEvPT_PKS3_S6_S6_PKl.has_recursion, 0
	.set _ZN2at6native12_GLOBAL__N_126krn_partial_segment_offsetIlEEvPT_PKS3_S6_S6_PKl.has_indirect_call, 0
	.section	.AMDGPU.csdata,"",@progbits
; Kernel info:
; codeLenInByte = 280
; TotalNumSgprs: 14
; NumVgprs: 10
; ScratchSize: 0
; MemoryBound: 0
; FloatMode: 240
; IeeeMode: 1
; LDSByteSize: 0 bytes/workgroup (compile time only)
; SGPRBlocks: 0
; VGPRBlocks: 0
; NumSGPRsForWavesPerEU: 14
; NumVGPRsForWavesPerEU: 10
; NamedBarCnt: 0
; Occupancy: 16
; WaveLimiterHint : 0
; COMPUTE_PGM_RSRC2:SCRATCH_EN: 0
; COMPUTE_PGM_RSRC2:USER_SGPR: 2
; COMPUTE_PGM_RSRC2:TRAP_HANDLER: 0
; COMPUTE_PGM_RSRC2:TGID_X_EN: 1
; COMPUTE_PGM_RSRC2:TGID_Y_EN: 0
; COMPUTE_PGM_RSRC2:TGID_Z_EN: 0
; COMPUTE_PGM_RSRC2:TIDIG_COMP_CNT: 0
	.section	.text._ZN2at6native12_GLOBAL__N_126krn_partial_to_segment_idxIlEEvPT_PKS3_S6_PKl,"axG",@progbits,_ZN2at6native12_GLOBAL__N_126krn_partial_to_segment_idxIlEEvPT_PKS3_S6_PKl,comdat
	.globl	_ZN2at6native12_GLOBAL__N_126krn_partial_to_segment_idxIlEEvPT_PKS3_S6_PKl ; -- Begin function _ZN2at6native12_GLOBAL__N_126krn_partial_to_segment_idxIlEEvPT_PKS3_S6_PKl
	.p2align	8
	.type	_ZN2at6native12_GLOBAL__N_126krn_partial_to_segment_idxIlEEvPT_PKS3_S6_PKl,@function
_ZN2at6native12_GLOBAL__N_126krn_partial_to_segment_idxIlEEvPT_PKS3_S6_PKl: ; @_ZN2at6native12_GLOBAL__N_126krn_partial_to_segment_idxIlEEvPT_PKS3_S6_PKl
; %bb.0:
	s_clause 0x1
	s_load_b256 s[4:11], s[0:1], 0x0
	s_load_b32 s2, s[0:1], 0x2c
	s_wait_xcnt 0x0
	s_bfe_u32 s0, ttmp6, 0x4000c
	s_and_b32 s3, ttmp6, 15
	s_add_co_i32 s0, s0, 1
	s_getreg_b32 s12, hwreg(HW_REG_IB_STS2, 6, 4)
	s_mul_i32 s13, ttmp9, s0
	s_delay_alu instid0(SALU_CYCLE_1)
	s_add_co_i32 s3, s3, s13
	s_wait_kmcnt 0x0
	s_load_b64 s[0:1], s[10:11], 0x0
	s_and_b32 s2, s2, 0xffff
	s_cmp_eq_u32 s12, 0
	s_cselect_b32 s3, ttmp9, s3
	s_delay_alu instid0(SALU_CYCLE_1) | instskip(NEXT) | instid1(VALU_DEP_1)
	v_mad_u32 v0, s3, s2, v0
	v_ashrrev_i32_e32 v1, 31, v0
	s_wait_kmcnt 0x0
	s_delay_alu instid0(VALU_DEP_1)
	v_cmp_gt_i64_e32 vcc_lo, s[0:1], v[0:1]
	s_and_saveexec_b32 s0, vcc_lo
	s_cbranch_execz .LBB99_4
; %bb.1:
	v_lshl_add_u64 v[2:3], v[0:1], 3, s[6:7]
	global_load_b64 v[2:3], v[2:3], off
	s_wait_loadcnt 0x0
	v_cmp_lt_i64_e32 vcc_lo, 0, v[2:3]
	s_and_b32 exec_lo, exec_lo, vcc_lo
	s_cbranch_execz .LBB99_4
; %bb.2:
	v_lshl_add_u64 v[4:5], v[0:1], 3, s[8:9]
	s_mov_b32 s0, 0
	global_load_b64 v[4:5], v[4:5], off
	s_wait_loadcnt 0x0
	v_lshl_add_u64 v[4:5], v[4:5], 3, s[4:5]
.LBB99_3:                               ; =>This Inner Loop Header: Depth=1
	v_add_nc_u64_e32 v[2:3], -1, v[2:3]
	global_store_b64 v[4:5], v[0:1], off
	s_wait_xcnt 0x0
	v_add_nc_u64_e32 v[4:5], 8, v[4:5]
	v_cmp_eq_u64_e32 vcc_lo, 0, v[2:3]
	s_or_b32 s0, vcc_lo, s0
	s_delay_alu instid0(SALU_CYCLE_1)
	s_and_not1_b32 exec_lo, exec_lo, s0
	s_cbranch_execnz .LBB99_3
.LBB99_4:
	s_endpgm
	.section	.rodata,"a",@progbits
	.p2align	6, 0x0
	.amdhsa_kernel _ZN2at6native12_GLOBAL__N_126krn_partial_to_segment_idxIlEEvPT_PKS3_S6_PKl
		.amdhsa_group_segment_fixed_size 0
		.amdhsa_private_segment_fixed_size 0
		.amdhsa_kernarg_size 288
		.amdhsa_user_sgpr_count 2
		.amdhsa_user_sgpr_dispatch_ptr 0
		.amdhsa_user_sgpr_queue_ptr 0
		.amdhsa_user_sgpr_kernarg_segment_ptr 1
		.amdhsa_user_sgpr_dispatch_id 0
		.amdhsa_user_sgpr_kernarg_preload_length 0
		.amdhsa_user_sgpr_kernarg_preload_offset 0
		.amdhsa_user_sgpr_private_segment_size 0
		.amdhsa_wavefront_size32 1
		.amdhsa_uses_dynamic_stack 0
		.amdhsa_enable_private_segment 0
		.amdhsa_system_sgpr_workgroup_id_x 1
		.amdhsa_system_sgpr_workgroup_id_y 0
		.amdhsa_system_sgpr_workgroup_id_z 0
		.amdhsa_system_sgpr_workgroup_info 0
		.amdhsa_system_vgpr_workitem_id 0
		.amdhsa_next_free_vgpr 6
		.amdhsa_next_free_sgpr 14
		.amdhsa_named_barrier_count 0
		.amdhsa_reserve_vcc 1
		.amdhsa_float_round_mode_32 0
		.amdhsa_float_round_mode_16_64 0
		.amdhsa_float_denorm_mode_32 3
		.amdhsa_float_denorm_mode_16_64 3
		.amdhsa_fp16_overflow 0
		.amdhsa_memory_ordered 1
		.amdhsa_forward_progress 1
		.amdhsa_inst_pref_size 2
		.amdhsa_round_robin_scheduling 0
		.amdhsa_exception_fp_ieee_invalid_op 0
		.amdhsa_exception_fp_denorm_src 0
		.amdhsa_exception_fp_ieee_div_zero 0
		.amdhsa_exception_fp_ieee_overflow 0
		.amdhsa_exception_fp_ieee_underflow 0
		.amdhsa_exception_fp_ieee_inexact 0
		.amdhsa_exception_int_div_zero 0
	.end_amdhsa_kernel
	.section	.text._ZN2at6native12_GLOBAL__N_126krn_partial_to_segment_idxIlEEvPT_PKS3_S6_PKl,"axG",@progbits,_ZN2at6native12_GLOBAL__N_126krn_partial_to_segment_idxIlEEvPT_PKS3_S6_PKl,comdat
.Lfunc_end99:
	.size	_ZN2at6native12_GLOBAL__N_126krn_partial_to_segment_idxIlEEvPT_PKS3_S6_PKl, .Lfunc_end99-_ZN2at6native12_GLOBAL__N_126krn_partial_to_segment_idxIlEEvPT_PKS3_S6_PKl
                                        ; -- End function
	.set _ZN2at6native12_GLOBAL__N_126krn_partial_to_segment_idxIlEEvPT_PKS3_S6_PKl.num_vgpr, 6
	.set _ZN2at6native12_GLOBAL__N_126krn_partial_to_segment_idxIlEEvPT_PKS3_S6_PKl.num_agpr, 0
	.set _ZN2at6native12_GLOBAL__N_126krn_partial_to_segment_idxIlEEvPT_PKS3_S6_PKl.numbered_sgpr, 14
	.set _ZN2at6native12_GLOBAL__N_126krn_partial_to_segment_idxIlEEvPT_PKS3_S6_PKl.num_named_barrier, 0
	.set _ZN2at6native12_GLOBAL__N_126krn_partial_to_segment_idxIlEEvPT_PKS3_S6_PKl.private_seg_size, 0
	.set _ZN2at6native12_GLOBAL__N_126krn_partial_to_segment_idxIlEEvPT_PKS3_S6_PKl.uses_vcc, 1
	.set _ZN2at6native12_GLOBAL__N_126krn_partial_to_segment_idxIlEEvPT_PKS3_S6_PKl.uses_flat_scratch, 0
	.set _ZN2at6native12_GLOBAL__N_126krn_partial_to_segment_idxIlEEvPT_PKS3_S6_PKl.has_dyn_sized_stack, 0
	.set _ZN2at6native12_GLOBAL__N_126krn_partial_to_segment_idxIlEEvPT_PKS3_S6_PKl.has_recursion, 0
	.set _ZN2at6native12_GLOBAL__N_126krn_partial_to_segment_idxIlEEvPT_PKS3_S6_PKl.has_indirect_call, 0
	.section	.AMDGPU.csdata,"",@progbits
; Kernel info:
; codeLenInByte = 240
; TotalNumSgprs: 16
; NumVgprs: 6
; ScratchSize: 0
; MemoryBound: 0
; FloatMode: 240
; IeeeMode: 1
; LDSByteSize: 0 bytes/workgroup (compile time only)
; SGPRBlocks: 0
; VGPRBlocks: 0
; NumSGPRsForWavesPerEU: 16
; NumVGPRsForWavesPerEU: 6
; NamedBarCnt: 0
; Occupancy: 16
; WaveLimiterHint : 0
; COMPUTE_PGM_RSRC2:SCRATCH_EN: 0
; COMPUTE_PGM_RSRC2:USER_SGPR: 2
; COMPUTE_PGM_RSRC2:TRAP_HANDLER: 0
; COMPUTE_PGM_RSRC2:TGID_X_EN: 1
; COMPUTE_PGM_RSRC2:TGID_Y_EN: 0
; COMPUTE_PGM_RSRC2:TGID_Z_EN: 0
; COMPUTE_PGM_RSRC2:TIDIG_COMP_CNT: 0
	.section	.text._ZN2at6native12_GLOBAL__N_137compute_grad_weight_atomic_accumulateIddlEEvPKT1_PKT_S5_llS5_PKlS5_S5_S5_PT0_ll,"axG",@progbits,_ZN2at6native12_GLOBAL__N_137compute_grad_weight_atomic_accumulateIddlEEvPKT1_PKT_S5_llS5_PKlS5_S5_S5_PT0_ll,comdat
	.globl	_ZN2at6native12_GLOBAL__N_137compute_grad_weight_atomic_accumulateIddlEEvPKT1_PKT_S5_llS5_PKlS5_S5_S5_PT0_ll ; -- Begin function _ZN2at6native12_GLOBAL__N_137compute_grad_weight_atomic_accumulateIddlEEvPKT1_PKT_S5_llS5_PKlS5_S5_S5_PT0_ll
	.p2align	8
	.type	_ZN2at6native12_GLOBAL__N_137compute_grad_weight_atomic_accumulateIddlEEvPKT1_PKT_S5_llS5_PKlS5_S5_S5_PT0_ll,@function
_ZN2at6native12_GLOBAL__N_137compute_grad_weight_atomic_accumulateIddlEEvPKT1_PKT_S5_llS5_PKlS5_S5_S5_PT0_ll: ; @_ZN2at6native12_GLOBAL__N_137compute_grad_weight_atomic_accumulateIddlEEvPKT1_PKT_S5_llS5_PKlS5_S5_S5_PT0_ll
; %bb.0:
	s_clause 0x1
	s_load_b32 s2, s[0:1], 0x74
	s_load_b64 s[20:21], s[0:1], 0x60
	s_bfe_u32 s3, ttmp6, 0x4000c
	s_and_b32 s4, ttmp6, 15
	s_add_co_i32 s3, s3, 1
	s_getreg_b32 s5, hwreg(HW_REG_IB_STS2, 6, 4)
	s_mul_i32 s3, ttmp9, s3
                                        ; implicit-def: $vgpr2_vgpr3
	v_mov_b32_e32 v4, 0
	s_add_co_i32 s4, s4, s3
	s_wait_kmcnt 0x0
	s_and_b32 s2, s2, 0xffff
	s_cmp_eq_u32 s5, 0
	s_cselect_b32 s3, ttmp9, s4
	s_delay_alu instid0(SALU_CYCLE_1) | instskip(SKIP_2) | instid1(VALU_DEP_1)
	v_mad_u32 v0, s3, s2, v0
	s_mov_b32 s3, 0
	s_mov_b32 s2, exec_lo
	v_ashrrev_i32_e32 v1, 31, v0
	s_delay_alu instid0(VALU_DEP_1) | instskip(NEXT) | instid1(VALU_DEP_1)
	v_or_b32_e32 v5, s21, v1
	v_cmpx_ne_u64_e32 0, v[4:5]
	s_xor_b32 s8, exec_lo, s2
	s_cbranch_execz .LBB100_2
; %bb.1:
	s_ashr_i32 s4, s21, 31
	v_dual_mov_b32 v9, v4 :: v_dual_ashrrev_i32 v2, 31, v1
	s_mov_b32 s5, s4
	v_mov_b32_e32 v11, v4
	s_add_nc_u64 s[6:7], s[20:21], s[4:5]
	s_delay_alu instid0(VALU_DEP_2)
	v_mov_b32_e32 v3, v2
	s_xor_b64 s[6:7], s[6:7], s[4:5]
	v_mov_b32_e32 v17, v4
	s_cvt_f32_u32 s2, s6
	s_cvt_f32_u32 s5, s7
	s_sub_nc_u64 s[12:13], 0, s[6:7]
	v_add_nc_u64_e32 v[6:7], v[0:1], v[2:3]
	v_mov_b32_e32 v5, v4
	s_fmamk_f32 s2, s5, 0x4f800000, s2
	s_delay_alu instid0(SALU_CYCLE_3) | instskip(NEXT) | instid1(VALU_DEP_2)
	v_s_rcp_f32 s2, s2
	v_xor_b32_e32 v8, v6, v2
	s_delay_alu instid0(VALU_DEP_3) | instskip(SKIP_1) | instid1(TRANS32_DEP_1)
	v_xor_b32_e32 v10, v7, v2
	v_xor_b32_e32 v2, s4, v2
	s_mul_f32 s2, s2, 0x5f7ffffc
	s_delay_alu instid0(SALU_CYCLE_3) | instskip(NEXT) | instid1(SALU_CYCLE_3)
	s_mul_f32 s5, s2, 0x2f800000
	s_trunc_f32 s5, s5
	s_delay_alu instid0(SALU_CYCLE_3) | instskip(SKIP_1) | instid1(SALU_CYCLE_2)
	s_fmamk_f32 s2, s5, 0xcf800000, s2
	s_cvt_u32_f32 s11, s5
	s_cvt_u32_f32 s10, s2
	s_delay_alu instid0(SALU_CYCLE_3) | instskip(NEXT) | instid1(SALU_CYCLE_1)
	s_mul_u64 s[14:15], s[12:13], s[10:11]
	s_mul_hi_u32 s17, s10, s15
	s_mul_i32 s16, s10, s15
	s_mul_hi_u32 s2, s10, s14
	s_mul_i32 s9, s11, s14
	s_add_nc_u64 s[16:17], s[2:3], s[16:17]
	s_mul_hi_u32 s5, s11, s14
	s_mul_hi_u32 s18, s11, s15
	s_add_co_u32 s2, s16, s9
	s_add_co_ci_u32 s2, s17, s5
	s_mul_i32 s14, s11, s15
	s_add_co_ci_u32 s15, s18, 0
	s_delay_alu instid0(SALU_CYCLE_1) | instskip(NEXT) | instid1(SALU_CYCLE_1)
	s_add_nc_u64 s[14:15], s[2:3], s[14:15]
	s_add_co_u32 s10, s10, s14
	s_cselect_b32 s2, -1, 0
	s_delay_alu instid0(SALU_CYCLE_1) | instskip(SKIP_1) | instid1(SALU_CYCLE_1)
	s_cmp_lg_u32 s2, 0
	s_add_co_ci_u32 s11, s11, s15
	s_mul_u64 s[12:13], s[12:13], s[10:11]
	s_delay_alu instid0(SALU_CYCLE_1)
	s_mul_hi_u32 s15, s10, s13
	s_mul_i32 s14, s10, s13
	s_mul_hi_u32 s2, s10, s12
	s_mul_i32 s9, s11, s12
	s_add_nc_u64 s[14:15], s[2:3], s[14:15]
	s_mul_hi_u32 s5, s11, s12
	s_mul_hi_u32 s16, s11, s13
	s_add_co_u32 s2, s14, s9
	s_add_co_ci_u32 s2, s15, s5
	s_mul_i32 s12, s11, s13
	s_add_co_ci_u32 s13, s16, 0
	s_delay_alu instid0(SALU_CYCLE_1) | instskip(NEXT) | instid1(SALU_CYCLE_1)
	s_add_nc_u64 s[12:13], s[2:3], s[12:13]
	s_add_co_u32 s10, s10, s12
	s_cselect_b32 s2, -1, 0
	v_mul_hi_u32 v16, v8, s10
	s_cmp_lg_u32 s2, 0
	s_add_co_ci_u32 s2, s11, s13
	s_mov_b64 s[12:13], 0xffffffff
	v_mul_u64_e32 v[12:13], s[2:3], v[8:9]
	s_and_b64 s[12:13], s[10:11], s[12:13]
	v_mul_u64_e32 v[14:15], s[2:3], v[10:11]
	v_mul_u64_e32 v[6:7], s[12:13], v[10:11]
	s_delay_alu instid0(VALU_DEP_3) | instskip(NEXT) | instid1(VALU_DEP_1)
	v_add_nc_u64_e32 v[12:13], v[16:17], v[12:13]
	v_add_co_u32 v3, vcc_lo, v12, v6
	s_delay_alu instid0(VALU_DEP_2) | instskip(SKIP_1) | instid1(VALU_DEP_1)
	v_add_co_ci_u32_e32 v4, vcc_lo, v13, v7, vcc_lo
	v_add_co_ci_u32_e32 v15, vcc_lo, 0, v15, vcc_lo
	v_add_nc_u64_e32 v[4:5], v[4:5], v[14:15]
	s_delay_alu instid0(VALU_DEP_1) | instskip(NEXT) | instid1(VALU_DEP_1)
	v_mul_u64_e32 v[6:7], s[6:7], v[4:5]
	v_sub_nc_u32_e32 v3, v10, v7
	s_delay_alu instid0(VALU_DEP_2) | instskip(NEXT) | instid1(VALU_DEP_1)
	v_sub_co_u32 v6, vcc_lo, v8, v6
	v_sub_co_ci_u32_e64 v10, null, v10, v7, vcc_lo
	s_delay_alu instid0(VALU_DEP_3) | instskip(NEXT) | instid1(VALU_DEP_3)
	v_subrev_co_ci_u32_e64 v3, null, s7, v3, vcc_lo
	v_sub_co_u32 v8, s2, v6, s6
	s_delay_alu instid0(VALU_DEP_1) | instskip(NEXT) | instid1(VALU_DEP_2)
	v_subrev_co_ci_u32_e64 v3, null, 0, v3, s2
	v_cmp_le_u32_e32 vcc_lo, s6, v8
	v_cndmask_b32_e64 v7, 0, -1, vcc_lo
	s_delay_alu instid0(VALU_DEP_3)
	v_cmp_le_u32_e32 vcc_lo, s7, v3
	v_cndmask_b32_e64 v8, 0, -1, vcc_lo
	v_cmp_le_u32_e32 vcc_lo, s6, v6
	v_cndmask_b32_e64 v11, 0, -1, vcc_lo
	;; [unrolled: 2-line block ×3, first 2 shown]
	v_cmp_eq_u32_e32 vcc_lo, s7, v3
	v_cndmask_b32_e32 v3, v8, v7, vcc_lo
	v_cmp_eq_u32_e32 vcc_lo, s7, v10
	v_add_nc_u64_e32 v[6:7], 2, v[4:5]
	v_add_nc_u64_e32 v[8:9], 1, v[4:5]
	v_cndmask_b32_e32 v10, v12, v11, vcc_lo
	v_cmp_ne_u32_e32 vcc_lo, 0, v3
	s_delay_alu instid0(VALU_DEP_2) | instskip(NEXT) | instid1(VALU_DEP_4)
	v_cmp_ne_u32_e64 s2, 0, v10
	v_dual_cndmask_b32 v6, v8, v6 :: v_dual_cndmask_b32 v3, v9, v7
	s_delay_alu instid0(VALU_DEP_1) | instskip(NEXT) | instid1(VALU_DEP_1)
	v_dual_cndmask_b32 v4, v4, v6, s2 :: v_dual_cndmask_b32 v5, v5, v3, s2
	v_dual_mov_b32 v3, v2 :: v_dual_bitop2_b32 v4, v4, v2 bitop3:0x14
	s_delay_alu instid0(VALU_DEP_2) | instskip(NEXT) | instid1(VALU_DEP_1)
	v_xor_b32_e32 v5, v5, v2
	v_sub_nc_u64_e32 v[2:3], v[4:5], v[2:3]
.LBB100_2:
	s_or_saveexec_b32 s2, s8
	s_load_b512 s[4:19], s[0:1], 0x0
	s_xor_b32 exec_lo, exec_lo, s2
	s_cbranch_execz .LBB100_4
; %bb.3:
	v_cvt_f32_u32_e32 v2, s20
	s_sub_co_i32 s3, 0, s20
	s_delay_alu instid0(VALU_DEP_1) | instskip(SKIP_1) | instid1(TRANS32_DEP_1)
	v_rcp_iflag_f32_e32 v2, v2
	v_nop
	v_mul_f32_e32 v2, 0x4f7ffffe, v2
	s_delay_alu instid0(VALU_DEP_1) | instskip(NEXT) | instid1(VALU_DEP_1)
	v_cvt_u32_f32_e32 v2, v2
	v_mul_lo_u32 v3, s3, v2
	s_delay_alu instid0(VALU_DEP_1) | instskip(NEXT) | instid1(VALU_DEP_1)
	v_mul_hi_u32 v3, v2, v3
	v_add_nc_u32_e32 v2, v2, v3
	s_delay_alu instid0(VALU_DEP_1) | instskip(NEXT) | instid1(VALU_DEP_1)
	v_mul_hi_u32 v2, v0, v2
	v_mul_lo_u32 v3, v2, s20
	s_delay_alu instid0(VALU_DEP_1) | instskip(NEXT) | instid1(VALU_DEP_1)
	v_dual_add_nc_u32 v4, 1, v2 :: v_dual_sub_nc_u32 v3, v0, v3
	v_subrev_nc_u32_e32 v5, s20, v3
	v_cmp_le_u32_e32 vcc_lo, s20, v3
	s_delay_alu instid0(VALU_DEP_2) | instskip(NEXT) | instid1(VALU_DEP_1)
	v_dual_cndmask_b32 v3, v3, v5 :: v_dual_cndmask_b32 v2, v2, v4
	v_cmp_le_u32_e32 vcc_lo, s20, v3
	s_delay_alu instid0(VALU_DEP_2) | instskip(NEXT) | instid1(VALU_DEP_1)
	v_dual_mov_b32 v3, 0 :: v_dual_add_nc_u32 v4, 1, v2
	v_cndmask_b32_e32 v2, v2, v4, vcc_lo
.LBB100_4:
	s_or_b32 exec_lo, exec_lo, s2
	s_delay_alu instid0(VALU_DEP_1) | instskip(SKIP_1) | instid1(VALU_DEP_1)
	v_mul_u64_e32 v[4:5], s[20:21], v[2:3]
	s_mov_b32 s2, exec_lo
	v_sub_nc_u64_e32 v[0:1], v[0:1], v[4:5]
	s_wait_kmcnt 0x0
	s_delay_alu instid0(VALU_DEP_1)
	v_cmpx_gt_i64_e64 s[12:13], v[0:1]
	s_cbranch_execz .LBB100_17
; %bb.5:
	s_load_b64 s[2:3], s[16:17], 0x0
	v_ashrrev_i32_e32 v3, 31, v2
	s_wait_kmcnt 0x0
	s_delay_alu instid0(VALU_DEP_1)
	v_cmp_gt_i64_e32 vcc_lo, s[2:3], v[2:3]
	s_and_b32 exec_lo, exec_lo, vcc_lo
	s_cbranch_execz .LBB100_17
; %bb.6:
	v_lshl_add_u64 v[4:5], v[2:3], 3, s[14:15]
	s_load_b256 s[20:27], s[0:1], 0x40
	s_wait_xcnt 0x0
	s_add_nc_u64 s[0:1], s[2:3], -1
	v_mov_b64_e32 v[8:9], s[10:11]
	v_cmp_ne_u64_e32 vcc_lo, s[0:1], v[2:3]
	global_load_b64 v[4:5], v[4:5], off
	s_wait_xcnt 0x0
	s_and_saveexec_b32 s0, vcc_lo
	s_cbranch_execz .LBB100_8
; %bb.7:
	v_dual_mov_b32 v6, 0 :: v_dual_add_nc_u32 v7, 1, v2
	s_delay_alu instid0(VALU_DEP_1) | instskip(NEXT) | instid1(VALU_DEP_1)
	v_ashrrev_i64 v[6:7], 29, v[6:7]
	v_add_nc_u64_e32 v[6:7], s[14:15], v[6:7]
	global_load_b64 v[8:9], v[6:7], off
.LBB100_8:
	s_wait_xcnt 0x0
	s_or_b32 exec_lo, exec_lo, s0
	v_mov_b64_e32 v[6:7], 0
	s_mov_b32 s0, exec_lo
	s_wait_loadcnt 0x0
	v_cmpx_lt_i64_e64 v[4:5], v[8:9]
	s_cbranch_execz .LBB100_15
; %bb.9:
	v_lshlrev_b64_e32 v[6:7], 3, v[4:5]
	v_lshl_add_u64 v[10:11], v[0:1], 3, s[6:7]
	s_cmp_lg_u64 s[8:9], 0
	s_mov_b32 s2, 0
	s_cselect_b32 s1, -1, 0
	s_delay_alu instid0(VALU_DEP_2)
	v_add_nc_u64_e32 v[12:13], s[8:9], v[6:7]
	v_add_nc_u64_e32 v[14:15], s[4:5], v[6:7]
	v_mov_b64_e32 v[6:7], 0
	s_branch .LBB100_12
.LBB100_10:                             ;   in Loop: Header=BB100_12 Depth=1
	global_load_b64 v[18:19], v[12:13], off
	s_wait_loadcnt 0x0
	v_cvt_f64_i32_e32 v[20:21], v19
	v_cvt_f64_u32_e32 v[18:19], v18
	s_delay_alu instid0(VALU_DEP_2) | instskip(NEXT) | instid1(VALU_DEP_1)
	v_ldexp_f64 v[20:21], v[20:21], 32
	v_add_f64_e32 v[18:19], v[20:21], v[18:19]
	s_delay_alu instid0(VALU_DEP_1) | instskip(NEXT) | instid1(VALU_DEP_1)
	v_div_scale_f64 v[20:21], null, v[18:19], v[18:19], 1.0
	v_rcp_f64_e32 v[22:23], v[20:21]
	v_nop
	s_delay_alu instid0(TRANS32_DEP_1) | instskip(NEXT) | instid1(VALU_DEP_1)
	v_fma_f64 v[24:25], -v[20:21], v[22:23], 1.0
	v_fmac_f64_e32 v[22:23], v[22:23], v[24:25]
	s_delay_alu instid0(VALU_DEP_1) | instskip(NEXT) | instid1(VALU_DEP_1)
	v_fma_f64 v[24:25], -v[20:21], v[22:23], 1.0
	v_fmac_f64_e32 v[22:23], v[22:23], v[24:25]
	v_div_scale_f64 v[24:25], vcc_lo, 1.0, v[18:19], 1.0
	s_delay_alu instid0(VALU_DEP_1) | instskip(NEXT) | instid1(VALU_DEP_1)
	v_mul_f64_e32 v[26:27], v[24:25], v[22:23]
	v_fma_f64 v[20:21], -v[20:21], v[26:27], v[24:25]
	s_delay_alu instid0(VALU_DEP_1) | instskip(NEXT) | instid1(VALU_DEP_1)
	v_div_fmas_f64 v[20:21], v[20:21], v[22:23], v[26:27]
	v_div_fixup_f64 v[18:19], v[20:21], v[18:19], 1.0
.LBB100_11:                             ;   in Loop: Header=BB100_12 Depth=1
	s_wait_loadcnt 0x0
	v_mul_u64_e32 v[16:17], s[12:13], v[16:17]
	v_add_nc_u64_e32 v[4:5], 1, v[4:5]
	v_add_nc_u64_e32 v[12:13], 8, v[12:13]
	;; [unrolled: 1-line block ×3, first 2 shown]
	s_delay_alu instid0(VALU_DEP_3)
	v_cmp_ge_i64_e32 vcc_lo, v[4:5], v[8:9]
	s_or_b32 s2, vcc_lo, s2
	v_lshl_add_u64 v[16:17], v[16:17], 3, v[10:11]
	global_load_b64 v[16:17], v[16:17], off
	s_wait_loadcnt 0x0
	v_fmac_f64_e32 v[6:7], v[18:19], v[16:17]
	s_and_not1_b32 exec_lo, exec_lo, s2
	s_cbranch_execz .LBB100_14
.LBB100_12:                             ; =>This Inner Loop Header: Depth=1
	global_load_b64 v[16:17], v[14:15], off
	s_and_not1_b32 vcc_lo, exec_lo, s1
	s_cbranch_vccz .LBB100_10
; %bb.13:                               ;   in Loop: Header=BB100_12 Depth=1
	v_mov_b64_e32 v[18:19], 1.0
	s_branch .LBB100_11
.LBB100_14:
	s_or_b32 exec_lo, exec_lo, s2
.LBB100_15:
	s_delay_alu instid0(SALU_CYCLE_1)
	s_or_b32 exec_lo, exec_lo, s0
	s_wait_kmcnt 0x0
	v_lshl_add_u64 v[2:3], v[2:3], 3, s[20:21]
	global_load_b64 v[2:3], v[2:3], off
	s_wait_loadcnt 0x0
	v_lshl_add_u64 v[2:3], v[2:3], 3, s[22:23]
	global_load_b64 v[2:3], v[2:3], off
	s_wait_loadcnt 0x0
	;; [unrolled: 3-line block ×3, first 2 shown]
	v_cmp_ne_u64_e32 vcc_lo, s[26:27], v[2:3]
	s_and_b32 exec_lo, exec_lo, vcc_lo
	s_cbranch_execz .LBB100_17
; %bb.16:
	v_mul_u64_e32 v[2:3], s[12:13], v[2:3]
	s_delay_alu instid0(VALU_DEP_1) | instskip(NEXT) | instid1(VALU_DEP_1)
	v_lshl_add_u64 v[2:3], v[2:3], 3, s[24:25]
	v_lshl_add_u64 v[0:1], v[0:1], 3, v[2:3]
	global_atomic_add_f64 v[0:1], v[6:7], off scope:SCOPE_DEV
.LBB100_17:
	s_endpgm
	.section	.rodata,"a",@progbits
	.p2align	6, 0x0
	.amdhsa_kernel _ZN2at6native12_GLOBAL__N_137compute_grad_weight_atomic_accumulateIddlEEvPKT1_PKT_S5_llS5_PKlS5_S5_S5_PT0_ll
		.amdhsa_group_segment_fixed_size 0
		.amdhsa_private_segment_fixed_size 0
		.amdhsa_kernarg_size 360
		.amdhsa_user_sgpr_count 2
		.amdhsa_user_sgpr_dispatch_ptr 0
		.amdhsa_user_sgpr_queue_ptr 0
		.amdhsa_user_sgpr_kernarg_segment_ptr 1
		.amdhsa_user_sgpr_dispatch_id 0
		.amdhsa_user_sgpr_kernarg_preload_length 0
		.amdhsa_user_sgpr_kernarg_preload_offset 0
		.amdhsa_user_sgpr_private_segment_size 0
		.amdhsa_wavefront_size32 1
		.amdhsa_uses_dynamic_stack 0
		.amdhsa_enable_private_segment 0
		.amdhsa_system_sgpr_workgroup_id_x 1
		.amdhsa_system_sgpr_workgroup_id_y 0
		.amdhsa_system_sgpr_workgroup_id_z 0
		.amdhsa_system_sgpr_workgroup_info 0
		.amdhsa_system_vgpr_workitem_id 0
		.amdhsa_next_free_vgpr 28
		.amdhsa_next_free_sgpr 28
		.amdhsa_named_barrier_count 0
		.amdhsa_reserve_vcc 1
		.amdhsa_float_round_mode_32 0
		.amdhsa_float_round_mode_16_64 0
		.amdhsa_float_denorm_mode_32 3
		.amdhsa_float_denorm_mode_16_64 3
		.amdhsa_fp16_overflow 0
		.amdhsa_memory_ordered 1
		.amdhsa_forward_progress 1
		.amdhsa_inst_pref_size 12
		.amdhsa_round_robin_scheduling 0
		.amdhsa_exception_fp_ieee_invalid_op 0
		.amdhsa_exception_fp_denorm_src 0
		.amdhsa_exception_fp_ieee_div_zero 0
		.amdhsa_exception_fp_ieee_overflow 0
		.amdhsa_exception_fp_ieee_underflow 0
		.amdhsa_exception_fp_ieee_inexact 0
		.amdhsa_exception_int_div_zero 0
	.end_amdhsa_kernel
	.section	.text._ZN2at6native12_GLOBAL__N_137compute_grad_weight_atomic_accumulateIddlEEvPKT1_PKT_S5_llS5_PKlS5_S5_S5_PT0_ll,"axG",@progbits,_ZN2at6native12_GLOBAL__N_137compute_grad_weight_atomic_accumulateIddlEEvPKT1_PKT_S5_llS5_PKlS5_S5_S5_PT0_ll,comdat
.Lfunc_end100:
	.size	_ZN2at6native12_GLOBAL__N_137compute_grad_weight_atomic_accumulateIddlEEvPKT1_PKT_S5_llS5_PKlS5_S5_S5_PT0_ll, .Lfunc_end100-_ZN2at6native12_GLOBAL__N_137compute_grad_weight_atomic_accumulateIddlEEvPKT1_PKT_S5_llS5_PKlS5_S5_S5_PT0_ll
                                        ; -- End function
	.set _ZN2at6native12_GLOBAL__N_137compute_grad_weight_atomic_accumulateIddlEEvPKT1_PKT_S5_llS5_PKlS5_S5_S5_PT0_ll.num_vgpr, 28
	.set _ZN2at6native12_GLOBAL__N_137compute_grad_weight_atomic_accumulateIddlEEvPKT1_PKT_S5_llS5_PKlS5_S5_S5_PT0_ll.num_agpr, 0
	.set _ZN2at6native12_GLOBAL__N_137compute_grad_weight_atomic_accumulateIddlEEvPKT1_PKT_S5_llS5_PKlS5_S5_S5_PT0_ll.numbered_sgpr, 28
	.set _ZN2at6native12_GLOBAL__N_137compute_grad_weight_atomic_accumulateIddlEEvPKT1_PKT_S5_llS5_PKlS5_S5_S5_PT0_ll.num_named_barrier, 0
	.set _ZN2at6native12_GLOBAL__N_137compute_grad_weight_atomic_accumulateIddlEEvPKT1_PKT_S5_llS5_PKlS5_S5_S5_PT0_ll.private_seg_size, 0
	.set _ZN2at6native12_GLOBAL__N_137compute_grad_weight_atomic_accumulateIddlEEvPKT1_PKT_S5_llS5_PKlS5_S5_S5_PT0_ll.uses_vcc, 1
	.set _ZN2at6native12_GLOBAL__N_137compute_grad_weight_atomic_accumulateIddlEEvPKT1_PKT_S5_llS5_PKlS5_S5_S5_PT0_ll.uses_flat_scratch, 0
	.set _ZN2at6native12_GLOBAL__N_137compute_grad_weight_atomic_accumulateIddlEEvPKT1_PKT_S5_llS5_PKlS5_S5_S5_PT0_ll.has_dyn_sized_stack, 0
	.set _ZN2at6native12_GLOBAL__N_137compute_grad_weight_atomic_accumulateIddlEEvPKT1_PKT_S5_llS5_PKlS5_S5_S5_PT0_ll.has_recursion, 0
	.set _ZN2at6native12_GLOBAL__N_137compute_grad_weight_atomic_accumulateIddlEEvPKT1_PKT_S5_llS5_PKlS5_S5_S5_PT0_ll.has_indirect_call, 0
	.section	.AMDGPU.csdata,"",@progbits
; Kernel info:
; codeLenInByte = 1448
; TotalNumSgprs: 30
; NumVgprs: 28
; ScratchSize: 0
; MemoryBound: 0
; FloatMode: 240
; IeeeMode: 1
; LDSByteSize: 0 bytes/workgroup (compile time only)
; SGPRBlocks: 0
; VGPRBlocks: 1
; NumSGPRsForWavesPerEU: 30
; NumVGPRsForWavesPerEU: 28
; NamedBarCnt: 0
; Occupancy: 16
; WaveLimiterHint : 1
; COMPUTE_PGM_RSRC2:SCRATCH_EN: 0
; COMPUTE_PGM_RSRC2:USER_SGPR: 2
; COMPUTE_PGM_RSRC2:TRAP_HANDLER: 0
; COMPUTE_PGM_RSRC2:TGID_X_EN: 1
; COMPUTE_PGM_RSRC2:TGID_Y_EN: 0
; COMPUTE_PGM_RSRC2:TGID_Z_EN: 0
; COMPUTE_PGM_RSRC2:TIDIG_COMP_CNT: 0
	.section	.text._ZN2at6native12_GLOBAL__N_124compute_grad_weight_bagsIdlEEvPKT0_PKT_S5_S5_lliS5_S8_lS5_PKlPNS_14AccumulateTypeIS6_Lb1EE4typeEl,"axG",@progbits,_ZN2at6native12_GLOBAL__N_124compute_grad_weight_bagsIdlEEvPKT0_PKT_S5_S5_lliS5_S8_lS5_PKlPNS_14AccumulateTypeIS6_Lb1EE4typeEl,comdat
	.globl	_ZN2at6native12_GLOBAL__N_124compute_grad_weight_bagsIdlEEvPKT0_PKT_S5_S5_lliS5_S8_lS5_PKlPNS_14AccumulateTypeIS6_Lb1EE4typeEl ; -- Begin function _ZN2at6native12_GLOBAL__N_124compute_grad_weight_bagsIdlEEvPKT0_PKT_S5_S5_lliS5_S8_lS5_PKlPNS_14AccumulateTypeIS6_Lb1EE4typeEl
	.p2align	8
	.type	_ZN2at6native12_GLOBAL__N_124compute_grad_weight_bagsIdlEEvPKT0_PKT_S5_S5_lliS5_S8_lS5_PKlPNS_14AccumulateTypeIS6_Lb1EE4typeEl,@function
_ZN2at6native12_GLOBAL__N_124compute_grad_weight_bagsIdlEEvPKT0_PKT_S5_S5_lliS5_S8_lS5_PKlPNS_14AccumulateTypeIS6_Lb1EE4typeEl: ; @_ZN2at6native12_GLOBAL__N_124compute_grad_weight_bagsIdlEEvPKT0_PKT_S5_S5_lliS5_S8_lS5_PKlPNS_14AccumulateTypeIS6_Lb1EE4typeEl
; %bb.0:
	s_load_b32 s2, s[0:1], 0x7c
	s_bfe_u32 s3, ttmp6, 0x4000c
	s_clause 0x1
	s_load_b64 s[4:5], s[0:1], 0x68
	s_load_b128 s[20:23], s[0:1], 0x58
	s_add_co_i32 s3, s3, 1
	s_and_b32 s6, ttmp6, 15
	s_mul_i32 s3, ttmp9, s3
	s_getreg_b32 s7, hwreg(HW_REG_IB_STS2, 6, 4)
	v_mov_b32_e32 v1, 0
	s_add_co_i32 s6, s6, s3
	s_wait_kmcnt 0x0
	s_and_b32 s2, s2, 0xffff
	s_cmp_eq_u32 s7, 0
	s_cselect_b32 s3, ttmp9, s6
	s_delay_alu instid0(SALU_CYCLE_1) | instskip(SKIP_1) | instid1(VALU_DEP_1)
	v_mad_nc_u64_u32 v[4:5], s2, s3, v[0:1]
	s_mov_b32 s3, 0
	v_dual_mov_b32 v2, v1 :: v_dual_bitop2_b32 v3, s5, v5 bitop3:0x54
	s_delay_alu instid0(VALU_DEP_1) | instskip(SKIP_1) | instid1(SALU_CYCLE_1)
	v_cmp_ne_u64_e32 vcc_lo, 0, v[2:3]
                                        ; implicit-def: $vgpr2_vgpr3
	s_and_saveexec_b32 s2, vcc_lo
	s_xor_b32 s10, exec_lo, s2
	s_cbranch_execz .LBB101_2
; %bb.1:
	s_ashr_i32 s6, s5, 31
	v_dual_mov_b32 v9, v1 :: v_dual_ashrrev_i32 v2, 31, v5
	s_mov_b32 s7, s6
	v_mov_b32_e32 v15, v1
	s_add_nc_u64 s[8:9], s[4:5], s[6:7]
	s_delay_alu instid0(VALU_DEP_2) | instskip(SKIP_1) | instid1(SALU_CYCLE_1)
	v_mov_b32_e32 v3, v2
	s_xor_b64 s[8:9], s[8:9], s[6:7]
	s_cvt_f32_u32 s2, s8
	s_cvt_f32_u32 s7, s9
	s_sub_nc_u64 s[14:15], 0, s[8:9]
	v_add_nc_u64_e32 v[6:7], v[4:5], v[2:3]
	s_delay_alu instid0(SALU_CYCLE_1) | instskip(NEXT) | instid1(SALU_CYCLE_3)
	s_fmamk_f32 s2, s7, 0x4f800000, s2
	v_s_rcp_f32 s2, s2
	s_delay_alu instid0(VALU_DEP_1) | instskip(NEXT) | instid1(VALU_DEP_2)
	v_xor_b32_e32 v0, v6, v2
	v_xor_b32_e32 v8, v7, v2
	s_delay_alu instid0(TRANS32_DEP_1) | instskip(NEXT) | instid1(SALU_CYCLE_3)
	s_mul_f32 s2, s2, 0x5f7ffffc
	s_mul_f32 s7, s2, 0x2f800000
	s_delay_alu instid0(SALU_CYCLE_3) | instskip(NEXT) | instid1(SALU_CYCLE_3)
	s_trunc_f32 s7, s7
	s_fmamk_f32 s2, s7, 0xcf800000, s2
	s_cvt_u32_f32 s13, s7
	s_delay_alu instid0(SALU_CYCLE_2) | instskip(NEXT) | instid1(SALU_CYCLE_3)
	s_cvt_u32_f32 s12, s2
	s_mul_u64 s[16:17], s[14:15], s[12:13]
	s_delay_alu instid0(SALU_CYCLE_1)
	s_mul_hi_u32 s19, s12, s17
	s_mul_i32 s18, s12, s17
	s_mul_hi_u32 s2, s12, s16
	s_mul_i32 s11, s13, s16
	s_add_nc_u64 s[18:19], s[2:3], s[18:19]
	s_mul_hi_u32 s7, s13, s16
	s_mul_hi_u32 s24, s13, s17
	s_add_co_u32 s2, s18, s11
	s_add_co_ci_u32 s2, s19, s7
	s_mul_i32 s16, s13, s17
	s_add_co_ci_u32 s17, s24, 0
	s_delay_alu instid0(SALU_CYCLE_1) | instskip(NEXT) | instid1(SALU_CYCLE_1)
	s_add_nc_u64 s[16:17], s[2:3], s[16:17]
	s_add_co_u32 s12, s12, s16
	s_cselect_b32 s2, -1, 0
	s_delay_alu instid0(SALU_CYCLE_1) | instskip(SKIP_1) | instid1(SALU_CYCLE_1)
	s_cmp_lg_u32 s2, 0
	s_add_co_ci_u32 s13, s13, s17
	s_mul_u64 s[14:15], s[14:15], s[12:13]
	s_delay_alu instid0(SALU_CYCLE_1)
	s_mul_hi_u32 s17, s12, s15
	s_mul_i32 s16, s12, s15
	s_mul_hi_u32 s2, s12, s14
	s_mul_i32 s11, s13, s14
	s_add_nc_u64 s[16:17], s[2:3], s[16:17]
	s_mul_hi_u32 s7, s13, s14
	s_mul_hi_u32 s18, s13, s15
	s_add_co_u32 s2, s16, s11
	s_add_co_ci_u32 s2, s17, s7
	s_mul_i32 s14, s13, s15
	s_add_co_ci_u32 s15, s18, 0
	s_delay_alu instid0(SALU_CYCLE_1) | instskip(NEXT) | instid1(SALU_CYCLE_1)
	s_add_nc_u64 s[14:15], s[2:3], s[14:15]
	s_add_co_u32 s12, s12, s14
	s_cselect_b32 s2, -1, 0
	v_mul_hi_u32 v14, v0, s12
	s_cmp_lg_u32 s2, 0
	s_add_co_ci_u32 s2, s13, s15
	s_mov_b64 s[14:15], 0xffffffff
	v_mul_u64_e32 v[10:11], s[2:3], v[0:1]
	s_and_b64 s[14:15], s[12:13], s[14:15]
	v_mul_u64_e32 v[12:13], s[2:3], v[8:9]
	v_mul_u64_e32 v[6:7], s[14:15], v[8:9]
	s_delay_alu instid0(VALU_DEP_3) | instskip(NEXT) | instid1(VALU_DEP_1)
	v_add_nc_u64_e32 v[10:11], v[14:15], v[10:11]
	v_add_co_u32 v1, vcc_lo, v10, v6
	s_delay_alu instid0(VALU_DEP_2) | instskip(SKIP_1) | instid1(VALU_DEP_1)
	v_add_co_ci_u32_e32 v14, vcc_lo, v11, v7, vcc_lo
	v_add_co_ci_u32_e32 v13, vcc_lo, 0, v13, vcc_lo
	v_add_nc_u64_e32 v[6:7], v[14:15], v[12:13]
	s_delay_alu instid0(VALU_DEP_1) | instskip(NEXT) | instid1(VALU_DEP_1)
	v_mul_u64_e32 v[10:11], s[8:9], v[6:7]
	v_sub_nc_u32_e32 v1, v8, v11
	s_delay_alu instid0(VALU_DEP_2) | instskip(NEXT) | instid1(VALU_DEP_1)
	v_sub_co_u32 v0, vcc_lo, v0, v10
	v_sub_co_ci_u32_e64 v10, null, v8, v11, vcc_lo
	s_delay_alu instid0(VALU_DEP_3) | instskip(NEXT) | instid1(VALU_DEP_3)
	v_subrev_co_ci_u32_e64 v1, null, s9, v1, vcc_lo
	v_sub_co_u32 v3, s2, v0, s8
	s_delay_alu instid0(VALU_DEP_1) | instskip(NEXT) | instid1(VALU_DEP_2)
	v_subrev_co_ci_u32_e64 v1, null, 0, v1, s2
	v_cmp_le_u32_e32 vcc_lo, s8, v3
	v_cndmask_b32_e64 v3, 0, -1, vcc_lo
	s_delay_alu instid0(VALU_DEP_3)
	v_cmp_le_u32_e32 vcc_lo, s9, v1
	v_cndmask_b32_e64 v8, 0, -1, vcc_lo
	v_cmp_le_u32_e32 vcc_lo, s8, v0
	v_cndmask_b32_e64 v11, 0, -1, vcc_lo
	;; [unrolled: 2-line block ×3, first 2 shown]
	v_cmp_eq_u32_e32 vcc_lo, s9, v1
	v_add_nc_u64_e32 v[0:1], 2, v[6:7]
	v_cndmask_b32_e32 v3, v8, v3, vcc_lo
	v_cmp_eq_u32_e32 vcc_lo, s9, v10
	v_add_nc_u64_e32 v[8:9], 1, v[6:7]
	v_cndmask_b32_e32 v10, v12, v11, vcc_lo
	s_delay_alu instid0(VALU_DEP_4) | instskip(NEXT) | instid1(VALU_DEP_3)
	v_cmp_ne_u32_e32 vcc_lo, 0, v3
	v_dual_cndmask_b32 v1, v9, v1, vcc_lo :: v_dual_cndmask_b32 v3, v8, v0, vcc_lo
	v_xor_b32_e32 v0, s6, v2
	s_delay_alu instid0(VALU_DEP_4) | instskip(NEXT) | instid1(VALU_DEP_1)
	v_cmp_ne_u32_e64 s2, 0, v10
	v_dual_cndmask_b32 v2, v7, v1, s2 :: v_dual_cndmask_b32 v6, v6, v3, s2
	s_delay_alu instid0(VALU_DEP_1) | instskip(NEXT) | instid1(VALU_DEP_2)
	v_dual_mov_b32 v1, v0 :: v_dual_bitop2_b32 v3, v2, v0 bitop3:0x14
	v_xor_b32_e32 v2, v6, v0
	s_delay_alu instid0(VALU_DEP_1)
	v_sub_nc_u64_e32 v[2:3], v[2:3], v[0:1]
.LBB101_2:
	s_or_saveexec_b32 s2, s10
	s_load_b64 s[20:21], s[20:21], 0x0
	s_xor_b32 exec_lo, exec_lo, s2
	s_cbranch_execz .LBB101_4
; %bb.3:
	v_cvt_f32_u32_e32 v0, s4
	s_sub_co_i32 s3, 0, s4
	s_delay_alu instid0(VALU_DEP_1) | instskip(SKIP_1) | instid1(TRANS32_DEP_1)
	v_rcp_iflag_f32_e32 v0, v0
	v_nop
	v_mul_f32_e32 v0, 0x4f7ffffe, v0
	s_delay_alu instid0(VALU_DEP_1) | instskip(NEXT) | instid1(VALU_DEP_1)
	v_cvt_u32_f32_e32 v0, v0
	v_mul_lo_u32 v1, s3, v0
	s_delay_alu instid0(VALU_DEP_1) | instskip(NEXT) | instid1(VALU_DEP_1)
	v_mul_hi_u32 v1, v0, v1
	v_add_nc_u32_e32 v0, v0, v1
	s_delay_alu instid0(VALU_DEP_1) | instskip(NEXT) | instid1(VALU_DEP_1)
	v_mul_hi_u32 v0, v4, v0
	v_mul_lo_u32 v1, v0, s4
	s_delay_alu instid0(VALU_DEP_1) | instskip(NEXT) | instid1(VALU_DEP_1)
	v_dual_add_nc_u32 v2, 1, v0 :: v_dual_sub_nc_u32 v1, v4, v1
	v_subrev_nc_u32_e32 v3, s4, v1
	v_cmp_le_u32_e32 vcc_lo, s4, v1
	s_delay_alu instid0(VALU_DEP_2) | instskip(NEXT) | instid1(VALU_DEP_4)
	v_dual_cndmask_b32 v1, v1, v3, vcc_lo :: v_dual_mov_b32 v3, 0
	v_cndmask_b32_e32 v0, v0, v2, vcc_lo
	s_delay_alu instid0(VALU_DEP_2) | instskip(NEXT) | instid1(VALU_DEP_2)
	v_cmp_le_u32_e32 vcc_lo, s4, v1
	v_add_nc_u32_e32 v2, 1, v0
	s_delay_alu instid0(VALU_DEP_1)
	v_cndmask_b32_e32 v2, v0, v2, vcc_lo
.LBB101_4:
	s_or_b32 exec_lo, exec_lo, s2
	s_delay_alu instid0(VALU_DEP_1) | instskip(SKIP_3) | instid1(VALU_DEP_2)
	v_mul_u64_e32 v[0:1], s[4:5], v[2:3]
	s_load_b128 s[24:27], s[0:1], 0x20
	s_wait_kmcnt 0x0
	v_cmp_gt_i64_e64 s2, s[20:21], v[2:3]
	v_sub_nc_u64_e32 v[0:1], v[4:5], v[0:1]
	s_delay_alu instid0(VALU_DEP_1) | instskip(SKIP_1) | instid1(SALU_CYCLE_1)
	v_cmp_gt_i64_e32 vcc_lo, s[26:27], v[0:1]
	s_and_b32 s2, vcc_lo, s2
	s_and_saveexec_b32 s3, s2
	s_cbranch_execz .LBB101_18
; %bb.5:
	s_clause 0x1
	s_load_b256 s[4:11], s[0:1], 0x38
	s_load_b256 s[12:19], s[0:1], 0x0
	s_add_nc_u64 s[2:3], s[20:21], -1
	v_mov_b64_e32 v[6:7], s[24:25]
	v_cmp_ne_u64_e32 vcc_lo, s[2:3], v[2:3]
	s_wait_kmcnt 0x0
	v_lshl_add_u64 v[8:9], v[2:3], 3, s[10:11]
	global_load_b64 v[4:5], v[8:9], off
	s_wait_xcnt 0x0
	s_and_saveexec_b32 s2, vcc_lo
	s_cbranch_execz .LBB101_7
; %bb.6:
	global_load_b64 v[6:7], v[8:9], off offset:8
.LBB101_7:
	s_wait_xcnt 0x0
	s_or_b32 exec_lo, exec_lo, s2
	v_mov_b64_e32 v[8:9], 0
	s_mov_b32 s2, exec_lo
	s_wait_loadcnt 0x0
	v_cmpx_lt_i32_e64 v4, v6
	s_cbranch_execz .LBB101_17
; %bb.8:
	s_load_b32 s0, s[0:1], 0x30
	v_dual_mov_b32 v12, 0 :: v_dual_ashrrev_i32 v5, 31, v4
	s_cmp_lg_u64 s[18:19], 0
	v_mov_b64_e32 v[8:9], 0
	s_cselect_b32 s3, -1, 0
	s_delay_alu instid0(VALU_DEP_2)
	v_lshlrev_b64_e32 v[16:17], 3, v[4:5]
	s_cmp_lg_u64 s[6:7], 0
	v_lshl_add_u64 v[10:11], v[0:1], 3, s[14:15]
	s_cselect_b32 s10, -1, 0
	s_wait_xcnt 0x0
	s_mov_b32 s1, s26
	s_delay_alu instid0(VALU_DEP_2)
	v_add_nc_u64_e32 v[14:15], s[12:13], v[16:17]
	v_add_nc_u64_e32 v[16:17], s[18:19], v[16:17]
	s_wait_kmcnt 0x0
	s_cmp_lg_u32 s0, 0
	s_mov_b32 s0, 0
	s_cselect_b32 s11, -1, 0
	s_mov_b32 s12, s0
	s_branch .LBB101_10
.LBB101_9:                              ;   in Loop: Header=BB101_10 Depth=1
	s_wait_loadcnt 0x0
	s_delay_alu instid0(VALU_DEP_1) | instskip(SKIP_3) | instid1(VALU_DEP_3)
	v_fmac_f64_e32 v[8:9], v[18:19], v[22:23]
	v_add_nc_u32_e32 v4, 1, v4
	v_add_nc_u64_e32 v[14:15], 8, v[14:15]
	v_add_nc_u64_e32 v[16:17], 8, v[16:17]
	v_cmp_ge_i32_e32 vcc_lo, v4, v6
	s_or_b32 s12, vcc_lo, s12
	s_delay_alu instid0(SALU_CYCLE_1)
	s_and_not1_b32 exec_lo, exec_lo, s12
	s_cbranch_execz .LBB101_16
.LBB101_10:                             ; =>This Inner Loop Header: Depth=1
	global_load_b64 v[22:23], v[14:15], off
	s_and_not1_b32 vcc_lo, exec_lo, s3
	s_wait_loadcnt 0x0
	v_mov_b32_e32 v13, v22
	s_delay_alu instid0(VALU_DEP_1) | instskip(NEXT) | instid1(VALU_DEP_1)
	v_ashrrev_i64 v[18:19], 29, v[12:13]
	v_add_nc_u64_e32 v[18:19], s[16:17], v[18:19]
	global_load_b64 v[20:21], v[18:19], off
	s_cbranch_vccnz .LBB101_15
; %bb.11:                               ;   in Loop: Header=BB101_10 Depth=1
	global_load_b64 v[18:19], v[16:17], off
	s_wait_loadcnt 0x0
	v_cvt_f64_i32_e32 v[24:25], v19
	v_cvt_f64_u32_e32 v[18:19], v18
	s_delay_alu instid0(VALU_DEP_2) | instskip(NEXT) | instid1(VALU_DEP_1)
	v_ldexp_f64 v[24:25], v[24:25], 32
	v_add_f64_e32 v[18:19], v[24:25], v[18:19]
	s_delay_alu instid0(VALU_DEP_1) | instskip(NEXT) | instid1(VALU_DEP_1)
	v_div_scale_f64 v[24:25], null, v[18:19], v[18:19], 1.0
	v_rcp_f64_e32 v[26:27], v[24:25]
	v_nop
	s_delay_alu instid0(TRANS32_DEP_1) | instskip(NEXT) | instid1(VALU_DEP_1)
	v_fma_f64 v[28:29], -v[24:25], v[26:27], 1.0
	v_fmac_f64_e32 v[26:27], v[26:27], v[28:29]
	s_delay_alu instid0(VALU_DEP_1) | instskip(NEXT) | instid1(VALU_DEP_1)
	v_fma_f64 v[28:29], -v[24:25], v[26:27], 1.0
	v_fmac_f64_e32 v[26:27], v[26:27], v[28:29]
	v_div_scale_f64 v[28:29], vcc_lo, 1.0, v[18:19], 1.0
	s_delay_alu instid0(VALU_DEP_1) | instskip(NEXT) | instid1(VALU_DEP_1)
	v_mul_f64_e32 v[30:31], v[28:29], v[26:27]
	v_fma_f64 v[24:25], -v[24:25], v[30:31], v[28:29]
	s_delay_alu instid0(VALU_DEP_1) | instskip(NEXT) | instid1(VALU_DEP_1)
	v_div_fmas_f64 v[24:25], v[24:25], v[26:27], v[30:31]
	v_div_fixup_f64 v[18:19], v[24:25], v[18:19], 1.0
	s_and_not1_b32 vcc_lo, exec_lo, s10
	s_cbranch_vccnz .LBB101_13
.LBB101_12:                             ;   in Loop: Header=BB101_10 Depth=1
	v_ashrrev_i32_e32 v23, 31, v22
	s_delay_alu instid0(VALU_DEP_1) | instskip(NEXT) | instid1(VALU_DEP_1)
	v_mul_u64_e32 v[22:23], s[8:9], v[22:23]
	v_lshl_add_u64 v[22:23], v[22:23], 3, s[6:7]
	global_load_b64 v[22:23], v[22:23], off
	s_wait_loadcnt 0x0
	v_mul_f64_e32 v[18:19], v[18:19], v[22:23]
.LBB101_13:                             ;   in Loop: Header=BB101_10 Depth=1
	s_wait_loadcnt 0x0
	v_mul_u64_e32 v[22:23], s[0:1], v[20:21]
	s_and_not1_b32 vcc_lo, exec_lo, s11
	s_delay_alu instid0(VALU_DEP_1) | instskip(NEXT) | instid1(VALU_DEP_1)
	v_ashrrev_i64 v[22:23], 29, v[22:23]
	v_add_nc_u64_e32 v[22:23], v[10:11], v[22:23]
	global_load_b64 v[22:23], v[22:23], off
	s_cbranch_vccnz .LBB101_9
; %bb.14:                               ;   in Loop: Header=BB101_10 Depth=1
	v_mov_b32_e32 v13, v20
	s_delay_alu instid0(VALU_DEP_1) | instskip(NEXT) | instid1(VALU_DEP_1)
	v_ashrrev_i64 v[20:21], 29, v[12:13]
	v_add_nc_u64_e32 v[20:21], s[4:5], v[20:21]
	global_load_b64 v[20:21], v[20:21], off
	s_wait_loadcnt 0x0
	v_cvt_f64_i32_e32 v[24:25], v21
	v_cvt_f64_u32_e32 v[20:21], v20
	s_delay_alu instid0(VALU_DEP_2) | instskip(NEXT) | instid1(VALU_DEP_1)
	v_ldexp_f64 v[24:25], v[24:25], 32
	v_add_f64_e32 v[20:21], v[24:25], v[20:21]
	s_delay_alu instid0(VALU_DEP_1) | instskip(NEXT) | instid1(VALU_DEP_1)
	v_div_scale_f64 v[24:25], null, v[20:21], v[20:21], v[22:23]
	v_rcp_f64_e32 v[26:27], v[24:25]
	v_nop
	s_delay_alu instid0(TRANS32_DEP_1) | instskip(NEXT) | instid1(VALU_DEP_1)
	v_fma_f64 v[28:29], -v[24:25], v[26:27], 1.0
	v_fmac_f64_e32 v[26:27], v[26:27], v[28:29]
	s_delay_alu instid0(VALU_DEP_1) | instskip(NEXT) | instid1(VALU_DEP_1)
	v_fma_f64 v[28:29], -v[24:25], v[26:27], 1.0
	v_fmac_f64_e32 v[26:27], v[26:27], v[28:29]
	v_div_scale_f64 v[28:29], vcc_lo, v[22:23], v[20:21], v[22:23]
	s_delay_alu instid0(VALU_DEP_1) | instskip(NEXT) | instid1(VALU_DEP_1)
	v_mul_f64_e32 v[30:31], v[28:29], v[26:27]
	v_fma_f64 v[24:25], -v[24:25], v[30:31], v[28:29]
	s_delay_alu instid0(VALU_DEP_1) | instskip(NEXT) | instid1(VALU_DEP_1)
	v_div_fmas_f64 v[24:25], v[24:25], v[26:27], v[30:31]
	v_div_fixup_f64 v[22:23], v[24:25], v[20:21], v[22:23]
	s_branch .LBB101_9
.LBB101_15:                             ;   in Loop: Header=BB101_10 Depth=1
	s_wait_xcnt 0x0
	v_mov_b64_e32 v[18:19], 1.0
	s_and_not1_b32 vcc_lo, exec_lo, s10
	s_cbranch_vccz .LBB101_12
	s_branch .LBB101_13
.LBB101_16:
	s_or_b32 exec_lo, exec_lo, s12
.LBB101_17:
	s_delay_alu instid0(SALU_CYCLE_1) | instskip(SKIP_1) | instid1(VALU_DEP_1)
	s_or_b32 exec_lo, exec_lo, s2
	v_mul_u64_e32 v[2:3], s[26:27], v[2:3]
	v_lshl_add_u64 v[2:3], v[2:3], 3, s[22:23]
	s_delay_alu instid0(VALU_DEP_1)
	v_lshl_add_u64 v[0:1], v[0:1], 3, v[2:3]
	global_store_b64 v[0:1], v[8:9], off
.LBB101_18:
	s_endpgm
	.section	.rodata,"a",@progbits
	.p2align	6, 0x0
	.amdhsa_kernel _ZN2at6native12_GLOBAL__N_124compute_grad_weight_bagsIdlEEvPKT0_PKT_S5_S5_lliS5_S8_lS5_PKlPNS_14AccumulateTypeIS6_Lb1EE4typeEl
		.amdhsa_group_segment_fixed_size 0
		.amdhsa_private_segment_fixed_size 0
		.amdhsa_kernarg_size 368
		.amdhsa_user_sgpr_count 2
		.amdhsa_user_sgpr_dispatch_ptr 0
		.amdhsa_user_sgpr_queue_ptr 0
		.amdhsa_user_sgpr_kernarg_segment_ptr 1
		.amdhsa_user_sgpr_dispatch_id 0
		.amdhsa_user_sgpr_kernarg_preload_length 0
		.amdhsa_user_sgpr_kernarg_preload_offset 0
		.amdhsa_user_sgpr_private_segment_size 0
		.amdhsa_wavefront_size32 1
		.amdhsa_uses_dynamic_stack 0
		.amdhsa_enable_private_segment 0
		.amdhsa_system_sgpr_workgroup_id_x 1
		.amdhsa_system_sgpr_workgroup_id_y 0
		.amdhsa_system_sgpr_workgroup_id_z 0
		.amdhsa_system_sgpr_workgroup_info 0
		.amdhsa_system_vgpr_workitem_id 0
		.amdhsa_next_free_vgpr 32
		.amdhsa_next_free_sgpr 28
		.amdhsa_named_barrier_count 0
		.amdhsa_reserve_vcc 1
		.amdhsa_float_round_mode_32 0
		.amdhsa_float_round_mode_16_64 0
		.amdhsa_float_denorm_mode_32 3
		.amdhsa_float_denorm_mode_16_64 3
		.amdhsa_fp16_overflow 0
		.amdhsa_memory_ordered 1
		.amdhsa_forward_progress 1
		.amdhsa_inst_pref_size 14
		.amdhsa_round_robin_scheduling 0
		.amdhsa_exception_fp_ieee_invalid_op 0
		.amdhsa_exception_fp_denorm_src 0
		.amdhsa_exception_fp_ieee_div_zero 0
		.amdhsa_exception_fp_ieee_overflow 0
		.amdhsa_exception_fp_ieee_underflow 0
		.amdhsa_exception_fp_ieee_inexact 0
		.amdhsa_exception_int_div_zero 0
	.end_amdhsa_kernel
	.section	.text._ZN2at6native12_GLOBAL__N_124compute_grad_weight_bagsIdlEEvPKT0_PKT_S5_S5_lliS5_S8_lS5_PKlPNS_14AccumulateTypeIS6_Lb1EE4typeEl,"axG",@progbits,_ZN2at6native12_GLOBAL__N_124compute_grad_weight_bagsIdlEEvPKT0_PKT_S5_S5_lliS5_S8_lS5_PKlPNS_14AccumulateTypeIS6_Lb1EE4typeEl,comdat
.Lfunc_end101:
	.size	_ZN2at6native12_GLOBAL__N_124compute_grad_weight_bagsIdlEEvPKT0_PKT_S5_S5_lliS5_S8_lS5_PKlPNS_14AccumulateTypeIS6_Lb1EE4typeEl, .Lfunc_end101-_ZN2at6native12_GLOBAL__N_124compute_grad_weight_bagsIdlEEvPKT0_PKT_S5_S5_lliS5_S8_lS5_PKlPNS_14AccumulateTypeIS6_Lb1EE4typeEl
                                        ; -- End function
	.set _ZN2at6native12_GLOBAL__N_124compute_grad_weight_bagsIdlEEvPKT0_PKT_S5_S5_lliS5_S8_lS5_PKlPNS_14AccumulateTypeIS6_Lb1EE4typeEl.num_vgpr, 32
	.set _ZN2at6native12_GLOBAL__N_124compute_grad_weight_bagsIdlEEvPKT0_PKT_S5_S5_lliS5_S8_lS5_PKlPNS_14AccumulateTypeIS6_Lb1EE4typeEl.num_agpr, 0
	.set _ZN2at6native12_GLOBAL__N_124compute_grad_weight_bagsIdlEEvPKT0_PKT_S5_S5_lliS5_S8_lS5_PKlPNS_14AccumulateTypeIS6_Lb1EE4typeEl.numbered_sgpr, 28
	.set _ZN2at6native12_GLOBAL__N_124compute_grad_weight_bagsIdlEEvPKT0_PKT_S5_S5_lliS5_S8_lS5_PKlPNS_14AccumulateTypeIS6_Lb1EE4typeEl.num_named_barrier, 0
	.set _ZN2at6native12_GLOBAL__N_124compute_grad_weight_bagsIdlEEvPKT0_PKT_S5_S5_lliS5_S8_lS5_PKlPNS_14AccumulateTypeIS6_Lb1EE4typeEl.private_seg_size, 0
	.set _ZN2at6native12_GLOBAL__N_124compute_grad_weight_bagsIdlEEvPKT0_PKT_S5_S5_lliS5_S8_lS5_PKlPNS_14AccumulateTypeIS6_Lb1EE4typeEl.uses_vcc, 1
	.set _ZN2at6native12_GLOBAL__N_124compute_grad_weight_bagsIdlEEvPKT0_PKT_S5_S5_lliS5_S8_lS5_PKlPNS_14AccumulateTypeIS6_Lb1EE4typeEl.uses_flat_scratch, 0
	.set _ZN2at6native12_GLOBAL__N_124compute_grad_weight_bagsIdlEEvPKT0_PKT_S5_S5_lliS5_S8_lS5_PKlPNS_14AccumulateTypeIS6_Lb1EE4typeEl.has_dyn_sized_stack, 0
	.set _ZN2at6native12_GLOBAL__N_124compute_grad_weight_bagsIdlEEvPKT0_PKT_S5_S5_lliS5_S8_lS5_PKlPNS_14AccumulateTypeIS6_Lb1EE4typeEl.has_recursion, 0
	.set _ZN2at6native12_GLOBAL__N_124compute_grad_weight_bagsIdlEEvPKT0_PKT_S5_S5_lliS5_S8_lS5_PKlPNS_14AccumulateTypeIS6_Lb1EE4typeEl.has_indirect_call, 0
	.section	.AMDGPU.csdata,"",@progbits
; Kernel info:
; codeLenInByte = 1684
; TotalNumSgprs: 30
; NumVgprs: 32
; ScratchSize: 0
; MemoryBound: 0
; FloatMode: 240
; IeeeMode: 1
; LDSByteSize: 0 bytes/workgroup (compile time only)
; SGPRBlocks: 0
; VGPRBlocks: 1
; NumSGPRsForWavesPerEU: 30
; NumVGPRsForWavesPerEU: 32
; NamedBarCnt: 0
; Occupancy: 16
; WaveLimiterHint : 1
; COMPUTE_PGM_RSRC2:SCRATCH_EN: 0
; COMPUTE_PGM_RSRC2:USER_SGPR: 2
; COMPUTE_PGM_RSRC2:TRAP_HANDLER: 0
; COMPUTE_PGM_RSRC2:TGID_X_EN: 1
; COMPUTE_PGM_RSRC2:TGID_Y_EN: 0
; COMPUTE_PGM_RSRC2:TGID_Z_EN: 0
; COMPUTE_PGM_RSRC2:TIDIG_COMP_CNT: 0
	.section	.text._ZN2at6native12_GLOBAL__N_119compute_grad_weightIdlEEvPKT0_PKT_S5_llS5_PKlPNS_14AccumulateTypeIS6_Lb1EE4typeEl,"axG",@progbits,_ZN2at6native12_GLOBAL__N_119compute_grad_weightIdlEEvPKT0_PKT_S5_llS5_PKlPNS_14AccumulateTypeIS6_Lb1EE4typeEl,comdat
	.globl	_ZN2at6native12_GLOBAL__N_119compute_grad_weightIdlEEvPKT0_PKT_S5_llS5_PKlPNS_14AccumulateTypeIS6_Lb1EE4typeEl ; -- Begin function _ZN2at6native12_GLOBAL__N_119compute_grad_weightIdlEEvPKT0_PKT_S5_llS5_PKlPNS_14AccumulateTypeIS6_Lb1EE4typeEl
	.p2align	8
	.type	_ZN2at6native12_GLOBAL__N_119compute_grad_weightIdlEEvPKT0_PKT_S5_llS5_PKlPNS_14AccumulateTypeIS6_Lb1EE4typeEl,@function
_ZN2at6native12_GLOBAL__N_119compute_grad_weightIdlEEvPKT0_PKT_S5_llS5_PKlPNS_14AccumulateTypeIS6_Lb1EE4typeEl: ; @_ZN2at6native12_GLOBAL__N_119compute_grad_weightIdlEEvPKT0_PKT_S5_llS5_PKlPNS_14AccumulateTypeIS6_Lb1EE4typeEl
; %bb.0:
	s_clause 0x1
	s_load_b32 s4, s[0:1], 0x54
	s_load_b64 s[2:3], s[0:1], 0x40
	s_bfe_u32 s5, ttmp6, 0x4000c
	s_and_b32 s6, ttmp6, 15
	s_add_co_i32 s5, s5, 1
	s_getreg_b32 s7, hwreg(HW_REG_IB_STS2, 6, 4)
	s_mul_i32 s5, ttmp9, s5
	v_mov_b32_e32 v1, 0
	s_add_co_i32 s6, s6, s5
	s_wait_kmcnt 0x0
	s_and_b32 s4, s4, 0xffff
	s_cmp_eq_u32 s7, 0
	s_cselect_b32 s5, ttmp9, s6
	s_delay_alu instid0(SALU_CYCLE_1) | instskip(SKIP_3) | instid1(VALU_DEP_1)
	v_mad_nc_u64_u32 v[2:3], s4, s5, v[0:1]
	s_load_b512 s[4:19], s[0:1], 0x0
	s_wait_xcnt 0x0
	s_mov_b32 s1, 0
	v_dual_mov_b32 v4, v1 :: v_dual_bitop2_b32 v5, s3, v3 bitop3:0x54
	s_delay_alu instid0(VALU_DEP_1) | instskip(SKIP_1) | instid1(SALU_CYCLE_1)
	v_cmp_ne_u64_e32 vcc_lo, 0, v[4:5]
                                        ; implicit-def: $vgpr4_vgpr5
	s_and_saveexec_b32 s0, vcc_lo
	s_xor_b32 s24, exec_lo, s0
	s_cbranch_execz .LBB102_2
; %bb.1:
	s_ashr_i32 s20, s3, 31
	v_dual_mov_b32 v9, v1 :: v_dual_ashrrev_i32 v4, 31, v3
	s_mov_b32 s21, s20
	v_mov_b32_e32 v15, v1
	s_add_nc_u64 s[22:23], s[2:3], s[20:21]
	s_delay_alu instid0(VALU_DEP_2) | instskip(SKIP_1) | instid1(SALU_CYCLE_1)
	v_mov_b32_e32 v5, v4
	s_xor_b64 s[22:23], s[22:23], s[20:21]
	s_cvt_f32_u32 s0, s22
	s_cvt_f32_u32 s21, s23
	s_sub_nc_u64 s[28:29], 0, s[22:23]
	v_add_nc_u64_e32 v[6:7], v[2:3], v[4:5]
	s_delay_alu instid0(SALU_CYCLE_1) | instskip(NEXT) | instid1(SALU_CYCLE_3)
	s_fmamk_f32 s0, s21, 0x4f800000, s0
	v_s_rcp_f32 s0, s0
	s_delay_alu instid0(VALU_DEP_1) | instskip(NEXT) | instid1(VALU_DEP_2)
	v_xor_b32_e32 v0, v6, v4
	v_xor_b32_e32 v8, v7, v4
	s_delay_alu instid0(TRANS32_DEP_1) | instskip(NEXT) | instid1(SALU_CYCLE_3)
	s_mul_f32 s0, s0, 0x5f7ffffc
	s_mul_f32 s21, s0, 0x2f800000
	s_delay_alu instid0(SALU_CYCLE_3) | instskip(NEXT) | instid1(SALU_CYCLE_3)
	s_trunc_f32 s21, s21
	s_fmamk_f32 s0, s21, 0xcf800000, s0
	s_cvt_u32_f32 s27, s21
	s_delay_alu instid0(SALU_CYCLE_2) | instskip(NEXT) | instid1(SALU_CYCLE_3)
	s_cvt_u32_f32 s26, s0
	s_mul_u64 s[30:31], s[28:29], s[26:27]
	s_delay_alu instid0(SALU_CYCLE_1)
	s_mul_hi_u32 s35, s26, s31
	s_mul_i32 s34, s26, s31
	s_mul_hi_u32 s0, s26, s30
	s_mul_i32 s25, s27, s30
	s_add_nc_u64 s[34:35], s[0:1], s[34:35]
	s_mul_hi_u32 s21, s27, s30
	s_mul_hi_u32 s33, s27, s31
	s_add_co_u32 s0, s34, s25
	s_add_co_ci_u32 s0, s35, s21
	s_mul_i32 s30, s27, s31
	s_add_co_ci_u32 s31, s33, 0
	s_delay_alu instid0(SALU_CYCLE_1) | instskip(NEXT) | instid1(SALU_CYCLE_1)
	s_add_nc_u64 s[30:31], s[0:1], s[30:31]
	s_add_co_u32 s26, s26, s30
	s_cselect_b32 s0, -1, 0
	s_delay_alu instid0(SALU_CYCLE_1) | instskip(SKIP_1) | instid1(SALU_CYCLE_1)
	s_cmp_lg_u32 s0, 0
	s_add_co_ci_u32 s27, s27, s31
	s_mul_u64 s[28:29], s[28:29], s[26:27]
	s_delay_alu instid0(SALU_CYCLE_1)
	s_mul_hi_u32 s31, s26, s29
	s_mul_i32 s30, s26, s29
	s_mul_hi_u32 s0, s26, s28
	s_mul_i32 s25, s27, s28
	s_add_nc_u64 s[30:31], s[0:1], s[30:31]
	s_mul_hi_u32 s21, s27, s28
	s_mul_hi_u32 s33, s27, s29
	s_add_co_u32 s0, s30, s25
	s_add_co_ci_u32 s0, s31, s21
	s_mul_i32 s28, s27, s29
	s_add_co_ci_u32 s29, s33, 0
	s_delay_alu instid0(SALU_CYCLE_1) | instskip(NEXT) | instid1(SALU_CYCLE_1)
	s_add_nc_u64 s[28:29], s[0:1], s[28:29]
	s_add_co_u32 s26, s26, s28
	s_cselect_b32 s0, -1, 0
	v_mul_hi_u32 v14, v0, s26
	s_cmp_lg_u32 s0, 0
	s_add_co_ci_u32 s0, s27, s29
	s_mov_b64 s[28:29], 0xffffffff
	v_mul_u64_e32 v[10:11], s[0:1], v[0:1]
	s_and_b64 s[28:29], s[26:27], s[28:29]
	v_mul_u64_e32 v[12:13], s[0:1], v[8:9]
	v_mul_u64_e32 v[6:7], s[28:29], v[8:9]
	s_delay_alu instid0(VALU_DEP_3) | instskip(NEXT) | instid1(VALU_DEP_1)
	v_add_nc_u64_e32 v[10:11], v[14:15], v[10:11]
	v_add_co_u32 v1, vcc_lo, v10, v6
	s_delay_alu instid0(VALU_DEP_2) | instskip(SKIP_1) | instid1(VALU_DEP_1)
	v_add_co_ci_u32_e32 v14, vcc_lo, v11, v7, vcc_lo
	v_add_co_ci_u32_e32 v13, vcc_lo, 0, v13, vcc_lo
	v_add_nc_u64_e32 v[6:7], v[14:15], v[12:13]
	s_delay_alu instid0(VALU_DEP_1) | instskip(NEXT) | instid1(VALU_DEP_1)
	v_mul_u64_e32 v[10:11], s[22:23], v[6:7]
	v_sub_nc_u32_e32 v1, v8, v11
	s_delay_alu instid0(VALU_DEP_2) | instskip(NEXT) | instid1(VALU_DEP_1)
	v_sub_co_u32 v0, vcc_lo, v0, v10
	v_sub_co_ci_u32_e64 v10, null, v8, v11, vcc_lo
	s_delay_alu instid0(VALU_DEP_3) | instskip(NEXT) | instid1(VALU_DEP_3)
	v_subrev_co_ci_u32_e64 v1, null, s23, v1, vcc_lo
	v_sub_co_u32 v5, s0, v0, s22
	s_delay_alu instid0(VALU_DEP_1) | instskip(NEXT) | instid1(VALU_DEP_2)
	v_subrev_co_ci_u32_e64 v1, null, 0, v1, s0
	v_cmp_le_u32_e32 vcc_lo, s22, v5
	v_cndmask_b32_e64 v5, 0, -1, vcc_lo
	s_delay_alu instid0(VALU_DEP_3)
	v_cmp_le_u32_e32 vcc_lo, s23, v1
	v_cndmask_b32_e64 v8, 0, -1, vcc_lo
	v_cmp_le_u32_e32 vcc_lo, s22, v0
	v_cndmask_b32_e64 v11, 0, -1, vcc_lo
	;; [unrolled: 2-line block ×3, first 2 shown]
	v_cmp_eq_u32_e32 vcc_lo, s23, v1
	v_add_nc_u64_e32 v[0:1], 2, v[6:7]
	v_cndmask_b32_e32 v5, v8, v5, vcc_lo
	v_cmp_eq_u32_e32 vcc_lo, s23, v10
	v_add_nc_u64_e32 v[8:9], 1, v[6:7]
	v_cndmask_b32_e32 v10, v12, v11, vcc_lo
	s_delay_alu instid0(VALU_DEP_4) | instskip(NEXT) | instid1(VALU_DEP_3)
	v_cmp_ne_u32_e32 vcc_lo, 0, v5
	v_cndmask_b32_e32 v1, v9, v1, vcc_lo
	s_delay_alu instid0(VALU_DEP_3) | instskip(SKIP_1) | instid1(VALU_DEP_2)
	v_cmp_ne_u32_e64 s0, 0, v10
	v_cndmask_b32_e32 v5, v8, v0, vcc_lo
	v_dual_cndmask_b32 v4, v7, v1, s0 :: v_dual_bitop2_b32 v0, s20, v4 bitop3:0x14
	s_delay_alu instid0(VALU_DEP_1) | instskip(NEXT) | instid1(VALU_DEP_2)
	v_dual_cndmask_b32 v6, v6, v5, s0 :: v_dual_mov_b32 v1, v0
	v_xor_b32_e32 v5, v4, v0
	s_delay_alu instid0(VALU_DEP_2) | instskip(NEXT) | instid1(VALU_DEP_1)
	v_xor_b32_e32 v4, v6, v0
	v_sub_nc_u64_e32 v[4:5], v[4:5], v[0:1]
.LBB102_2:
	s_or_saveexec_b32 s0, s24
	s_wait_kmcnt 0x0
	s_load_b64 s[16:17], s[16:17], 0x0
	s_xor_b32 exec_lo, exec_lo, s0
	s_cbranch_execz .LBB102_4
; %bb.3:
	v_cvt_f32_u32_e32 v0, s2
	s_sub_co_i32 s1, 0, s2
	s_delay_alu instid0(VALU_DEP_1) | instskip(SKIP_1) | instid1(TRANS32_DEP_1)
	v_rcp_iflag_f32_e32 v0, v0
	v_nop
	v_mul_f32_e32 v0, 0x4f7ffffe, v0
	s_delay_alu instid0(VALU_DEP_1) | instskip(NEXT) | instid1(VALU_DEP_1)
	v_cvt_u32_f32_e32 v0, v0
	v_mul_lo_u32 v1, s1, v0
	s_delay_alu instid0(VALU_DEP_1) | instskip(NEXT) | instid1(VALU_DEP_1)
	v_mul_hi_u32 v1, v0, v1
	v_add_nc_u32_e32 v0, v0, v1
	s_delay_alu instid0(VALU_DEP_1) | instskip(NEXT) | instid1(VALU_DEP_1)
	v_mul_hi_u32 v0, v2, v0
	v_mul_lo_u32 v1, v0, s2
	s_delay_alu instid0(VALU_DEP_1) | instskip(NEXT) | instid1(VALU_DEP_1)
	v_sub_nc_u32_e32 v1, v2, v1
	v_subrev_nc_u32_e32 v5, s2, v1
	v_cmp_le_u32_e32 vcc_lo, s2, v1
	s_delay_alu instid0(VALU_DEP_2) | instskip(NEXT) | instid1(VALU_DEP_1)
	v_dual_cndmask_b32 v1, v1, v5 :: v_dual_add_nc_u32 v4, 1, v0
	v_dual_cndmask_b32 v0, v0, v4 :: v_dual_mov_b32 v5, 0
	s_delay_alu instid0(VALU_DEP_2) | instskip(NEXT) | instid1(VALU_DEP_2)
	v_cmp_le_u32_e32 vcc_lo, s2, v1
	v_add_nc_u32_e32 v4, 1, v0
	s_delay_alu instid0(VALU_DEP_1)
	v_cndmask_b32_e32 v4, v0, v4, vcc_lo
.LBB102_4:
	s_or_b32 exec_lo, exec_lo, s0
	s_delay_alu instid0(VALU_DEP_1) | instskip(SKIP_2) | instid1(VALU_DEP_2)
	v_mul_u64_e32 v[0:1], s[2:3], v[4:5]
	s_wait_kmcnt 0x0
	v_cmp_gt_i64_e64 s0, s[16:17], v[4:5]
	v_sub_nc_u64_e32 v[0:1], v[2:3], v[0:1]
	s_delay_alu instid0(VALU_DEP_1) | instskip(SKIP_1) | instid1(SALU_CYCLE_1)
	v_cmp_gt_i64_e32 vcc_lo, s[12:13], v[0:1]
	s_and_b32 s0, vcc_lo, s0
	s_and_saveexec_b32 s1, s0
	s_cbranch_execz .LBB102_15
; %bb.5:
	v_lshl_add_u64 v[8:9], v[4:5], 3, s[14:15]
	s_add_nc_u64 s[0:1], s[16:17], -1
	v_mov_b64_e32 v[6:7], s[10:11]
	v_cmp_ne_u64_e32 vcc_lo, s[0:1], v[4:5]
	global_load_b64 v[2:3], v[8:9], off
	s_wait_xcnt 0x0
	s_and_saveexec_b32 s0, vcc_lo
	s_cbranch_execz .LBB102_7
; %bb.6:
	global_load_b64 v[6:7], v[8:9], off offset:8
.LBB102_7:
	s_wait_xcnt 0x0
	s_or_b32 exec_lo, exec_lo, s0
	v_mov_b64_e32 v[8:9], 0
	s_mov_b32 s0, exec_lo
	s_wait_loadcnt 0x0
	v_cmpx_lt_i32_e64 v2, v6
	s_cbranch_execz .LBB102_14
; %bb.8:
	v_ashrrev_i32_e32 v3, 31, v2
	v_lshl_add_u64 v[10:11], v[0:1], 3, s[6:7]
	s_cmp_lg_u64 s[8:9], 0
	s_mov_b32 s2, 0
	s_cselect_b32 s1, -1, 0
	v_lshlrev_b64_e32 v[8:9], 3, v[2:3]
	s_delay_alu instid0(VALU_DEP_1)
	v_add_nc_u64_e32 v[12:13], s[4:5], v[8:9]
	v_add_nc_u64_e32 v[14:15], s[8:9], v[8:9]
	v_mov_b64_e32 v[8:9], 0
	s_branch .LBB102_11
.LBB102_9:                              ;   in Loop: Header=BB102_11 Depth=1
	global_load_b64 v[18:19], v[14:15], off
	s_wait_loadcnt 0x0
	v_cvt_f64_i32_e32 v[20:21], v19
	v_cvt_f64_u32_e32 v[18:19], v18
	s_delay_alu instid0(VALU_DEP_2) | instskip(NEXT) | instid1(VALU_DEP_1)
	v_ldexp_f64 v[20:21], v[20:21], 32
	v_add_f64_e32 v[18:19], v[20:21], v[18:19]
	s_delay_alu instid0(VALU_DEP_1) | instskip(NEXT) | instid1(VALU_DEP_1)
	v_div_scale_f64 v[20:21], null, v[18:19], v[18:19], 1.0
	v_rcp_f64_e32 v[22:23], v[20:21]
	v_nop
	s_delay_alu instid0(TRANS32_DEP_1) | instskip(NEXT) | instid1(VALU_DEP_1)
	v_fma_f64 v[24:25], -v[20:21], v[22:23], 1.0
	v_fmac_f64_e32 v[22:23], v[22:23], v[24:25]
	s_delay_alu instid0(VALU_DEP_1) | instskip(NEXT) | instid1(VALU_DEP_1)
	v_fma_f64 v[24:25], -v[20:21], v[22:23], 1.0
	v_fmac_f64_e32 v[22:23], v[22:23], v[24:25]
	v_div_scale_f64 v[24:25], vcc_lo, 1.0, v[18:19], 1.0
	s_delay_alu instid0(VALU_DEP_1) | instskip(NEXT) | instid1(VALU_DEP_1)
	v_mul_f64_e32 v[26:27], v[24:25], v[22:23]
	v_fma_f64 v[20:21], -v[20:21], v[26:27], v[24:25]
	s_delay_alu instid0(VALU_DEP_1) | instskip(NEXT) | instid1(VALU_DEP_1)
	v_div_fmas_f64 v[20:21], v[20:21], v[22:23], v[26:27]
	v_div_fixup_f64 v[18:19], v[20:21], v[18:19], 1.0
.LBB102_10:                             ;   in Loop: Header=BB102_11 Depth=1
	s_wait_loadcnt 0x0
	v_mul_u64_e32 v[16:17], s[12:13], v[16:17]
	v_add_nc_u32_e32 v2, 1, v2
	v_add_nc_u64_e32 v[12:13], 8, v[12:13]
	v_add_nc_u64_e32 v[14:15], 8, v[14:15]
	s_delay_alu instid0(VALU_DEP_3)
	v_cmp_ge_i32_e32 vcc_lo, v2, v6
	s_or_b32 s2, vcc_lo, s2
	v_lshl_add_u64 v[16:17], v[16:17], 3, v[10:11]
	global_load_b64 v[16:17], v[16:17], off
	s_wait_loadcnt 0x0
	v_fmac_f64_e32 v[8:9], v[18:19], v[16:17]
	s_and_not1_b32 exec_lo, exec_lo, s2
	s_cbranch_execz .LBB102_13
.LBB102_11:                             ; =>This Inner Loop Header: Depth=1
	global_load_b64 v[16:17], v[12:13], off
	s_and_not1_b32 vcc_lo, exec_lo, s1
	s_cbranch_vccz .LBB102_9
; %bb.12:                               ;   in Loop: Header=BB102_11 Depth=1
	v_mov_b64_e32 v[18:19], 1.0
	s_branch .LBB102_10
.LBB102_13:
	s_or_b32 exec_lo, exec_lo, s2
.LBB102_14:
	s_delay_alu instid0(SALU_CYCLE_1) | instskip(SKIP_1) | instid1(VALU_DEP_1)
	s_or_b32 exec_lo, exec_lo, s0
	v_mul_u64_e32 v[2:3], s[12:13], v[4:5]
	v_lshl_add_u64 v[2:3], v[2:3], 3, s[18:19]
	s_delay_alu instid0(VALU_DEP_1)
	v_lshl_add_u64 v[0:1], v[0:1], 3, v[2:3]
	global_store_b64 v[0:1], v[8:9], off
.LBB102_15:
	s_endpgm
	.section	.rodata,"a",@progbits
	.p2align	6, 0x0
	.amdhsa_kernel _ZN2at6native12_GLOBAL__N_119compute_grad_weightIdlEEvPKT0_PKT_S5_llS5_PKlPNS_14AccumulateTypeIS6_Lb1EE4typeEl
		.amdhsa_group_segment_fixed_size 0
		.amdhsa_private_segment_fixed_size 0
		.amdhsa_kernarg_size 328
		.amdhsa_user_sgpr_count 2
		.amdhsa_user_sgpr_dispatch_ptr 0
		.amdhsa_user_sgpr_queue_ptr 0
		.amdhsa_user_sgpr_kernarg_segment_ptr 1
		.amdhsa_user_sgpr_dispatch_id 0
		.amdhsa_user_sgpr_kernarg_preload_length 0
		.amdhsa_user_sgpr_kernarg_preload_offset 0
		.amdhsa_user_sgpr_private_segment_size 0
		.amdhsa_wavefront_size32 1
		.amdhsa_uses_dynamic_stack 0
		.amdhsa_enable_private_segment 0
		.amdhsa_system_sgpr_workgroup_id_x 1
		.amdhsa_system_sgpr_workgroup_id_y 0
		.amdhsa_system_sgpr_workgroup_id_z 0
		.amdhsa_system_sgpr_workgroup_info 0
		.amdhsa_system_vgpr_workitem_id 0
		.amdhsa_next_free_vgpr 28
		.amdhsa_next_free_sgpr 36
		.amdhsa_named_barrier_count 0
		.amdhsa_reserve_vcc 1
		.amdhsa_float_round_mode_32 0
		.amdhsa_float_round_mode_16_64 0
		.amdhsa_float_denorm_mode_32 3
		.amdhsa_float_denorm_mode_16_64 3
		.amdhsa_fp16_overflow 0
		.amdhsa_memory_ordered 1
		.amdhsa_forward_progress 1
		.amdhsa_inst_pref_size 11
		.amdhsa_round_robin_scheduling 0
		.amdhsa_exception_fp_ieee_invalid_op 0
		.amdhsa_exception_fp_denorm_src 0
		.amdhsa_exception_fp_ieee_div_zero 0
		.amdhsa_exception_fp_ieee_overflow 0
		.amdhsa_exception_fp_ieee_underflow 0
		.amdhsa_exception_fp_ieee_inexact 0
		.amdhsa_exception_int_div_zero 0
	.end_amdhsa_kernel
	.section	.text._ZN2at6native12_GLOBAL__N_119compute_grad_weightIdlEEvPKT0_PKT_S5_llS5_PKlPNS_14AccumulateTypeIS6_Lb1EE4typeEl,"axG",@progbits,_ZN2at6native12_GLOBAL__N_119compute_grad_weightIdlEEvPKT0_PKT_S5_llS5_PKlPNS_14AccumulateTypeIS6_Lb1EE4typeEl,comdat
.Lfunc_end102:
	.size	_ZN2at6native12_GLOBAL__N_119compute_grad_weightIdlEEvPKT0_PKT_S5_llS5_PKlPNS_14AccumulateTypeIS6_Lb1EE4typeEl, .Lfunc_end102-_ZN2at6native12_GLOBAL__N_119compute_grad_weightIdlEEvPKT0_PKT_S5_llS5_PKlPNS_14AccumulateTypeIS6_Lb1EE4typeEl
                                        ; -- End function
	.set _ZN2at6native12_GLOBAL__N_119compute_grad_weightIdlEEvPKT0_PKT_S5_llS5_PKlPNS_14AccumulateTypeIS6_Lb1EE4typeEl.num_vgpr, 28
	.set _ZN2at6native12_GLOBAL__N_119compute_grad_weightIdlEEvPKT0_PKT_S5_llS5_PKlPNS_14AccumulateTypeIS6_Lb1EE4typeEl.num_agpr, 0
	.set _ZN2at6native12_GLOBAL__N_119compute_grad_weightIdlEEvPKT0_PKT_S5_llS5_PKlPNS_14AccumulateTypeIS6_Lb1EE4typeEl.numbered_sgpr, 36
	.set _ZN2at6native12_GLOBAL__N_119compute_grad_weightIdlEEvPKT0_PKT_S5_llS5_PKlPNS_14AccumulateTypeIS6_Lb1EE4typeEl.num_named_barrier, 0
	.set _ZN2at6native12_GLOBAL__N_119compute_grad_weightIdlEEvPKT0_PKT_S5_llS5_PKlPNS_14AccumulateTypeIS6_Lb1EE4typeEl.private_seg_size, 0
	.set _ZN2at6native12_GLOBAL__N_119compute_grad_weightIdlEEvPKT0_PKT_S5_llS5_PKlPNS_14AccumulateTypeIS6_Lb1EE4typeEl.uses_vcc, 1
	.set _ZN2at6native12_GLOBAL__N_119compute_grad_weightIdlEEvPKT0_PKT_S5_llS5_PKlPNS_14AccumulateTypeIS6_Lb1EE4typeEl.uses_flat_scratch, 0
	.set _ZN2at6native12_GLOBAL__N_119compute_grad_weightIdlEEvPKT0_PKT_S5_llS5_PKlPNS_14AccumulateTypeIS6_Lb1EE4typeEl.has_dyn_sized_stack, 0
	.set _ZN2at6native12_GLOBAL__N_119compute_grad_weightIdlEEvPKT0_PKT_S5_llS5_PKlPNS_14AccumulateTypeIS6_Lb1EE4typeEl.has_recursion, 0
	.set _ZN2at6native12_GLOBAL__N_119compute_grad_weightIdlEEvPKT0_PKT_S5_llS5_PKlPNS_14AccumulateTypeIS6_Lb1EE4typeEl.has_indirect_call, 0
	.section	.AMDGPU.csdata,"",@progbits
; Kernel info:
; codeLenInByte = 1324
; TotalNumSgprs: 38
; NumVgprs: 28
; ScratchSize: 0
; MemoryBound: 0
; FloatMode: 240
; IeeeMode: 1
; LDSByteSize: 0 bytes/workgroup (compile time only)
; SGPRBlocks: 0
; VGPRBlocks: 1
; NumSGPRsForWavesPerEU: 38
; NumVGPRsForWavesPerEU: 28
; NamedBarCnt: 0
; Occupancy: 16
; WaveLimiterHint : 1
; COMPUTE_PGM_RSRC2:SCRATCH_EN: 0
; COMPUTE_PGM_RSRC2:USER_SGPR: 2
; COMPUTE_PGM_RSRC2:TRAP_HANDLER: 0
; COMPUTE_PGM_RSRC2:TGID_X_EN: 1
; COMPUTE_PGM_RSRC2:TGID_Y_EN: 0
; COMPUTE_PGM_RSRC2:TGID_Z_EN: 0
; COMPUTE_PGM_RSRC2:TIDIG_COMP_CNT: 0
	.section	.text._ZN2at6native12_GLOBAL__N_115sum_and_scatterIdlEEvPKT0_PT_lS5_PKlPKNS_14AccumulateTypeIS6_Lb1EE4typeES5_S9_ll,"axG",@progbits,_ZN2at6native12_GLOBAL__N_115sum_and_scatterIdlEEvPKT0_PT_lS5_PKlPKNS_14AccumulateTypeIS6_Lb1EE4typeES5_S9_ll,comdat
	.globl	_ZN2at6native12_GLOBAL__N_115sum_and_scatterIdlEEvPKT0_PT_lS5_PKlPKNS_14AccumulateTypeIS6_Lb1EE4typeES5_S9_ll ; -- Begin function _ZN2at6native12_GLOBAL__N_115sum_and_scatterIdlEEvPKT0_PT_lS5_PKlPKNS_14AccumulateTypeIS6_Lb1EE4typeES5_S9_ll
	.p2align	8
	.type	_ZN2at6native12_GLOBAL__N_115sum_and_scatterIdlEEvPKT0_PT_lS5_PKlPKNS_14AccumulateTypeIS6_Lb1EE4typeES5_S9_ll,@function
_ZN2at6native12_GLOBAL__N_115sum_and_scatterIdlEEvPKT0_PT_lS5_PKlPKNS_14AccumulateTypeIS6_Lb1EE4typeES5_S9_ll: ; @_ZN2at6native12_GLOBAL__N_115sum_and_scatterIdlEEvPKT0_PT_lS5_PKlPKNS_14AccumulateTypeIS6_Lb1EE4typeES5_S9_ll
; %bb.0:
	s_clause 0x1
	s_load_b32 s2, s[0:1], 0x5c
	s_load_b128 s[20:23], s[0:1], 0x40
	s_bfe_u32 s3, ttmp6, 0x4000c
	s_and_b32 s4, ttmp6, 15
	s_add_co_i32 s3, s3, 1
	s_getreg_b32 s5, hwreg(HW_REG_IB_STS2, 6, 4)
	s_mul_i32 s3, ttmp9, s3
	v_mov_b32_e32 v1, 0
	s_add_co_i32 s4, s4, s3
	s_wait_kmcnt 0x0
	s_and_b32 s2, s2, 0xffff
	s_cmp_eq_u32 s5, 0
	s_cselect_b32 s3, ttmp9, s4
	s_load_b512 s[4:19], s[0:1], 0x0
	v_mad_nc_u64_u32 v[2:3], s2, s3, v[0:1]
	s_wait_xcnt 0x0
	s_mov_b32 s1, 0
	s_delay_alu instid0(VALU_DEP_1) | instskip(NEXT) | instid1(VALU_DEP_1)
	v_dual_mov_b32 v4, v1 :: v_dual_bitop2_b32 v5, s23, v3 bitop3:0x54
	v_cmp_ne_u64_e32 vcc_lo, 0, v[4:5]
                                        ; implicit-def: $vgpr4_vgpr5
	s_and_saveexec_b32 s0, vcc_lo
	s_delay_alu instid0(SALU_CYCLE_1)
	s_xor_b32 s26, exec_lo, s0
	s_cbranch_execz .LBB103_2
; %bb.1:
	s_ashr_i32 s2, s23, 31
	v_dual_mov_b32 v9, v1 :: v_dual_ashrrev_i32 v4, 31, v3
	s_mov_b32 s3, s2
	v_mov_b32_e32 v15, v1
	s_add_nc_u64 s[24:25], s[22:23], s[2:3]
	s_delay_alu instid0(VALU_DEP_2) | instskip(SKIP_1) | instid1(SALU_CYCLE_1)
	v_mov_b32_e32 v5, v4
	s_xor_b64 s[24:25], s[24:25], s[2:3]
	s_cvt_f32_u32 s0, s24
	s_cvt_f32_u32 s3, s25
	s_sub_nc_u64 s[30:31], 0, s[24:25]
	v_add_nc_u64_e32 v[6:7], v[2:3], v[4:5]
	s_delay_alu instid0(SALU_CYCLE_1) | instskip(NEXT) | instid1(SALU_CYCLE_3)
	s_fmamk_f32 s0, s3, 0x4f800000, s0
	v_s_rcp_f32 s0, s0
	s_delay_alu instid0(VALU_DEP_1) | instskip(NEXT) | instid1(VALU_DEP_2)
	v_xor_b32_e32 v0, v6, v4
	v_xor_b32_e32 v8, v7, v4
	s_delay_alu instid0(TRANS32_DEP_1) | instskip(NEXT) | instid1(SALU_CYCLE_3)
	s_mul_f32 s0, s0, 0x5f7ffffc
	s_mul_f32 s3, s0, 0x2f800000
	s_delay_alu instid0(SALU_CYCLE_3) | instskip(NEXT) | instid1(SALU_CYCLE_3)
	s_trunc_f32 s3, s3
	s_fmamk_f32 s0, s3, 0xcf800000, s0
	s_cvt_u32_f32 s29, s3
	s_delay_alu instid0(SALU_CYCLE_2) | instskip(NEXT) | instid1(SALU_CYCLE_3)
	s_cvt_u32_f32 s28, s0
	s_mul_u64 s[34:35], s[30:31], s[28:29]
	s_delay_alu instid0(SALU_CYCLE_1)
	s_mul_hi_u32 s37, s28, s35
	s_mul_i32 s36, s28, s35
	s_mul_hi_u32 s0, s28, s34
	s_mul_i32 s27, s29, s34
	s_add_nc_u64 s[36:37], s[0:1], s[36:37]
	s_mul_hi_u32 s3, s29, s34
	s_mul_hi_u32 s33, s29, s35
	s_add_co_u32 s0, s36, s27
	s_add_co_ci_u32 s0, s37, s3
	s_mul_i32 s34, s29, s35
	s_add_co_ci_u32 s35, s33, 0
	s_delay_alu instid0(SALU_CYCLE_1) | instskip(NEXT) | instid1(SALU_CYCLE_1)
	s_add_nc_u64 s[34:35], s[0:1], s[34:35]
	s_add_co_u32 s28, s28, s34
	s_cselect_b32 s0, -1, 0
	s_delay_alu instid0(SALU_CYCLE_1) | instskip(SKIP_1) | instid1(SALU_CYCLE_1)
	s_cmp_lg_u32 s0, 0
	s_add_co_ci_u32 s29, s29, s35
	s_mul_u64 s[30:31], s[30:31], s[28:29]
	s_delay_alu instid0(SALU_CYCLE_1)
	s_mul_hi_u32 s35, s28, s31
	s_mul_i32 s34, s28, s31
	s_mul_hi_u32 s0, s28, s30
	s_mul_i32 s27, s29, s30
	s_add_nc_u64 s[34:35], s[0:1], s[34:35]
	s_mul_hi_u32 s3, s29, s30
	s_mul_hi_u32 s33, s29, s31
	s_add_co_u32 s0, s34, s27
	s_add_co_ci_u32 s0, s35, s3
	s_mul_i32 s30, s29, s31
	s_add_co_ci_u32 s31, s33, 0
	s_delay_alu instid0(SALU_CYCLE_1) | instskip(NEXT) | instid1(SALU_CYCLE_1)
	s_add_nc_u64 s[30:31], s[0:1], s[30:31]
	s_add_co_u32 s28, s28, s30
	s_cselect_b32 s0, -1, 0
	v_mul_hi_u32 v14, v0, s28
	s_cmp_lg_u32 s0, 0
	s_add_co_ci_u32 s0, s29, s31
	s_mov_b64 s[30:31], 0xffffffff
	v_mul_u64_e32 v[10:11], s[0:1], v[0:1]
	s_and_b64 s[30:31], s[28:29], s[30:31]
	v_mul_u64_e32 v[12:13], s[0:1], v[8:9]
	v_mul_u64_e32 v[6:7], s[30:31], v[8:9]
	s_delay_alu instid0(VALU_DEP_3) | instskip(NEXT) | instid1(VALU_DEP_1)
	v_add_nc_u64_e32 v[10:11], v[14:15], v[10:11]
	v_add_co_u32 v1, vcc_lo, v10, v6
	s_delay_alu instid0(VALU_DEP_2) | instskip(SKIP_1) | instid1(VALU_DEP_1)
	v_add_co_ci_u32_e32 v14, vcc_lo, v11, v7, vcc_lo
	v_add_co_ci_u32_e32 v13, vcc_lo, 0, v13, vcc_lo
	v_add_nc_u64_e32 v[6:7], v[14:15], v[12:13]
	s_delay_alu instid0(VALU_DEP_1) | instskip(NEXT) | instid1(VALU_DEP_1)
	v_mul_u64_e32 v[10:11], s[24:25], v[6:7]
	v_sub_nc_u32_e32 v1, v8, v11
	s_delay_alu instid0(VALU_DEP_2) | instskip(NEXT) | instid1(VALU_DEP_1)
	v_sub_co_u32 v0, vcc_lo, v0, v10
	v_sub_co_ci_u32_e64 v10, null, v8, v11, vcc_lo
	s_delay_alu instid0(VALU_DEP_3) | instskip(NEXT) | instid1(VALU_DEP_3)
	v_subrev_co_ci_u32_e64 v1, null, s25, v1, vcc_lo
	v_sub_co_u32 v5, s0, v0, s24
	s_delay_alu instid0(VALU_DEP_1) | instskip(NEXT) | instid1(VALU_DEP_2)
	v_subrev_co_ci_u32_e64 v1, null, 0, v1, s0
	v_cmp_le_u32_e32 vcc_lo, s24, v5
	v_cndmask_b32_e64 v5, 0, -1, vcc_lo
	s_delay_alu instid0(VALU_DEP_3)
	v_cmp_le_u32_e32 vcc_lo, s25, v1
	v_cndmask_b32_e64 v8, 0, -1, vcc_lo
	v_cmp_le_u32_e32 vcc_lo, s24, v0
	v_cndmask_b32_e64 v11, 0, -1, vcc_lo
	;; [unrolled: 2-line block ×3, first 2 shown]
	v_cmp_eq_u32_e32 vcc_lo, s25, v1
	v_add_nc_u64_e32 v[0:1], 2, v[6:7]
	v_cndmask_b32_e32 v5, v8, v5, vcc_lo
	v_cmp_eq_u32_e32 vcc_lo, s25, v10
	v_add_nc_u64_e32 v[8:9], 1, v[6:7]
	v_cndmask_b32_e32 v10, v12, v11, vcc_lo
	s_delay_alu instid0(VALU_DEP_4) | instskip(NEXT) | instid1(VALU_DEP_3)
	v_cmp_ne_u32_e32 vcc_lo, 0, v5
	v_cndmask_b32_e32 v1, v9, v1, vcc_lo
	s_delay_alu instid0(VALU_DEP_3) | instskip(SKIP_1) | instid1(VALU_DEP_2)
	v_cmp_ne_u32_e64 s0, 0, v10
	v_cndmask_b32_e32 v5, v8, v0, vcc_lo
	v_dual_cndmask_b32 v4, v7, v1, s0 :: v_dual_bitop2_b32 v0, s2, v4 bitop3:0x14
	s_delay_alu instid0(VALU_DEP_1) | instskip(NEXT) | instid1(VALU_DEP_2)
	v_dual_cndmask_b32 v6, v6, v5, s0 :: v_dual_mov_b32 v1, v0
	v_xor_b32_e32 v5, v4, v0
	s_delay_alu instid0(VALU_DEP_2) | instskip(NEXT) | instid1(VALU_DEP_1)
	v_xor_b32_e32 v4, v6, v0
	v_sub_nc_u64_e32 v[4:5], v[4:5], v[0:1]
.LBB103_2:
	s_or_saveexec_b32 s0, s26
	s_wait_kmcnt 0x0
	s_load_b64 s[2:3], s[12:13], 0x0
	s_xor_b32 exec_lo, exec_lo, s0
	s_cbranch_execz .LBB103_4
; %bb.3:
	v_cvt_f32_u32_e32 v0, s22
	s_sub_co_i32 s1, 0, s22
	s_delay_alu instid0(VALU_DEP_1) | instskip(SKIP_1) | instid1(TRANS32_DEP_1)
	v_rcp_iflag_f32_e32 v0, v0
	v_nop
	v_mul_f32_e32 v0, 0x4f7ffffe, v0
	s_delay_alu instid0(VALU_DEP_1) | instskip(NEXT) | instid1(VALU_DEP_1)
	v_cvt_u32_f32_e32 v0, v0
	v_mul_lo_u32 v1, s1, v0
	s_delay_alu instid0(VALU_DEP_1) | instskip(NEXT) | instid1(VALU_DEP_1)
	v_mul_hi_u32 v1, v0, v1
	v_add_nc_u32_e32 v0, v0, v1
	s_delay_alu instid0(VALU_DEP_1) | instskip(NEXT) | instid1(VALU_DEP_1)
	v_mul_hi_u32 v0, v2, v0
	v_mul_lo_u32 v1, v0, s22
	s_delay_alu instid0(VALU_DEP_1) | instskip(NEXT) | instid1(VALU_DEP_1)
	v_sub_nc_u32_e32 v1, v2, v1
	v_subrev_nc_u32_e32 v5, s22, v1
	v_cmp_le_u32_e32 vcc_lo, s22, v1
	s_delay_alu instid0(VALU_DEP_2) | instskip(NEXT) | instid1(VALU_DEP_1)
	v_dual_cndmask_b32 v1, v1, v5 :: v_dual_add_nc_u32 v4, 1, v0
	v_dual_cndmask_b32 v0, v0, v4 :: v_dual_mov_b32 v5, 0
	s_delay_alu instid0(VALU_DEP_2) | instskip(NEXT) | instid1(VALU_DEP_2)
	v_cmp_le_u32_e32 vcc_lo, s22, v1
	v_add_nc_u32_e32 v4, 1, v0
	s_delay_alu instid0(VALU_DEP_1)
	v_cndmask_b32_e32 v4, v0, v4, vcc_lo
.LBB103_4:
	s_or_b32 exec_lo, exec_lo, s0
	s_delay_alu instid0(VALU_DEP_1) | instskip(SKIP_2) | instid1(VALU_DEP_2)
	v_mul_u64_e32 v[10:11], s[22:23], v[4:5]
	s_wait_kmcnt 0x0
	v_cmp_gt_i64_e64 s0, s[2:3], v[4:5]
	v_sub_nc_u64_e32 v[0:1], v[2:3], v[10:11]
	s_delay_alu instid0(VALU_DEP_1) | instskip(SKIP_1) | instid1(SALU_CYCLE_1)
	v_cmp_gt_i64_e32 vcc_lo, s[8:9], v[0:1]
	s_and_b32 s0, vcc_lo, s0
	s_and_saveexec_b32 s1, s0
	s_cbranch_execz .LBB103_11
; %bb.5:
	v_lshl_add_u64 v[6:7], v[4:5], 3, s[16:17]
	s_add_nc_u64 s[0:1], s[2:3], -1
	s_mov_b32 s2, exec_lo
	v_cmp_eq_u64_e32 vcc_lo, s[0:1], v[4:5]
	s_delay_alu instid0(VALU_DEP_2) | instskip(NEXT) | instid1(VALU_DEP_1)
	v_add_nc_u64_e32 v[8:9], 8, v[6:7]
	v_cndmask_b32_e64 v15, v9, s19, vcc_lo
	s_delay_alu instid0(VALU_DEP_2)
	v_cndmask_b32_e64 v14, v8, s18, vcc_lo
	global_load_b32 v8, v[6:7], off
	global_load_b32 v12, v[14:15], off
	s_wait_xcnt 0x1
	v_mov_b64_e32 v[6:7], 0
	s_wait_loadcnt 0x0
	v_cmpx_lt_i32_e64 v8, v12
	s_cbranch_execz .LBB103_9
; %bb.6:
	v_ashrrev_i32_e32 v9, 31, v8
	v_lshlrev_b64_e32 v[2:3], 3, v[2:3]
	v_lshlrev_b64_e32 v[10:11], 3, v[10:11]
	s_lshl_b64 s[0:1], s[8:9], 3
	s_mov_b32 s3, 0
	v_mul_u64_e32 v[6:7], s[8:9], v[8:9]
	s_delay_alu instid0(VALU_DEP_1) | instskip(SKIP_1) | instid1(VALU_DEP_2)
	v_lshl_add_u64 v[2:3], v[6:7], 3, v[2:3]
	v_mov_b64_e32 v[6:7], 0
	v_sub_nc_u64_e32 v[2:3], v[2:3], v[10:11]
	s_delay_alu instid0(VALU_DEP_1)
	v_add_nc_u64_e32 v[2:3], s[14:15], v[2:3]
.LBB103_7:                              ; =>This Inner Loop Header: Depth=1
	global_load_b64 v[10:11], v[2:3], off
	s_wait_xcnt 0x0
	v_add_nc_u64_e32 v[2:3], s[0:1], v[2:3]
	v_add_nc_u32_e32 v8, 1, v8
	s_delay_alu instid0(VALU_DEP_1)
	v_cmp_ge_i32_e32 vcc_lo, v8, v12
	s_or_b32 s3, vcc_lo, s3
	s_wait_loadcnt 0x0
	v_add_f64_e32 v[6:7], v[6:7], v[10:11]
	s_and_not1_b32 exec_lo, exec_lo, s3
	s_cbranch_execnz .LBB103_7
; %bb.8:
	s_or_b32 exec_lo, exec_lo, s3
.LBB103_9:
	s_delay_alu instid0(SALU_CYCLE_1)
	s_or_b32 exec_lo, exec_lo, s2
	v_lshl_add_u64 v[2:3], v[4:5], 3, s[10:11]
	global_load_b64 v[2:3], v[2:3], off
	s_wait_loadcnt 0x0
	v_lshl_add_u64 v[2:3], v[2:3], 3, s[4:5]
	global_load_b64 v[2:3], v[2:3], off
	s_wait_loadcnt 0x0
	v_cmp_ne_u64_e32 vcc_lo, s[20:21], v[2:3]
	s_and_b32 exec_lo, exec_lo, vcc_lo
	s_cbranch_execz .LBB103_11
; %bb.10:
	v_mul_u64_e32 v[2:3], s[8:9], v[2:3]
	s_delay_alu instid0(VALU_DEP_1) | instskip(NEXT) | instid1(VALU_DEP_1)
	v_lshl_add_u64 v[2:3], v[2:3], 3, s[6:7]
	v_lshl_add_u64 v[0:1], v[0:1], 3, v[2:3]
	global_store_b64 v[0:1], v[6:7], off
.LBB103_11:
	s_endpgm
	.section	.rodata,"a",@progbits
	.p2align	6, 0x0
	.amdhsa_kernel _ZN2at6native12_GLOBAL__N_115sum_and_scatterIdlEEvPKT0_PT_lS5_PKlPKNS_14AccumulateTypeIS6_Lb1EE4typeES5_S9_ll
		.amdhsa_group_segment_fixed_size 0
		.amdhsa_private_segment_fixed_size 0
		.amdhsa_kernarg_size 336
		.amdhsa_user_sgpr_count 2
		.amdhsa_user_sgpr_dispatch_ptr 0
		.amdhsa_user_sgpr_queue_ptr 0
		.amdhsa_user_sgpr_kernarg_segment_ptr 1
		.amdhsa_user_sgpr_dispatch_id 0
		.amdhsa_user_sgpr_kernarg_preload_length 0
		.amdhsa_user_sgpr_kernarg_preload_offset 0
		.amdhsa_user_sgpr_private_segment_size 0
		.amdhsa_wavefront_size32 1
		.amdhsa_uses_dynamic_stack 0
		.amdhsa_enable_private_segment 0
		.amdhsa_system_sgpr_workgroup_id_x 1
		.amdhsa_system_sgpr_workgroup_id_y 0
		.amdhsa_system_sgpr_workgroup_id_z 0
		.amdhsa_system_sgpr_workgroup_info 0
		.amdhsa_system_vgpr_workitem_id 0
		.amdhsa_next_free_vgpr 16
		.amdhsa_next_free_sgpr 38
		.amdhsa_named_barrier_count 0
		.amdhsa_reserve_vcc 1
		.amdhsa_float_round_mode_32 0
		.amdhsa_float_round_mode_16_64 0
		.amdhsa_float_denorm_mode_32 3
		.amdhsa_float_denorm_mode_16_64 3
		.amdhsa_fp16_overflow 0
		.amdhsa_memory_ordered 1
		.amdhsa_forward_progress 1
		.amdhsa_inst_pref_size 10
		.amdhsa_round_robin_scheduling 0
		.amdhsa_exception_fp_ieee_invalid_op 0
		.amdhsa_exception_fp_denorm_src 0
		.amdhsa_exception_fp_ieee_div_zero 0
		.amdhsa_exception_fp_ieee_overflow 0
		.amdhsa_exception_fp_ieee_underflow 0
		.amdhsa_exception_fp_ieee_inexact 0
		.amdhsa_exception_int_div_zero 0
	.end_amdhsa_kernel
	.section	.text._ZN2at6native12_GLOBAL__N_115sum_and_scatterIdlEEvPKT0_PT_lS5_PKlPKNS_14AccumulateTypeIS6_Lb1EE4typeES5_S9_ll,"axG",@progbits,_ZN2at6native12_GLOBAL__N_115sum_and_scatterIdlEEvPKT0_PT_lS5_PKlPKNS_14AccumulateTypeIS6_Lb1EE4typeES5_S9_ll,comdat
.Lfunc_end103:
	.size	_ZN2at6native12_GLOBAL__N_115sum_and_scatterIdlEEvPKT0_PT_lS5_PKlPKNS_14AccumulateTypeIS6_Lb1EE4typeES5_S9_ll, .Lfunc_end103-_ZN2at6native12_GLOBAL__N_115sum_and_scatterIdlEEvPKT0_PT_lS5_PKlPKNS_14AccumulateTypeIS6_Lb1EE4typeES5_S9_ll
                                        ; -- End function
	.set _ZN2at6native12_GLOBAL__N_115sum_and_scatterIdlEEvPKT0_PT_lS5_PKlPKNS_14AccumulateTypeIS6_Lb1EE4typeES5_S9_ll.num_vgpr, 16
	.set _ZN2at6native12_GLOBAL__N_115sum_and_scatterIdlEEvPKT0_PT_lS5_PKlPKNS_14AccumulateTypeIS6_Lb1EE4typeES5_S9_ll.num_agpr, 0
	.set _ZN2at6native12_GLOBAL__N_115sum_and_scatterIdlEEvPKT0_PT_lS5_PKlPKNS_14AccumulateTypeIS6_Lb1EE4typeES5_S9_ll.numbered_sgpr, 38
	.set _ZN2at6native12_GLOBAL__N_115sum_and_scatterIdlEEvPKT0_PT_lS5_PKlPKNS_14AccumulateTypeIS6_Lb1EE4typeES5_S9_ll.num_named_barrier, 0
	.set _ZN2at6native12_GLOBAL__N_115sum_and_scatterIdlEEvPKT0_PT_lS5_PKlPKNS_14AccumulateTypeIS6_Lb1EE4typeES5_S9_ll.private_seg_size, 0
	.set _ZN2at6native12_GLOBAL__N_115sum_and_scatterIdlEEvPKT0_PT_lS5_PKlPKNS_14AccumulateTypeIS6_Lb1EE4typeES5_S9_ll.uses_vcc, 1
	.set _ZN2at6native12_GLOBAL__N_115sum_and_scatterIdlEEvPKT0_PT_lS5_PKlPKNS_14AccumulateTypeIS6_Lb1EE4typeES5_S9_ll.uses_flat_scratch, 0
	.set _ZN2at6native12_GLOBAL__N_115sum_and_scatterIdlEEvPKT0_PT_lS5_PKlPKNS_14AccumulateTypeIS6_Lb1EE4typeES5_S9_ll.has_dyn_sized_stack, 0
	.set _ZN2at6native12_GLOBAL__N_115sum_and_scatterIdlEEvPKT0_PT_lS5_PKlPKNS_14AccumulateTypeIS6_Lb1EE4typeES5_S9_ll.has_recursion, 0
	.set _ZN2at6native12_GLOBAL__N_115sum_and_scatterIdlEEvPKT0_PT_lS5_PKlPKNS_14AccumulateTypeIS6_Lb1EE4typeES5_S9_ll.has_indirect_call, 0
	.section	.AMDGPU.csdata,"",@progbits
; Kernel info:
; codeLenInByte = 1216
; TotalNumSgprs: 40
; NumVgprs: 16
; ScratchSize: 0
; MemoryBound: 0
; FloatMode: 240
; IeeeMode: 1
; LDSByteSize: 0 bytes/workgroup (compile time only)
; SGPRBlocks: 0
; VGPRBlocks: 0
; NumSGPRsForWavesPerEU: 40
; NumVGPRsForWavesPerEU: 16
; NamedBarCnt: 0
; Occupancy: 16
; WaveLimiterHint : 1
; COMPUTE_PGM_RSRC2:SCRATCH_EN: 0
; COMPUTE_PGM_RSRC2:USER_SGPR: 2
; COMPUTE_PGM_RSRC2:TRAP_HANDLER: 0
; COMPUTE_PGM_RSRC2:TGID_X_EN: 1
; COMPUTE_PGM_RSRC2:TGID_Y_EN: 0
; COMPUTE_PGM_RSRC2:TGID_Z_EN: 0
; COMPUTE_PGM_RSRC2:TIDIG_COMP_CNT: 0
	.section	.text._ZN2at6native12_GLOBAL__N_137compute_grad_weight_atomic_accumulateIfflEEvPKT1_PKT_S5_llS5_PKlS5_S5_S5_PT0_ll,"axG",@progbits,_ZN2at6native12_GLOBAL__N_137compute_grad_weight_atomic_accumulateIfflEEvPKT1_PKT_S5_llS5_PKlS5_S5_S5_PT0_ll,comdat
	.globl	_ZN2at6native12_GLOBAL__N_137compute_grad_weight_atomic_accumulateIfflEEvPKT1_PKT_S5_llS5_PKlS5_S5_S5_PT0_ll ; -- Begin function _ZN2at6native12_GLOBAL__N_137compute_grad_weight_atomic_accumulateIfflEEvPKT1_PKT_S5_llS5_PKlS5_S5_S5_PT0_ll
	.p2align	8
	.type	_ZN2at6native12_GLOBAL__N_137compute_grad_weight_atomic_accumulateIfflEEvPKT1_PKT_S5_llS5_PKlS5_S5_S5_PT0_ll,@function
_ZN2at6native12_GLOBAL__N_137compute_grad_weight_atomic_accumulateIfflEEvPKT1_PKT_S5_llS5_PKlS5_S5_S5_PT0_ll: ; @_ZN2at6native12_GLOBAL__N_137compute_grad_weight_atomic_accumulateIfflEEvPKT1_PKT_S5_llS5_PKlS5_S5_S5_PT0_ll
; %bb.0:
	s_clause 0x1
	s_load_b32 s2, s[0:1], 0x74
	s_load_b64 s[20:21], s[0:1], 0x60
	s_bfe_u32 s3, ttmp6, 0x4000c
	s_and_b32 s4, ttmp6, 15
	s_add_co_i32 s3, s3, 1
	s_getreg_b32 s5, hwreg(HW_REG_IB_STS2, 6, 4)
	s_mul_i32 s3, ttmp9, s3
                                        ; implicit-def: $vgpr2_vgpr3
	v_mov_b32_e32 v4, 0
	s_add_co_i32 s4, s4, s3
	s_wait_kmcnt 0x0
	s_and_b32 s2, s2, 0xffff
	s_cmp_eq_u32 s5, 0
	s_cselect_b32 s3, ttmp9, s4
	s_delay_alu instid0(SALU_CYCLE_1) | instskip(SKIP_2) | instid1(VALU_DEP_1)
	v_mad_u32 v0, s3, s2, v0
	s_mov_b32 s3, 0
	s_mov_b32 s2, exec_lo
	v_ashrrev_i32_e32 v1, 31, v0
	s_delay_alu instid0(VALU_DEP_1) | instskip(NEXT) | instid1(VALU_DEP_1)
	v_or_b32_e32 v5, s21, v1
	v_cmpx_ne_u64_e32 0, v[4:5]
	s_xor_b32 s8, exec_lo, s2
	s_cbranch_execz .LBB104_2
; %bb.1:
	s_ashr_i32 s4, s21, 31
	v_dual_mov_b32 v9, v4 :: v_dual_ashrrev_i32 v2, 31, v1
	s_mov_b32 s5, s4
	v_mov_b32_e32 v11, v4
	s_add_nc_u64 s[6:7], s[20:21], s[4:5]
	s_delay_alu instid0(VALU_DEP_2)
	v_mov_b32_e32 v3, v2
	s_xor_b64 s[6:7], s[6:7], s[4:5]
	v_mov_b32_e32 v17, v4
	s_cvt_f32_u32 s2, s6
	s_cvt_f32_u32 s5, s7
	s_sub_nc_u64 s[12:13], 0, s[6:7]
	v_add_nc_u64_e32 v[6:7], v[0:1], v[2:3]
	v_mov_b32_e32 v5, v4
	s_fmamk_f32 s2, s5, 0x4f800000, s2
	s_delay_alu instid0(SALU_CYCLE_3) | instskip(NEXT) | instid1(VALU_DEP_2)
	v_s_rcp_f32 s2, s2
	v_xor_b32_e32 v8, v6, v2
	s_delay_alu instid0(VALU_DEP_3) | instskip(SKIP_1) | instid1(TRANS32_DEP_1)
	v_xor_b32_e32 v10, v7, v2
	v_xor_b32_e32 v2, s4, v2
	s_mul_f32 s2, s2, 0x5f7ffffc
	s_delay_alu instid0(SALU_CYCLE_3) | instskip(NEXT) | instid1(SALU_CYCLE_3)
	s_mul_f32 s5, s2, 0x2f800000
	s_trunc_f32 s5, s5
	s_delay_alu instid0(SALU_CYCLE_3) | instskip(SKIP_1) | instid1(SALU_CYCLE_2)
	s_fmamk_f32 s2, s5, 0xcf800000, s2
	s_cvt_u32_f32 s11, s5
	s_cvt_u32_f32 s10, s2
	s_delay_alu instid0(SALU_CYCLE_3) | instskip(NEXT) | instid1(SALU_CYCLE_1)
	s_mul_u64 s[14:15], s[12:13], s[10:11]
	s_mul_hi_u32 s17, s10, s15
	s_mul_i32 s16, s10, s15
	s_mul_hi_u32 s2, s10, s14
	s_mul_i32 s9, s11, s14
	s_add_nc_u64 s[16:17], s[2:3], s[16:17]
	s_mul_hi_u32 s5, s11, s14
	s_mul_hi_u32 s18, s11, s15
	s_add_co_u32 s2, s16, s9
	s_add_co_ci_u32 s2, s17, s5
	s_mul_i32 s14, s11, s15
	s_add_co_ci_u32 s15, s18, 0
	s_delay_alu instid0(SALU_CYCLE_1) | instskip(NEXT) | instid1(SALU_CYCLE_1)
	s_add_nc_u64 s[14:15], s[2:3], s[14:15]
	s_add_co_u32 s10, s10, s14
	s_cselect_b32 s2, -1, 0
	s_delay_alu instid0(SALU_CYCLE_1) | instskip(SKIP_1) | instid1(SALU_CYCLE_1)
	s_cmp_lg_u32 s2, 0
	s_add_co_ci_u32 s11, s11, s15
	s_mul_u64 s[12:13], s[12:13], s[10:11]
	s_delay_alu instid0(SALU_CYCLE_1)
	s_mul_hi_u32 s15, s10, s13
	s_mul_i32 s14, s10, s13
	s_mul_hi_u32 s2, s10, s12
	s_mul_i32 s9, s11, s12
	s_add_nc_u64 s[14:15], s[2:3], s[14:15]
	s_mul_hi_u32 s5, s11, s12
	s_mul_hi_u32 s16, s11, s13
	s_add_co_u32 s2, s14, s9
	s_add_co_ci_u32 s2, s15, s5
	s_mul_i32 s12, s11, s13
	s_add_co_ci_u32 s13, s16, 0
	s_delay_alu instid0(SALU_CYCLE_1) | instskip(NEXT) | instid1(SALU_CYCLE_1)
	s_add_nc_u64 s[12:13], s[2:3], s[12:13]
	s_add_co_u32 s10, s10, s12
	s_cselect_b32 s2, -1, 0
	v_mul_hi_u32 v16, v8, s10
	s_cmp_lg_u32 s2, 0
	s_add_co_ci_u32 s2, s11, s13
	s_mov_b64 s[12:13], 0xffffffff
	v_mul_u64_e32 v[12:13], s[2:3], v[8:9]
	s_and_b64 s[12:13], s[10:11], s[12:13]
	v_mul_u64_e32 v[14:15], s[2:3], v[10:11]
	v_mul_u64_e32 v[6:7], s[12:13], v[10:11]
	s_delay_alu instid0(VALU_DEP_3) | instskip(NEXT) | instid1(VALU_DEP_1)
	v_add_nc_u64_e32 v[12:13], v[16:17], v[12:13]
	v_add_co_u32 v3, vcc_lo, v12, v6
	s_delay_alu instid0(VALU_DEP_2) | instskip(SKIP_1) | instid1(VALU_DEP_1)
	v_add_co_ci_u32_e32 v4, vcc_lo, v13, v7, vcc_lo
	v_add_co_ci_u32_e32 v15, vcc_lo, 0, v15, vcc_lo
	v_add_nc_u64_e32 v[4:5], v[4:5], v[14:15]
	s_delay_alu instid0(VALU_DEP_1) | instskip(NEXT) | instid1(VALU_DEP_1)
	v_mul_u64_e32 v[6:7], s[6:7], v[4:5]
	v_sub_nc_u32_e32 v3, v10, v7
	s_delay_alu instid0(VALU_DEP_2) | instskip(NEXT) | instid1(VALU_DEP_1)
	v_sub_co_u32 v6, vcc_lo, v8, v6
	v_sub_co_ci_u32_e64 v10, null, v10, v7, vcc_lo
	s_delay_alu instid0(VALU_DEP_3) | instskip(NEXT) | instid1(VALU_DEP_3)
	v_subrev_co_ci_u32_e64 v3, null, s7, v3, vcc_lo
	v_sub_co_u32 v8, s2, v6, s6
	s_delay_alu instid0(VALU_DEP_1) | instskip(NEXT) | instid1(VALU_DEP_2)
	v_subrev_co_ci_u32_e64 v3, null, 0, v3, s2
	v_cmp_le_u32_e32 vcc_lo, s6, v8
	v_cndmask_b32_e64 v7, 0, -1, vcc_lo
	s_delay_alu instid0(VALU_DEP_3)
	v_cmp_le_u32_e32 vcc_lo, s7, v3
	v_cndmask_b32_e64 v8, 0, -1, vcc_lo
	v_cmp_le_u32_e32 vcc_lo, s6, v6
	v_cndmask_b32_e64 v11, 0, -1, vcc_lo
	;; [unrolled: 2-line block ×3, first 2 shown]
	v_cmp_eq_u32_e32 vcc_lo, s7, v3
	v_cndmask_b32_e32 v3, v8, v7, vcc_lo
	v_cmp_eq_u32_e32 vcc_lo, s7, v10
	v_add_nc_u64_e32 v[6:7], 2, v[4:5]
	v_add_nc_u64_e32 v[8:9], 1, v[4:5]
	v_cndmask_b32_e32 v10, v12, v11, vcc_lo
	v_cmp_ne_u32_e32 vcc_lo, 0, v3
	s_delay_alu instid0(VALU_DEP_2) | instskip(NEXT) | instid1(VALU_DEP_4)
	v_cmp_ne_u32_e64 s2, 0, v10
	v_dual_cndmask_b32 v6, v8, v6 :: v_dual_cndmask_b32 v3, v9, v7
	s_delay_alu instid0(VALU_DEP_1) | instskip(NEXT) | instid1(VALU_DEP_1)
	v_dual_cndmask_b32 v4, v4, v6, s2 :: v_dual_cndmask_b32 v5, v5, v3, s2
	v_dual_mov_b32 v3, v2 :: v_dual_bitop2_b32 v4, v4, v2 bitop3:0x14
	s_delay_alu instid0(VALU_DEP_2) | instskip(NEXT) | instid1(VALU_DEP_1)
	v_xor_b32_e32 v5, v5, v2
	v_sub_nc_u64_e32 v[2:3], v[4:5], v[2:3]
.LBB104_2:
	s_or_saveexec_b32 s2, s8
	s_load_b512 s[4:19], s[0:1], 0x0
	s_xor_b32 exec_lo, exec_lo, s2
	s_cbranch_execz .LBB104_4
; %bb.3:
	v_cvt_f32_u32_e32 v2, s20
	s_sub_co_i32 s3, 0, s20
	s_delay_alu instid0(VALU_DEP_1) | instskip(SKIP_1) | instid1(TRANS32_DEP_1)
	v_rcp_iflag_f32_e32 v2, v2
	v_nop
	v_mul_f32_e32 v2, 0x4f7ffffe, v2
	s_delay_alu instid0(VALU_DEP_1) | instskip(NEXT) | instid1(VALU_DEP_1)
	v_cvt_u32_f32_e32 v2, v2
	v_mul_lo_u32 v3, s3, v2
	s_delay_alu instid0(VALU_DEP_1) | instskip(NEXT) | instid1(VALU_DEP_1)
	v_mul_hi_u32 v3, v2, v3
	v_add_nc_u32_e32 v2, v2, v3
	s_delay_alu instid0(VALU_DEP_1) | instskip(NEXT) | instid1(VALU_DEP_1)
	v_mul_hi_u32 v2, v0, v2
	v_mul_lo_u32 v3, v2, s20
	s_delay_alu instid0(VALU_DEP_1) | instskip(NEXT) | instid1(VALU_DEP_1)
	v_dual_add_nc_u32 v4, 1, v2 :: v_dual_sub_nc_u32 v3, v0, v3
	v_subrev_nc_u32_e32 v5, s20, v3
	v_cmp_le_u32_e32 vcc_lo, s20, v3
	s_delay_alu instid0(VALU_DEP_2) | instskip(NEXT) | instid1(VALU_DEP_1)
	v_dual_cndmask_b32 v3, v3, v5 :: v_dual_cndmask_b32 v2, v2, v4
	v_cmp_le_u32_e32 vcc_lo, s20, v3
	s_delay_alu instid0(VALU_DEP_2) | instskip(NEXT) | instid1(VALU_DEP_1)
	v_dual_mov_b32 v3, 0 :: v_dual_add_nc_u32 v4, 1, v2
	v_cndmask_b32_e32 v2, v2, v4, vcc_lo
.LBB104_4:
	s_or_b32 exec_lo, exec_lo, s2
	s_delay_alu instid0(VALU_DEP_1) | instskip(SKIP_1) | instid1(VALU_DEP_1)
	v_mul_u64_e32 v[4:5], s[20:21], v[2:3]
	s_mov_b32 s2, exec_lo
	v_sub_nc_u64_e32 v[0:1], v[0:1], v[4:5]
	s_wait_kmcnt 0x0
	s_delay_alu instid0(VALU_DEP_1)
	v_cmpx_gt_i64_e64 s[12:13], v[0:1]
	s_cbranch_execz .LBB104_17
; %bb.5:
	s_load_b64 s[2:3], s[16:17], 0x0
	v_ashrrev_i32_e32 v3, 31, v2
	s_wait_kmcnt 0x0
	s_delay_alu instid0(VALU_DEP_1)
	v_cmp_gt_i64_e32 vcc_lo, s[2:3], v[2:3]
	s_and_b32 exec_lo, exec_lo, vcc_lo
	s_cbranch_execz .LBB104_17
; %bb.6:
	v_lshl_add_u64 v[4:5], v[2:3], 3, s[14:15]
	s_load_b256 s[20:27], s[0:1], 0x40
	s_wait_xcnt 0x0
	s_add_nc_u64 s[0:1], s[2:3], -1
	v_mov_b64_e32 v[6:7], s[10:11]
	v_cmp_ne_u64_e32 vcc_lo, s[0:1], v[2:3]
	global_load_b64 v[4:5], v[4:5], off
	s_wait_xcnt 0x0
	s_and_saveexec_b32 s0, vcc_lo
	s_cbranch_execz .LBB104_8
; %bb.7:
	v_dual_mov_b32 v6, 0 :: v_dual_add_nc_u32 v7, 1, v2
	s_delay_alu instid0(VALU_DEP_1) | instskip(NEXT) | instid1(VALU_DEP_1)
	v_ashrrev_i64 v[6:7], 29, v[6:7]
	v_add_nc_u64_e32 v[6:7], s[14:15], v[6:7]
	global_load_b64 v[6:7], v[6:7], off
.LBB104_8:
	s_wait_xcnt 0x0
	s_or_b32 exec_lo, exec_lo, s0
	v_mov_b32_e32 v16, 0
	s_mov_b32 s0, exec_lo
	s_wait_loadcnt 0x0
	v_cmpx_lt_i64_e64 v[4:5], v[6:7]
	s_cbranch_execz .LBB104_15
; %bb.9:
	v_lshlrev_b64_e32 v[12:13], 3, v[4:5]
	v_lshl_add_u64 v[8:9], v[0:1], 2, s[6:7]
	v_mov_b32_e32 v16, 0
	s_cmp_lg_u64 s[8:9], 0
	s_mov_b32 s2, 0
	s_cselect_b32 s1, -1, 0
	s_delay_alu instid0(VALU_DEP_3)
	v_add_nc_u64_e32 v[10:11], s[8:9], v[12:13]
	v_add_nc_u64_e32 v[12:13], s[4:5], v[12:13]
	s_branch .LBB104_12
.LBB104_10:                             ;   in Loop: Header=BB104_12 Depth=1
	global_load_b64 v[18:19], v[10:11], off
	s_wait_loadcnt 0x0
	v_xor_b32_e32 v17, v18, v19
	v_cls_i32_e32 v20, v19
	s_delay_alu instid0(VALU_DEP_2) | instskip(NEXT) | instid1(VALU_DEP_1)
	v_ashrrev_i32_e32 v17, 31, v17
	v_add_nc_u32_e32 v17, 32, v17
	s_delay_alu instid0(VALU_DEP_1) | instskip(NEXT) | instid1(VALU_DEP_1)
	v_add_min_u32_e64 v17, v20, -1, v17
	v_lshlrev_b64_e32 v[18:19], v17, v[18:19]
	v_sub_nc_u32_e32 v17, 32, v17
	s_delay_alu instid0(VALU_DEP_2) | instskip(NEXT) | instid1(VALU_DEP_1)
	v_min_u32_e32 v18, 1, v18
	v_or_b32_e32 v18, v19, v18
	s_delay_alu instid0(VALU_DEP_1) | instskip(NEXT) | instid1(VALU_DEP_1)
	v_cvt_f32_i32_e32 v18, v18
	v_ldexp_f32 v17, v18, v17
	s_delay_alu instid0(VALU_DEP_1) | instskip(NEXT) | instid1(VALU_DEP_1)
	v_div_scale_f32 v18, null, v17, v17, 1.0
	v_rcp_f32_e32 v19, v18
	v_nop
	s_delay_alu instid0(TRANS32_DEP_1) | instskip(NEXT) | instid1(VALU_DEP_1)
	v_fma_f32 v20, -v18, v19, 1.0
	v_fmac_f32_e32 v19, v20, v19
	v_div_scale_f32 v20, vcc_lo, 1.0, v17, 1.0
	s_delay_alu instid0(VALU_DEP_1) | instskip(NEXT) | instid1(VALU_DEP_1)
	v_mul_f32_e32 v21, v20, v19
	v_fma_f32 v22, -v18, v21, v20
	s_delay_alu instid0(VALU_DEP_1) | instskip(NEXT) | instid1(VALU_DEP_1)
	v_fmac_f32_e32 v21, v22, v19
	v_fma_f32 v18, -v18, v21, v20
	s_delay_alu instid0(VALU_DEP_1) | instskip(NEXT) | instid1(VALU_DEP_1)
	v_div_fmas_f32 v18, v18, v19, v21
	v_div_fixup_f32 v17, v18, v17, 1.0
.LBB104_11:                             ;   in Loop: Header=BB104_12 Depth=1
	s_wait_loadcnt 0x0
	v_mul_u64_e32 v[14:15], s[12:13], v[14:15]
	v_add_nc_u64_e32 v[4:5], 1, v[4:5]
	v_add_nc_u64_e32 v[10:11], 8, v[10:11]
	v_add_nc_u64_e32 v[12:13], 8, v[12:13]
	s_delay_alu instid0(VALU_DEP_3)
	v_cmp_ge_i64_e32 vcc_lo, v[4:5], v[6:7]
	s_or_b32 s2, vcc_lo, s2
	v_lshl_add_u64 v[14:15], v[14:15], 2, v[8:9]
	global_load_b32 v14, v[14:15], off
	s_wait_loadcnt 0x0
	v_fmac_f32_e32 v16, v17, v14
	s_and_not1_b32 exec_lo, exec_lo, s2
	s_cbranch_execz .LBB104_14
.LBB104_12:                             ; =>This Inner Loop Header: Depth=1
	global_load_b64 v[14:15], v[12:13], off
	s_and_not1_b32 vcc_lo, exec_lo, s1
	s_cbranch_vccz .LBB104_10
; %bb.13:                               ;   in Loop: Header=BB104_12 Depth=1
	v_mov_b32_e32 v17, 1.0
	s_branch .LBB104_11
.LBB104_14:
	s_or_b32 exec_lo, exec_lo, s2
.LBB104_15:
	s_delay_alu instid0(SALU_CYCLE_1)
	s_or_b32 exec_lo, exec_lo, s0
	s_wait_kmcnt 0x0
	v_lshl_add_u64 v[2:3], v[2:3], 3, s[20:21]
	global_load_b64 v[2:3], v[2:3], off
	s_wait_loadcnt 0x0
	v_lshl_add_u64 v[2:3], v[2:3], 3, s[22:23]
	global_load_b64 v[2:3], v[2:3], off
	s_wait_loadcnt 0x0
	;; [unrolled: 3-line block ×3, first 2 shown]
	v_cmp_ne_u64_e32 vcc_lo, s[26:27], v[2:3]
	s_and_b32 exec_lo, exec_lo, vcc_lo
	s_cbranch_execz .LBB104_17
; %bb.16:
	v_mul_u64_e32 v[2:3], s[12:13], v[2:3]
	s_delay_alu instid0(VALU_DEP_1) | instskip(NEXT) | instid1(VALU_DEP_1)
	v_lshl_add_u64 v[2:3], v[2:3], 2, s[24:25]
	v_lshl_add_u64 v[0:1], v[0:1], 2, v[2:3]
	global_atomic_add_f32 v[0:1], v16, off scope:SCOPE_DEV
.LBB104_17:
	s_endpgm
	.section	.rodata,"a",@progbits
	.p2align	6, 0x0
	.amdhsa_kernel _ZN2at6native12_GLOBAL__N_137compute_grad_weight_atomic_accumulateIfflEEvPKT1_PKT_S5_llS5_PKlS5_S5_S5_PT0_ll
		.amdhsa_group_segment_fixed_size 0
		.amdhsa_private_segment_fixed_size 0
		.amdhsa_kernarg_size 360
		.amdhsa_user_sgpr_count 2
		.amdhsa_user_sgpr_dispatch_ptr 0
		.amdhsa_user_sgpr_queue_ptr 0
		.amdhsa_user_sgpr_kernarg_segment_ptr 1
		.amdhsa_user_sgpr_dispatch_id 0
		.amdhsa_user_sgpr_kernarg_preload_length 0
		.amdhsa_user_sgpr_kernarg_preload_offset 0
		.amdhsa_user_sgpr_private_segment_size 0
		.amdhsa_wavefront_size32 1
		.amdhsa_uses_dynamic_stack 0
		.amdhsa_enable_private_segment 0
		.amdhsa_system_sgpr_workgroup_id_x 1
		.amdhsa_system_sgpr_workgroup_id_y 0
		.amdhsa_system_sgpr_workgroup_id_z 0
		.amdhsa_system_sgpr_workgroup_info 0
		.amdhsa_system_vgpr_workitem_id 0
		.amdhsa_next_free_vgpr 23
		.amdhsa_next_free_sgpr 28
		.amdhsa_named_barrier_count 0
		.amdhsa_reserve_vcc 1
		.amdhsa_float_round_mode_32 0
		.amdhsa_float_round_mode_16_64 0
		.amdhsa_float_denorm_mode_32 3
		.amdhsa_float_denorm_mode_16_64 3
		.amdhsa_fp16_overflow 0
		.amdhsa_memory_ordered 1
		.amdhsa_forward_progress 1
		.amdhsa_inst_pref_size 12
		.amdhsa_round_robin_scheduling 0
		.amdhsa_exception_fp_ieee_invalid_op 0
		.amdhsa_exception_fp_denorm_src 0
		.amdhsa_exception_fp_ieee_div_zero 0
		.amdhsa_exception_fp_ieee_overflow 0
		.amdhsa_exception_fp_ieee_underflow 0
		.amdhsa_exception_fp_ieee_inexact 0
		.amdhsa_exception_int_div_zero 0
	.end_amdhsa_kernel
	.section	.text._ZN2at6native12_GLOBAL__N_137compute_grad_weight_atomic_accumulateIfflEEvPKT1_PKT_S5_llS5_PKlS5_S5_S5_PT0_ll,"axG",@progbits,_ZN2at6native12_GLOBAL__N_137compute_grad_weight_atomic_accumulateIfflEEvPKT1_PKT_S5_llS5_PKlS5_S5_S5_PT0_ll,comdat
.Lfunc_end104:
	.size	_ZN2at6native12_GLOBAL__N_137compute_grad_weight_atomic_accumulateIfflEEvPKT1_PKT_S5_llS5_PKlS5_S5_S5_PT0_ll, .Lfunc_end104-_ZN2at6native12_GLOBAL__N_137compute_grad_weight_atomic_accumulateIfflEEvPKT1_PKT_S5_llS5_PKlS5_S5_S5_PT0_ll
                                        ; -- End function
	.set _ZN2at6native12_GLOBAL__N_137compute_grad_weight_atomic_accumulateIfflEEvPKT1_PKT_S5_llS5_PKlS5_S5_S5_PT0_ll.num_vgpr, 23
	.set _ZN2at6native12_GLOBAL__N_137compute_grad_weight_atomic_accumulateIfflEEvPKT1_PKT_S5_llS5_PKlS5_S5_S5_PT0_ll.num_agpr, 0
	.set _ZN2at6native12_GLOBAL__N_137compute_grad_weight_atomic_accumulateIfflEEvPKT1_PKT_S5_llS5_PKlS5_S5_S5_PT0_ll.numbered_sgpr, 28
	.set _ZN2at6native12_GLOBAL__N_137compute_grad_weight_atomic_accumulateIfflEEvPKT1_PKT_S5_llS5_PKlS5_S5_S5_PT0_ll.num_named_barrier, 0
	.set _ZN2at6native12_GLOBAL__N_137compute_grad_weight_atomic_accumulateIfflEEvPKT1_PKT_S5_llS5_PKlS5_S5_S5_PT0_ll.private_seg_size, 0
	.set _ZN2at6native12_GLOBAL__N_137compute_grad_weight_atomic_accumulateIfflEEvPKT1_PKT_S5_llS5_PKlS5_S5_S5_PT0_ll.uses_vcc, 1
	.set _ZN2at6native12_GLOBAL__N_137compute_grad_weight_atomic_accumulateIfflEEvPKT1_PKT_S5_llS5_PKlS5_S5_S5_PT0_ll.uses_flat_scratch, 0
	.set _ZN2at6native12_GLOBAL__N_137compute_grad_weight_atomic_accumulateIfflEEvPKT1_PKT_S5_llS5_PKlS5_S5_S5_PT0_ll.has_dyn_sized_stack, 0
	.set _ZN2at6native12_GLOBAL__N_137compute_grad_weight_atomic_accumulateIfflEEvPKT1_PKT_S5_llS5_PKlS5_S5_S5_PT0_ll.has_recursion, 0
	.set _ZN2at6native12_GLOBAL__N_137compute_grad_weight_atomic_accumulateIfflEEvPKT1_PKT_S5_llS5_PKlS5_S5_S5_PT0_ll.has_indirect_call, 0
	.section	.AMDGPU.csdata,"",@progbits
; Kernel info:
; codeLenInByte = 1492
; TotalNumSgprs: 30
; NumVgprs: 23
; ScratchSize: 0
; MemoryBound: 0
; FloatMode: 240
; IeeeMode: 1
; LDSByteSize: 0 bytes/workgroup (compile time only)
; SGPRBlocks: 0
; VGPRBlocks: 1
; NumSGPRsForWavesPerEU: 30
; NumVGPRsForWavesPerEU: 23
; NamedBarCnt: 0
; Occupancy: 16
; WaveLimiterHint : 1
; COMPUTE_PGM_RSRC2:SCRATCH_EN: 0
; COMPUTE_PGM_RSRC2:USER_SGPR: 2
; COMPUTE_PGM_RSRC2:TRAP_HANDLER: 0
; COMPUTE_PGM_RSRC2:TGID_X_EN: 1
; COMPUTE_PGM_RSRC2:TGID_Y_EN: 0
; COMPUTE_PGM_RSRC2:TGID_Z_EN: 0
; COMPUTE_PGM_RSRC2:TIDIG_COMP_CNT: 0
	.section	.text._ZN2at6native12_GLOBAL__N_124compute_grad_weight_bagsIflEEvPKT0_PKT_S5_S5_lliS5_S8_lS5_PKlPNS_14AccumulateTypeIS6_Lb1EE4typeEl,"axG",@progbits,_ZN2at6native12_GLOBAL__N_124compute_grad_weight_bagsIflEEvPKT0_PKT_S5_S5_lliS5_S8_lS5_PKlPNS_14AccumulateTypeIS6_Lb1EE4typeEl,comdat
	.globl	_ZN2at6native12_GLOBAL__N_124compute_grad_weight_bagsIflEEvPKT0_PKT_S5_S5_lliS5_S8_lS5_PKlPNS_14AccumulateTypeIS6_Lb1EE4typeEl ; -- Begin function _ZN2at6native12_GLOBAL__N_124compute_grad_weight_bagsIflEEvPKT0_PKT_S5_S5_lliS5_S8_lS5_PKlPNS_14AccumulateTypeIS6_Lb1EE4typeEl
	.p2align	8
	.type	_ZN2at6native12_GLOBAL__N_124compute_grad_weight_bagsIflEEvPKT0_PKT_S5_S5_lliS5_S8_lS5_PKlPNS_14AccumulateTypeIS6_Lb1EE4typeEl,@function
_ZN2at6native12_GLOBAL__N_124compute_grad_weight_bagsIflEEvPKT0_PKT_S5_S5_lliS5_S8_lS5_PKlPNS_14AccumulateTypeIS6_Lb1EE4typeEl: ; @_ZN2at6native12_GLOBAL__N_124compute_grad_weight_bagsIflEEvPKT0_PKT_S5_S5_lliS5_S8_lS5_PKlPNS_14AccumulateTypeIS6_Lb1EE4typeEl
; %bb.0:
	s_load_b32 s2, s[0:1], 0x7c
	s_bfe_u32 s3, ttmp6, 0x4000c
	s_clause 0x1
	s_load_b64 s[4:5], s[0:1], 0x68
	s_load_b128 s[20:23], s[0:1], 0x58
	s_add_co_i32 s3, s3, 1
	s_and_b32 s6, ttmp6, 15
	s_mul_i32 s3, ttmp9, s3
	s_getreg_b32 s7, hwreg(HW_REG_IB_STS2, 6, 4)
	v_mov_b32_e32 v1, 0
	s_add_co_i32 s6, s6, s3
	s_wait_kmcnt 0x0
	s_and_b32 s2, s2, 0xffff
	s_cmp_eq_u32 s7, 0
	s_cselect_b32 s3, ttmp9, s6
	s_delay_alu instid0(SALU_CYCLE_1) | instskip(SKIP_1) | instid1(VALU_DEP_1)
	v_mad_nc_u64_u32 v[4:5], s2, s3, v[0:1]
	s_mov_b32 s3, 0
	v_dual_mov_b32 v2, v1 :: v_dual_bitop2_b32 v3, s5, v5 bitop3:0x54
	s_delay_alu instid0(VALU_DEP_1) | instskip(SKIP_1) | instid1(SALU_CYCLE_1)
	v_cmp_ne_u64_e32 vcc_lo, 0, v[2:3]
                                        ; implicit-def: $vgpr2_vgpr3
	s_and_saveexec_b32 s2, vcc_lo
	s_xor_b32 s10, exec_lo, s2
	s_cbranch_execz .LBB105_2
; %bb.1:
	s_ashr_i32 s6, s5, 31
	v_dual_mov_b32 v9, v1 :: v_dual_ashrrev_i32 v2, 31, v5
	s_mov_b32 s7, s6
	v_mov_b32_e32 v15, v1
	s_add_nc_u64 s[8:9], s[4:5], s[6:7]
	s_delay_alu instid0(VALU_DEP_2) | instskip(SKIP_1) | instid1(SALU_CYCLE_1)
	v_mov_b32_e32 v3, v2
	s_xor_b64 s[8:9], s[8:9], s[6:7]
	s_cvt_f32_u32 s2, s8
	s_cvt_f32_u32 s7, s9
	s_sub_nc_u64 s[14:15], 0, s[8:9]
	v_add_nc_u64_e32 v[6:7], v[4:5], v[2:3]
	s_delay_alu instid0(SALU_CYCLE_1) | instskip(NEXT) | instid1(SALU_CYCLE_3)
	s_fmamk_f32 s2, s7, 0x4f800000, s2
	v_s_rcp_f32 s2, s2
	s_delay_alu instid0(VALU_DEP_1) | instskip(NEXT) | instid1(VALU_DEP_2)
	v_xor_b32_e32 v0, v6, v2
	v_xor_b32_e32 v8, v7, v2
	s_delay_alu instid0(TRANS32_DEP_1) | instskip(NEXT) | instid1(SALU_CYCLE_3)
	s_mul_f32 s2, s2, 0x5f7ffffc
	s_mul_f32 s7, s2, 0x2f800000
	s_delay_alu instid0(SALU_CYCLE_3) | instskip(NEXT) | instid1(SALU_CYCLE_3)
	s_trunc_f32 s7, s7
	s_fmamk_f32 s2, s7, 0xcf800000, s2
	s_cvt_u32_f32 s13, s7
	s_delay_alu instid0(SALU_CYCLE_2) | instskip(NEXT) | instid1(SALU_CYCLE_3)
	s_cvt_u32_f32 s12, s2
	s_mul_u64 s[16:17], s[14:15], s[12:13]
	s_delay_alu instid0(SALU_CYCLE_1)
	s_mul_hi_u32 s19, s12, s17
	s_mul_i32 s18, s12, s17
	s_mul_hi_u32 s2, s12, s16
	s_mul_i32 s11, s13, s16
	s_add_nc_u64 s[18:19], s[2:3], s[18:19]
	s_mul_hi_u32 s7, s13, s16
	s_mul_hi_u32 s24, s13, s17
	s_add_co_u32 s2, s18, s11
	s_add_co_ci_u32 s2, s19, s7
	s_mul_i32 s16, s13, s17
	s_add_co_ci_u32 s17, s24, 0
	s_delay_alu instid0(SALU_CYCLE_1) | instskip(NEXT) | instid1(SALU_CYCLE_1)
	s_add_nc_u64 s[16:17], s[2:3], s[16:17]
	s_add_co_u32 s12, s12, s16
	s_cselect_b32 s2, -1, 0
	s_delay_alu instid0(SALU_CYCLE_1) | instskip(SKIP_1) | instid1(SALU_CYCLE_1)
	s_cmp_lg_u32 s2, 0
	s_add_co_ci_u32 s13, s13, s17
	s_mul_u64 s[14:15], s[14:15], s[12:13]
	s_delay_alu instid0(SALU_CYCLE_1)
	s_mul_hi_u32 s17, s12, s15
	s_mul_i32 s16, s12, s15
	s_mul_hi_u32 s2, s12, s14
	s_mul_i32 s11, s13, s14
	s_add_nc_u64 s[16:17], s[2:3], s[16:17]
	s_mul_hi_u32 s7, s13, s14
	s_mul_hi_u32 s18, s13, s15
	s_add_co_u32 s2, s16, s11
	s_add_co_ci_u32 s2, s17, s7
	s_mul_i32 s14, s13, s15
	s_add_co_ci_u32 s15, s18, 0
	s_delay_alu instid0(SALU_CYCLE_1) | instskip(NEXT) | instid1(SALU_CYCLE_1)
	s_add_nc_u64 s[14:15], s[2:3], s[14:15]
	s_add_co_u32 s12, s12, s14
	s_cselect_b32 s2, -1, 0
	v_mul_hi_u32 v14, v0, s12
	s_cmp_lg_u32 s2, 0
	s_add_co_ci_u32 s2, s13, s15
	s_mov_b64 s[14:15], 0xffffffff
	v_mul_u64_e32 v[10:11], s[2:3], v[0:1]
	s_and_b64 s[14:15], s[12:13], s[14:15]
	v_mul_u64_e32 v[12:13], s[2:3], v[8:9]
	v_mul_u64_e32 v[6:7], s[14:15], v[8:9]
	s_delay_alu instid0(VALU_DEP_3) | instskip(NEXT) | instid1(VALU_DEP_1)
	v_add_nc_u64_e32 v[10:11], v[14:15], v[10:11]
	v_add_co_u32 v1, vcc_lo, v10, v6
	s_delay_alu instid0(VALU_DEP_2) | instskip(SKIP_1) | instid1(VALU_DEP_1)
	v_add_co_ci_u32_e32 v14, vcc_lo, v11, v7, vcc_lo
	v_add_co_ci_u32_e32 v13, vcc_lo, 0, v13, vcc_lo
	v_add_nc_u64_e32 v[6:7], v[14:15], v[12:13]
	s_delay_alu instid0(VALU_DEP_1) | instskip(NEXT) | instid1(VALU_DEP_1)
	v_mul_u64_e32 v[10:11], s[8:9], v[6:7]
	v_sub_nc_u32_e32 v1, v8, v11
	s_delay_alu instid0(VALU_DEP_2) | instskip(NEXT) | instid1(VALU_DEP_1)
	v_sub_co_u32 v0, vcc_lo, v0, v10
	v_sub_co_ci_u32_e64 v10, null, v8, v11, vcc_lo
	s_delay_alu instid0(VALU_DEP_3) | instskip(NEXT) | instid1(VALU_DEP_3)
	v_subrev_co_ci_u32_e64 v1, null, s9, v1, vcc_lo
	v_sub_co_u32 v3, s2, v0, s8
	s_delay_alu instid0(VALU_DEP_1) | instskip(NEXT) | instid1(VALU_DEP_2)
	v_subrev_co_ci_u32_e64 v1, null, 0, v1, s2
	v_cmp_le_u32_e32 vcc_lo, s8, v3
	v_cndmask_b32_e64 v3, 0, -1, vcc_lo
	s_delay_alu instid0(VALU_DEP_3)
	v_cmp_le_u32_e32 vcc_lo, s9, v1
	v_cndmask_b32_e64 v8, 0, -1, vcc_lo
	v_cmp_le_u32_e32 vcc_lo, s8, v0
	v_cndmask_b32_e64 v11, 0, -1, vcc_lo
	;; [unrolled: 2-line block ×3, first 2 shown]
	v_cmp_eq_u32_e32 vcc_lo, s9, v1
	v_add_nc_u64_e32 v[0:1], 2, v[6:7]
	v_cndmask_b32_e32 v3, v8, v3, vcc_lo
	v_cmp_eq_u32_e32 vcc_lo, s9, v10
	v_add_nc_u64_e32 v[8:9], 1, v[6:7]
	v_cndmask_b32_e32 v10, v12, v11, vcc_lo
	s_delay_alu instid0(VALU_DEP_4) | instskip(NEXT) | instid1(VALU_DEP_3)
	v_cmp_ne_u32_e32 vcc_lo, 0, v3
	v_dual_cndmask_b32 v1, v9, v1, vcc_lo :: v_dual_cndmask_b32 v3, v8, v0, vcc_lo
	v_xor_b32_e32 v0, s6, v2
	s_delay_alu instid0(VALU_DEP_4) | instskip(NEXT) | instid1(VALU_DEP_1)
	v_cmp_ne_u32_e64 s2, 0, v10
	v_dual_cndmask_b32 v2, v7, v1, s2 :: v_dual_cndmask_b32 v6, v6, v3, s2
	s_delay_alu instid0(VALU_DEP_1) | instskip(NEXT) | instid1(VALU_DEP_2)
	v_dual_mov_b32 v1, v0 :: v_dual_bitop2_b32 v3, v2, v0 bitop3:0x14
	v_xor_b32_e32 v2, v6, v0
	s_delay_alu instid0(VALU_DEP_1)
	v_sub_nc_u64_e32 v[2:3], v[2:3], v[0:1]
.LBB105_2:
	s_or_saveexec_b32 s2, s10
	s_load_b64 s[20:21], s[20:21], 0x0
	s_xor_b32 exec_lo, exec_lo, s2
	s_cbranch_execz .LBB105_4
; %bb.3:
	v_cvt_f32_u32_e32 v0, s4
	s_sub_co_i32 s3, 0, s4
	s_delay_alu instid0(VALU_DEP_1) | instskip(SKIP_1) | instid1(TRANS32_DEP_1)
	v_rcp_iflag_f32_e32 v0, v0
	v_nop
	v_mul_f32_e32 v0, 0x4f7ffffe, v0
	s_delay_alu instid0(VALU_DEP_1) | instskip(NEXT) | instid1(VALU_DEP_1)
	v_cvt_u32_f32_e32 v0, v0
	v_mul_lo_u32 v1, s3, v0
	s_delay_alu instid0(VALU_DEP_1) | instskip(NEXT) | instid1(VALU_DEP_1)
	v_mul_hi_u32 v1, v0, v1
	v_add_nc_u32_e32 v0, v0, v1
	s_delay_alu instid0(VALU_DEP_1) | instskip(NEXT) | instid1(VALU_DEP_1)
	v_mul_hi_u32 v0, v4, v0
	v_mul_lo_u32 v1, v0, s4
	s_delay_alu instid0(VALU_DEP_1) | instskip(NEXT) | instid1(VALU_DEP_1)
	v_dual_add_nc_u32 v2, 1, v0 :: v_dual_sub_nc_u32 v1, v4, v1
	v_subrev_nc_u32_e32 v3, s4, v1
	v_cmp_le_u32_e32 vcc_lo, s4, v1
	s_delay_alu instid0(VALU_DEP_2) | instskip(NEXT) | instid1(VALU_DEP_4)
	v_dual_cndmask_b32 v1, v1, v3, vcc_lo :: v_dual_mov_b32 v3, 0
	v_cndmask_b32_e32 v0, v0, v2, vcc_lo
	s_delay_alu instid0(VALU_DEP_2) | instskip(NEXT) | instid1(VALU_DEP_2)
	v_cmp_le_u32_e32 vcc_lo, s4, v1
	v_add_nc_u32_e32 v2, 1, v0
	s_delay_alu instid0(VALU_DEP_1)
	v_cndmask_b32_e32 v2, v0, v2, vcc_lo
.LBB105_4:
	s_or_b32 exec_lo, exec_lo, s2
	s_delay_alu instid0(VALU_DEP_1) | instskip(SKIP_3) | instid1(VALU_DEP_2)
	v_mul_u64_e32 v[0:1], s[4:5], v[2:3]
	s_load_b128 s[24:27], s[0:1], 0x20
	s_wait_kmcnt 0x0
	v_cmp_gt_i64_e64 s2, s[20:21], v[2:3]
	v_sub_nc_u64_e32 v[0:1], v[4:5], v[0:1]
	s_delay_alu instid0(VALU_DEP_1) | instskip(SKIP_1) | instid1(SALU_CYCLE_1)
	v_cmp_gt_i64_e32 vcc_lo, s[26:27], v[0:1]
	s_and_b32 s2, vcc_lo, s2
	s_and_saveexec_b32 s3, s2
	s_cbranch_execz .LBB105_18
; %bb.5:
	s_clause 0x1
	s_load_b256 s[4:11], s[0:1], 0x38
	s_load_b256 s[12:19], s[0:1], 0x0
	s_add_nc_u64 s[2:3], s[20:21], -1
	v_mov_b64_e32 v[6:7], s[24:25]
	v_cmp_ne_u64_e32 vcc_lo, s[2:3], v[2:3]
	s_wait_kmcnt 0x0
	v_lshl_add_u64 v[8:9], v[2:3], 3, s[10:11]
	global_load_b64 v[4:5], v[8:9], off
	s_wait_xcnt 0x0
	s_and_saveexec_b32 s2, vcc_lo
	s_cbranch_execz .LBB105_7
; %bb.6:
	global_load_b64 v[6:7], v[8:9], off offset:8
.LBB105_7:
	s_wait_xcnt 0x0
	s_or_b32 exec_lo, exec_lo, s2
	s_wait_loadcnt 0x0
	v_mov_b32_e32 v5, 0
	s_mov_b32 s2, exec_lo
	v_cmpx_lt_i32_e64 v4, v6
	s_cbranch_execz .LBB105_17
; %bb.8:
	s_load_b32 s0, s[0:1], 0x30
	v_dual_mov_b32 v10, 0 :: v_dual_ashrrev_i32 v5, 31, v4
	s_cmp_lg_u64 s[18:19], 0
	v_lshl_add_u64 v[8:9], v[0:1], 2, s[14:15]
	s_cselect_b32 s3, -1, 0
	s_delay_alu instid0(VALU_DEP_2)
	v_lshlrev_b64_e32 v[14:15], 3, v[4:5]
	s_cmp_lg_u64 s[6:7], 0
	v_mov_b32_e32 v5, 0
	s_cselect_b32 s10, -1, 0
	s_wait_xcnt 0x0
	s_mov_b32 s1, s26
	s_delay_alu instid0(VALU_DEP_2)
	v_add_nc_u64_e32 v[12:13], s[12:13], v[14:15]
	v_add_nc_u64_e32 v[14:15], s[18:19], v[14:15]
	s_wait_kmcnt 0x0
	s_cmp_lg_u32 s0, 0
	s_mov_b32 s0, 0
	s_cselect_b32 s11, -1, 0
	s_mov_b32 s12, s0
	s_branch .LBB105_10
.LBB105_9:                              ;   in Loop: Header=BB105_10 Depth=1
	s_wait_loadcnt 0x0
	s_delay_alu instid0(VALU_DEP_1) | instskip(SKIP_2) | instid1(VALU_DEP_3)
	v_dual_fmac_f32 v5, v7, v17 :: v_dual_add_nc_u32 v4, 1, v4
	v_add_nc_u64_e32 v[12:13], 8, v[12:13]
	v_add_nc_u64_e32 v[14:15], 8, v[14:15]
	v_cmp_ge_i32_e32 vcc_lo, v4, v6
	s_or_b32 s12, vcc_lo, s12
	s_delay_alu instid0(SALU_CYCLE_1)
	s_and_not1_b32 exec_lo, exec_lo, s12
	s_cbranch_execz .LBB105_16
.LBB105_10:                             ; =>This Inner Loop Header: Depth=1
	global_load_b64 v[18:19], v[12:13], off
	s_and_not1_b32 vcc_lo, exec_lo, s3
	s_wait_loadcnt 0x0
	v_mov_b32_e32 v11, v18
	s_delay_alu instid0(VALU_DEP_1) | instskip(NEXT) | instid1(VALU_DEP_1)
	v_ashrrev_i64 v[16:17], 29, v[10:11]
	v_add_nc_u64_e32 v[16:17], s[16:17], v[16:17]
	global_load_b64 v[16:17], v[16:17], off
	s_cbranch_vccnz .LBB105_15
; %bb.11:                               ;   in Loop: Header=BB105_10 Depth=1
	global_load_b64 v[20:21], v[14:15], off
	s_wait_loadcnt 0x0
	v_cvt_f64_i32_e32 v[22:23], v21
	v_cvt_f64_u32_e32 v[20:21], v20
	s_delay_alu instid0(VALU_DEP_2) | instskip(NEXT) | instid1(VALU_DEP_1)
	v_ldexp_f64 v[22:23], v[22:23], 32
	v_add_f64_e32 v[20:21], v[22:23], v[20:21]
	s_delay_alu instid0(VALU_DEP_1) | instskip(NEXT) | instid1(VALU_DEP_1)
	v_div_scale_f64 v[22:23], null, v[20:21], v[20:21], 1.0
	v_rcp_f64_e32 v[24:25], v[22:23]
	v_nop
	s_delay_alu instid0(TRANS32_DEP_1) | instskip(NEXT) | instid1(VALU_DEP_1)
	v_fma_f64 v[26:27], -v[22:23], v[24:25], 1.0
	v_fmac_f64_e32 v[24:25], v[24:25], v[26:27]
	s_delay_alu instid0(VALU_DEP_1) | instskip(NEXT) | instid1(VALU_DEP_1)
	v_fma_f64 v[26:27], -v[22:23], v[24:25], 1.0
	v_fmac_f64_e32 v[24:25], v[24:25], v[26:27]
	v_div_scale_f64 v[26:27], vcc_lo, 1.0, v[20:21], 1.0
	s_delay_alu instid0(VALU_DEP_1) | instskip(NEXT) | instid1(VALU_DEP_1)
	v_mul_f64_e32 v[28:29], v[26:27], v[24:25]
	v_fma_f64 v[22:23], -v[22:23], v[28:29], v[26:27]
	s_delay_alu instid0(VALU_DEP_1) | instskip(NEXT) | instid1(VALU_DEP_1)
	v_div_fmas_f64 v[22:23], v[22:23], v[24:25], v[28:29]
	v_div_fixup_f64 v[20:21], v[22:23], v[20:21], 1.0
	s_delay_alu instid0(VALU_DEP_1)
	v_cvt_f32_f64_e32 v7, v[20:21]
	s_and_not1_b32 vcc_lo, exec_lo, s10
	s_cbranch_vccnz .LBB105_13
.LBB105_12:                             ;   in Loop: Header=BB105_10 Depth=1
	v_ashrrev_i32_e32 v19, 31, v18
	s_delay_alu instid0(VALU_DEP_1) | instskip(NEXT) | instid1(VALU_DEP_1)
	v_mul_u64_e32 v[18:19], s[8:9], v[18:19]
	v_lshl_add_u64 v[18:19], v[18:19], 2, s[6:7]
	global_load_b32 v11, v[18:19], off
	s_wait_loadcnt 0x0
	v_mul_f32_e32 v7, v7, v11
.LBB105_13:                             ;   in Loop: Header=BB105_10 Depth=1
	s_wait_loadcnt 0x0
	v_mul_u64_e32 v[18:19], s[0:1], v[16:17]
	s_and_not1_b32 vcc_lo, exec_lo, s11
	s_delay_alu instid0(VALU_DEP_1) | instskip(NEXT) | instid1(VALU_DEP_1)
	v_ashrrev_i64 v[18:19], 30, v[18:19]
	v_add_nc_u64_e32 v[18:19], v[8:9], v[18:19]
	global_load_b32 v17, v[18:19], off
	s_cbranch_vccnz .LBB105_9
; %bb.14:                               ;   in Loop: Header=BB105_10 Depth=1
	v_mov_b32_e32 v11, v16
	s_wait_xcnt 0x0
	s_delay_alu instid0(VALU_DEP_1) | instskip(NEXT) | instid1(VALU_DEP_1)
	v_ashrrev_i64 v[18:19], 29, v[10:11]
	v_add_nc_u64_e32 v[18:19], s[4:5], v[18:19]
	global_load_b64 v[18:19], v[18:19], off
	s_wait_loadcnt 0x0
	v_xor_b32_e32 v11, v18, v19
	v_cls_i32_e32 v16, v19
	s_delay_alu instid0(VALU_DEP_2) | instskip(NEXT) | instid1(VALU_DEP_1)
	v_ashrrev_i32_e32 v11, 31, v11
	v_add_nc_u32_e32 v11, 32, v11
	s_delay_alu instid0(VALU_DEP_1) | instskip(NEXT) | instid1(VALU_DEP_1)
	v_add_min_u32_e64 v11, v16, -1, v11
	v_lshlrev_b64_e32 v[18:19], v11, v[18:19]
	v_sub_nc_u32_e32 v11, 32, v11
	s_delay_alu instid0(VALU_DEP_2) | instskip(NEXT) | instid1(VALU_DEP_1)
	v_min_u32_e32 v16, 1, v18
	v_or_b32_e32 v16, v19, v16
	s_delay_alu instid0(VALU_DEP_1) | instskip(NEXT) | instid1(VALU_DEP_1)
	v_cvt_f32_i32_e32 v16, v16
	v_ldexp_f32 v11, v16, v11
	s_delay_alu instid0(VALU_DEP_1) | instskip(NEXT) | instid1(VALU_DEP_1)
	v_div_scale_f32 v16, null, v11, v11, v17
	v_rcp_f32_e32 v18, v16
	v_nop
	s_delay_alu instid0(TRANS32_DEP_1) | instskip(NEXT) | instid1(VALU_DEP_1)
	v_fma_f32 v19, -v16, v18, 1.0
	v_fmac_f32_e32 v18, v19, v18
	v_div_scale_f32 v19, vcc_lo, v17, v11, v17
	s_delay_alu instid0(VALU_DEP_1) | instskip(NEXT) | instid1(VALU_DEP_1)
	v_mul_f32_e32 v20, v19, v18
	v_fma_f32 v21, -v16, v20, v19
	s_delay_alu instid0(VALU_DEP_1) | instskip(NEXT) | instid1(VALU_DEP_1)
	v_fmac_f32_e32 v20, v21, v18
	v_fma_f32 v16, -v16, v20, v19
	s_delay_alu instid0(VALU_DEP_1) | instskip(NEXT) | instid1(VALU_DEP_1)
	v_div_fmas_f32 v16, v16, v18, v20
	v_div_fixup_f32 v17, v16, v11, v17
	s_branch .LBB105_9
.LBB105_15:                             ;   in Loop: Header=BB105_10 Depth=1
	v_mov_b32_e32 v7, 1.0
	s_and_not1_b32 vcc_lo, exec_lo, s10
	s_cbranch_vccz .LBB105_12
	s_branch .LBB105_13
.LBB105_16:
	s_or_b32 exec_lo, exec_lo, s12
.LBB105_17:
	s_delay_alu instid0(SALU_CYCLE_1) | instskip(SKIP_1) | instid1(VALU_DEP_1)
	s_or_b32 exec_lo, exec_lo, s2
	v_mul_u64_e32 v[2:3], s[26:27], v[2:3]
	v_lshl_add_u64 v[2:3], v[2:3], 2, s[22:23]
	s_delay_alu instid0(VALU_DEP_1)
	v_lshl_add_u64 v[0:1], v[0:1], 2, v[2:3]
	global_store_b32 v[0:1], v5, off
.LBB105_18:
	s_endpgm
	.section	.rodata,"a",@progbits
	.p2align	6, 0x0
	.amdhsa_kernel _ZN2at6native12_GLOBAL__N_124compute_grad_weight_bagsIflEEvPKT0_PKT_S5_S5_lliS5_S8_lS5_PKlPNS_14AccumulateTypeIS6_Lb1EE4typeEl
		.amdhsa_group_segment_fixed_size 0
		.amdhsa_private_segment_fixed_size 0
		.amdhsa_kernarg_size 368
		.amdhsa_user_sgpr_count 2
		.amdhsa_user_sgpr_dispatch_ptr 0
		.amdhsa_user_sgpr_queue_ptr 0
		.amdhsa_user_sgpr_kernarg_segment_ptr 1
		.amdhsa_user_sgpr_dispatch_id 0
		.amdhsa_user_sgpr_kernarg_preload_length 0
		.amdhsa_user_sgpr_kernarg_preload_offset 0
		.amdhsa_user_sgpr_private_segment_size 0
		.amdhsa_wavefront_size32 1
		.amdhsa_uses_dynamic_stack 0
		.amdhsa_enable_private_segment 0
		.amdhsa_system_sgpr_workgroup_id_x 1
		.amdhsa_system_sgpr_workgroup_id_y 0
		.amdhsa_system_sgpr_workgroup_id_z 0
		.amdhsa_system_sgpr_workgroup_info 0
		.amdhsa_system_vgpr_workitem_id 0
		.amdhsa_next_free_vgpr 30
		.amdhsa_next_free_sgpr 28
		.amdhsa_named_barrier_count 0
		.amdhsa_reserve_vcc 1
		.amdhsa_float_round_mode_32 0
		.amdhsa_float_round_mode_16_64 0
		.amdhsa_float_denorm_mode_32 3
		.amdhsa_float_denorm_mode_16_64 3
		.amdhsa_fp16_overflow 0
		.amdhsa_memory_ordered 1
		.amdhsa_forward_progress 1
		.amdhsa_inst_pref_size 14
		.amdhsa_round_robin_scheduling 0
		.amdhsa_exception_fp_ieee_invalid_op 0
		.amdhsa_exception_fp_denorm_src 0
		.amdhsa_exception_fp_ieee_div_zero 0
		.amdhsa_exception_fp_ieee_overflow 0
		.amdhsa_exception_fp_ieee_underflow 0
		.amdhsa_exception_fp_ieee_inexact 0
		.amdhsa_exception_int_div_zero 0
	.end_amdhsa_kernel
	.section	.text._ZN2at6native12_GLOBAL__N_124compute_grad_weight_bagsIflEEvPKT0_PKT_S5_S5_lliS5_S8_lS5_PKlPNS_14AccumulateTypeIS6_Lb1EE4typeEl,"axG",@progbits,_ZN2at6native12_GLOBAL__N_124compute_grad_weight_bagsIflEEvPKT0_PKT_S5_S5_lliS5_S8_lS5_PKlPNS_14AccumulateTypeIS6_Lb1EE4typeEl,comdat
.Lfunc_end105:
	.size	_ZN2at6native12_GLOBAL__N_124compute_grad_weight_bagsIflEEvPKT0_PKT_S5_S5_lliS5_S8_lS5_PKlPNS_14AccumulateTypeIS6_Lb1EE4typeEl, .Lfunc_end105-_ZN2at6native12_GLOBAL__N_124compute_grad_weight_bagsIflEEvPKT0_PKT_S5_S5_lliS5_S8_lS5_PKlPNS_14AccumulateTypeIS6_Lb1EE4typeEl
                                        ; -- End function
	.set _ZN2at6native12_GLOBAL__N_124compute_grad_weight_bagsIflEEvPKT0_PKT_S5_S5_lliS5_S8_lS5_PKlPNS_14AccumulateTypeIS6_Lb1EE4typeEl.num_vgpr, 30
	.set _ZN2at6native12_GLOBAL__N_124compute_grad_weight_bagsIflEEvPKT0_PKT_S5_S5_lliS5_S8_lS5_PKlPNS_14AccumulateTypeIS6_Lb1EE4typeEl.num_agpr, 0
	.set _ZN2at6native12_GLOBAL__N_124compute_grad_weight_bagsIflEEvPKT0_PKT_S5_S5_lliS5_S8_lS5_PKlPNS_14AccumulateTypeIS6_Lb1EE4typeEl.numbered_sgpr, 28
	.set _ZN2at6native12_GLOBAL__N_124compute_grad_weight_bagsIflEEvPKT0_PKT_S5_S5_lliS5_S8_lS5_PKlPNS_14AccumulateTypeIS6_Lb1EE4typeEl.num_named_barrier, 0
	.set _ZN2at6native12_GLOBAL__N_124compute_grad_weight_bagsIflEEvPKT0_PKT_S5_S5_lliS5_S8_lS5_PKlPNS_14AccumulateTypeIS6_Lb1EE4typeEl.private_seg_size, 0
	.set _ZN2at6native12_GLOBAL__N_124compute_grad_weight_bagsIflEEvPKT0_PKT_S5_S5_lliS5_S8_lS5_PKlPNS_14AccumulateTypeIS6_Lb1EE4typeEl.uses_vcc, 1
	.set _ZN2at6native12_GLOBAL__N_124compute_grad_weight_bagsIflEEvPKT0_PKT_S5_S5_lliS5_S8_lS5_PKlPNS_14AccumulateTypeIS6_Lb1EE4typeEl.uses_flat_scratch, 0
	.set _ZN2at6native12_GLOBAL__N_124compute_grad_weight_bagsIflEEvPKT0_PKT_S5_S5_lliS5_S8_lS5_PKlPNS_14AccumulateTypeIS6_Lb1EE4typeEl.has_dyn_sized_stack, 0
	.set _ZN2at6native12_GLOBAL__N_124compute_grad_weight_bagsIflEEvPKT0_PKT_S5_S5_lliS5_S8_lS5_PKlPNS_14AccumulateTypeIS6_Lb1EE4typeEl.has_recursion, 0
	.set _ZN2at6native12_GLOBAL__N_124compute_grad_weight_bagsIflEEvPKT0_PKT_S5_S5_lliS5_S8_lS5_PKlPNS_14AccumulateTypeIS6_Lb1EE4typeEl.has_indirect_call, 0
	.section	.AMDGPU.csdata,"",@progbits
; Kernel info:
; codeLenInByte = 1736
; TotalNumSgprs: 30
; NumVgprs: 30
; ScratchSize: 0
; MemoryBound: 0
; FloatMode: 240
; IeeeMode: 1
; LDSByteSize: 0 bytes/workgroup (compile time only)
; SGPRBlocks: 0
; VGPRBlocks: 1
; NumSGPRsForWavesPerEU: 30
; NumVGPRsForWavesPerEU: 30
; NamedBarCnt: 0
; Occupancy: 16
; WaveLimiterHint : 1
; COMPUTE_PGM_RSRC2:SCRATCH_EN: 0
; COMPUTE_PGM_RSRC2:USER_SGPR: 2
; COMPUTE_PGM_RSRC2:TRAP_HANDLER: 0
; COMPUTE_PGM_RSRC2:TGID_X_EN: 1
; COMPUTE_PGM_RSRC2:TGID_Y_EN: 0
; COMPUTE_PGM_RSRC2:TGID_Z_EN: 0
; COMPUTE_PGM_RSRC2:TIDIG_COMP_CNT: 0
	.section	.text._ZN2at6native12_GLOBAL__N_119compute_grad_weightIflEEvPKT0_PKT_S5_llS5_PKlPNS_14AccumulateTypeIS6_Lb1EE4typeEl,"axG",@progbits,_ZN2at6native12_GLOBAL__N_119compute_grad_weightIflEEvPKT0_PKT_S5_llS5_PKlPNS_14AccumulateTypeIS6_Lb1EE4typeEl,comdat
	.globl	_ZN2at6native12_GLOBAL__N_119compute_grad_weightIflEEvPKT0_PKT_S5_llS5_PKlPNS_14AccumulateTypeIS6_Lb1EE4typeEl ; -- Begin function _ZN2at6native12_GLOBAL__N_119compute_grad_weightIflEEvPKT0_PKT_S5_llS5_PKlPNS_14AccumulateTypeIS6_Lb1EE4typeEl
	.p2align	8
	.type	_ZN2at6native12_GLOBAL__N_119compute_grad_weightIflEEvPKT0_PKT_S5_llS5_PKlPNS_14AccumulateTypeIS6_Lb1EE4typeEl,@function
_ZN2at6native12_GLOBAL__N_119compute_grad_weightIflEEvPKT0_PKT_S5_llS5_PKlPNS_14AccumulateTypeIS6_Lb1EE4typeEl: ; @_ZN2at6native12_GLOBAL__N_119compute_grad_weightIflEEvPKT0_PKT_S5_llS5_PKlPNS_14AccumulateTypeIS6_Lb1EE4typeEl
; %bb.0:
	s_clause 0x1
	s_load_b32 s4, s[0:1], 0x54
	s_load_b64 s[2:3], s[0:1], 0x40
	s_bfe_u32 s5, ttmp6, 0x4000c
	s_and_b32 s6, ttmp6, 15
	s_add_co_i32 s5, s5, 1
	s_getreg_b32 s7, hwreg(HW_REG_IB_STS2, 6, 4)
	s_mul_i32 s5, ttmp9, s5
	v_mov_b32_e32 v1, 0
	s_add_co_i32 s6, s6, s5
	s_wait_kmcnt 0x0
	s_and_b32 s4, s4, 0xffff
	s_cmp_eq_u32 s7, 0
	s_cselect_b32 s5, ttmp9, s6
	s_delay_alu instid0(SALU_CYCLE_1) | instskip(SKIP_3) | instid1(VALU_DEP_1)
	v_mad_nc_u64_u32 v[2:3], s4, s5, v[0:1]
	s_load_b512 s[4:19], s[0:1], 0x0
	s_wait_xcnt 0x0
	s_mov_b32 s1, 0
	v_dual_mov_b32 v4, v1 :: v_dual_bitop2_b32 v5, s3, v3 bitop3:0x54
	s_delay_alu instid0(VALU_DEP_1) | instskip(SKIP_1) | instid1(SALU_CYCLE_1)
	v_cmp_ne_u64_e32 vcc_lo, 0, v[4:5]
                                        ; implicit-def: $vgpr4_vgpr5
	s_and_saveexec_b32 s0, vcc_lo
	s_xor_b32 s24, exec_lo, s0
	s_cbranch_execz .LBB106_2
; %bb.1:
	s_ashr_i32 s20, s3, 31
	v_dual_mov_b32 v9, v1 :: v_dual_ashrrev_i32 v4, 31, v3
	s_mov_b32 s21, s20
	v_mov_b32_e32 v15, v1
	s_add_nc_u64 s[22:23], s[2:3], s[20:21]
	s_delay_alu instid0(VALU_DEP_2) | instskip(SKIP_1) | instid1(SALU_CYCLE_1)
	v_mov_b32_e32 v5, v4
	s_xor_b64 s[22:23], s[22:23], s[20:21]
	s_cvt_f32_u32 s0, s22
	s_cvt_f32_u32 s21, s23
	s_sub_nc_u64 s[28:29], 0, s[22:23]
	v_add_nc_u64_e32 v[6:7], v[2:3], v[4:5]
	s_delay_alu instid0(SALU_CYCLE_1) | instskip(NEXT) | instid1(SALU_CYCLE_3)
	s_fmamk_f32 s0, s21, 0x4f800000, s0
	v_s_rcp_f32 s0, s0
	s_delay_alu instid0(VALU_DEP_1) | instskip(NEXT) | instid1(VALU_DEP_2)
	v_xor_b32_e32 v0, v6, v4
	v_xor_b32_e32 v8, v7, v4
	s_delay_alu instid0(TRANS32_DEP_1) | instskip(NEXT) | instid1(SALU_CYCLE_3)
	s_mul_f32 s0, s0, 0x5f7ffffc
	s_mul_f32 s21, s0, 0x2f800000
	s_delay_alu instid0(SALU_CYCLE_3) | instskip(NEXT) | instid1(SALU_CYCLE_3)
	s_trunc_f32 s21, s21
	s_fmamk_f32 s0, s21, 0xcf800000, s0
	s_cvt_u32_f32 s27, s21
	s_delay_alu instid0(SALU_CYCLE_2) | instskip(NEXT) | instid1(SALU_CYCLE_3)
	s_cvt_u32_f32 s26, s0
	s_mul_u64 s[30:31], s[28:29], s[26:27]
	s_delay_alu instid0(SALU_CYCLE_1)
	s_mul_hi_u32 s35, s26, s31
	s_mul_i32 s34, s26, s31
	s_mul_hi_u32 s0, s26, s30
	s_mul_i32 s25, s27, s30
	s_add_nc_u64 s[34:35], s[0:1], s[34:35]
	s_mul_hi_u32 s21, s27, s30
	s_mul_hi_u32 s33, s27, s31
	s_add_co_u32 s0, s34, s25
	s_add_co_ci_u32 s0, s35, s21
	s_mul_i32 s30, s27, s31
	s_add_co_ci_u32 s31, s33, 0
	s_delay_alu instid0(SALU_CYCLE_1) | instskip(NEXT) | instid1(SALU_CYCLE_1)
	s_add_nc_u64 s[30:31], s[0:1], s[30:31]
	s_add_co_u32 s26, s26, s30
	s_cselect_b32 s0, -1, 0
	s_delay_alu instid0(SALU_CYCLE_1) | instskip(SKIP_1) | instid1(SALU_CYCLE_1)
	s_cmp_lg_u32 s0, 0
	s_add_co_ci_u32 s27, s27, s31
	s_mul_u64 s[28:29], s[28:29], s[26:27]
	s_delay_alu instid0(SALU_CYCLE_1)
	s_mul_hi_u32 s31, s26, s29
	s_mul_i32 s30, s26, s29
	s_mul_hi_u32 s0, s26, s28
	s_mul_i32 s25, s27, s28
	s_add_nc_u64 s[30:31], s[0:1], s[30:31]
	s_mul_hi_u32 s21, s27, s28
	s_mul_hi_u32 s33, s27, s29
	s_add_co_u32 s0, s30, s25
	s_add_co_ci_u32 s0, s31, s21
	s_mul_i32 s28, s27, s29
	s_add_co_ci_u32 s29, s33, 0
	s_delay_alu instid0(SALU_CYCLE_1) | instskip(NEXT) | instid1(SALU_CYCLE_1)
	s_add_nc_u64 s[28:29], s[0:1], s[28:29]
	s_add_co_u32 s26, s26, s28
	s_cselect_b32 s0, -1, 0
	v_mul_hi_u32 v14, v0, s26
	s_cmp_lg_u32 s0, 0
	s_add_co_ci_u32 s0, s27, s29
	s_mov_b64 s[28:29], 0xffffffff
	v_mul_u64_e32 v[10:11], s[0:1], v[0:1]
	s_and_b64 s[28:29], s[26:27], s[28:29]
	v_mul_u64_e32 v[12:13], s[0:1], v[8:9]
	v_mul_u64_e32 v[6:7], s[28:29], v[8:9]
	s_delay_alu instid0(VALU_DEP_3) | instskip(NEXT) | instid1(VALU_DEP_1)
	v_add_nc_u64_e32 v[10:11], v[14:15], v[10:11]
	v_add_co_u32 v1, vcc_lo, v10, v6
	s_delay_alu instid0(VALU_DEP_2) | instskip(SKIP_1) | instid1(VALU_DEP_1)
	v_add_co_ci_u32_e32 v14, vcc_lo, v11, v7, vcc_lo
	v_add_co_ci_u32_e32 v13, vcc_lo, 0, v13, vcc_lo
	v_add_nc_u64_e32 v[6:7], v[14:15], v[12:13]
	s_delay_alu instid0(VALU_DEP_1) | instskip(NEXT) | instid1(VALU_DEP_1)
	v_mul_u64_e32 v[10:11], s[22:23], v[6:7]
	v_sub_nc_u32_e32 v1, v8, v11
	s_delay_alu instid0(VALU_DEP_2) | instskip(NEXT) | instid1(VALU_DEP_1)
	v_sub_co_u32 v0, vcc_lo, v0, v10
	v_sub_co_ci_u32_e64 v10, null, v8, v11, vcc_lo
	s_delay_alu instid0(VALU_DEP_3) | instskip(NEXT) | instid1(VALU_DEP_3)
	v_subrev_co_ci_u32_e64 v1, null, s23, v1, vcc_lo
	v_sub_co_u32 v5, s0, v0, s22
	s_delay_alu instid0(VALU_DEP_1) | instskip(NEXT) | instid1(VALU_DEP_2)
	v_subrev_co_ci_u32_e64 v1, null, 0, v1, s0
	v_cmp_le_u32_e32 vcc_lo, s22, v5
	v_cndmask_b32_e64 v5, 0, -1, vcc_lo
	s_delay_alu instid0(VALU_DEP_3)
	v_cmp_le_u32_e32 vcc_lo, s23, v1
	v_cndmask_b32_e64 v8, 0, -1, vcc_lo
	v_cmp_le_u32_e32 vcc_lo, s22, v0
	v_cndmask_b32_e64 v11, 0, -1, vcc_lo
	;; [unrolled: 2-line block ×3, first 2 shown]
	v_cmp_eq_u32_e32 vcc_lo, s23, v1
	v_add_nc_u64_e32 v[0:1], 2, v[6:7]
	v_cndmask_b32_e32 v5, v8, v5, vcc_lo
	v_cmp_eq_u32_e32 vcc_lo, s23, v10
	v_add_nc_u64_e32 v[8:9], 1, v[6:7]
	v_cndmask_b32_e32 v10, v12, v11, vcc_lo
	s_delay_alu instid0(VALU_DEP_4) | instskip(NEXT) | instid1(VALU_DEP_3)
	v_cmp_ne_u32_e32 vcc_lo, 0, v5
	v_cndmask_b32_e32 v1, v9, v1, vcc_lo
	s_delay_alu instid0(VALU_DEP_3) | instskip(SKIP_1) | instid1(VALU_DEP_2)
	v_cmp_ne_u32_e64 s0, 0, v10
	v_cndmask_b32_e32 v5, v8, v0, vcc_lo
	v_dual_cndmask_b32 v4, v7, v1, s0 :: v_dual_bitop2_b32 v0, s20, v4 bitop3:0x14
	s_delay_alu instid0(VALU_DEP_1) | instskip(NEXT) | instid1(VALU_DEP_2)
	v_dual_cndmask_b32 v6, v6, v5, s0 :: v_dual_mov_b32 v1, v0
	v_xor_b32_e32 v5, v4, v0
	s_delay_alu instid0(VALU_DEP_2) | instskip(NEXT) | instid1(VALU_DEP_1)
	v_xor_b32_e32 v4, v6, v0
	v_sub_nc_u64_e32 v[4:5], v[4:5], v[0:1]
.LBB106_2:
	s_or_saveexec_b32 s0, s24
	s_wait_kmcnt 0x0
	s_load_b64 s[16:17], s[16:17], 0x0
	s_xor_b32 exec_lo, exec_lo, s0
	s_cbranch_execz .LBB106_4
; %bb.3:
	v_cvt_f32_u32_e32 v0, s2
	s_sub_co_i32 s1, 0, s2
	s_delay_alu instid0(VALU_DEP_1) | instskip(SKIP_1) | instid1(TRANS32_DEP_1)
	v_rcp_iflag_f32_e32 v0, v0
	v_nop
	v_mul_f32_e32 v0, 0x4f7ffffe, v0
	s_delay_alu instid0(VALU_DEP_1) | instskip(NEXT) | instid1(VALU_DEP_1)
	v_cvt_u32_f32_e32 v0, v0
	v_mul_lo_u32 v1, s1, v0
	s_delay_alu instid0(VALU_DEP_1) | instskip(NEXT) | instid1(VALU_DEP_1)
	v_mul_hi_u32 v1, v0, v1
	v_add_nc_u32_e32 v0, v0, v1
	s_delay_alu instid0(VALU_DEP_1) | instskip(NEXT) | instid1(VALU_DEP_1)
	v_mul_hi_u32 v0, v2, v0
	v_mul_lo_u32 v1, v0, s2
	s_delay_alu instid0(VALU_DEP_1) | instskip(NEXT) | instid1(VALU_DEP_1)
	v_sub_nc_u32_e32 v1, v2, v1
	v_subrev_nc_u32_e32 v5, s2, v1
	v_cmp_le_u32_e32 vcc_lo, s2, v1
	s_delay_alu instid0(VALU_DEP_2) | instskip(NEXT) | instid1(VALU_DEP_1)
	v_dual_cndmask_b32 v1, v1, v5 :: v_dual_add_nc_u32 v4, 1, v0
	v_dual_cndmask_b32 v0, v0, v4 :: v_dual_mov_b32 v5, 0
	s_delay_alu instid0(VALU_DEP_2) | instskip(NEXT) | instid1(VALU_DEP_2)
	v_cmp_le_u32_e32 vcc_lo, s2, v1
	v_add_nc_u32_e32 v4, 1, v0
	s_delay_alu instid0(VALU_DEP_1)
	v_cndmask_b32_e32 v4, v0, v4, vcc_lo
.LBB106_4:
	s_or_b32 exec_lo, exec_lo, s0
	s_delay_alu instid0(VALU_DEP_1) | instskip(SKIP_2) | instid1(VALU_DEP_2)
	v_mul_u64_e32 v[0:1], s[2:3], v[4:5]
	s_wait_kmcnt 0x0
	v_cmp_gt_i64_e64 s0, s[16:17], v[4:5]
	v_sub_nc_u64_e32 v[0:1], v[2:3], v[0:1]
	s_delay_alu instid0(VALU_DEP_1) | instskip(SKIP_1) | instid1(SALU_CYCLE_1)
	v_cmp_gt_i64_e32 vcc_lo, s[12:13], v[0:1]
	s_and_b32 s0, vcc_lo, s0
	s_and_saveexec_b32 s1, s0
	s_cbranch_execz .LBB106_15
; %bb.5:
	v_lshl_add_u64 v[8:9], v[4:5], 3, s[14:15]
	s_add_nc_u64 s[0:1], s[16:17], -1
	v_mov_b64_e32 v[6:7], s[10:11]
	v_cmp_ne_u64_e32 vcc_lo, s[0:1], v[4:5]
	global_load_b64 v[2:3], v[8:9], off
	s_wait_xcnt 0x0
	s_and_saveexec_b32 s0, vcc_lo
	s_cbranch_execz .LBB106_7
; %bb.6:
	global_load_b64 v[6:7], v[8:9], off offset:8
.LBB106_7:
	s_wait_xcnt 0x0
	s_or_b32 exec_lo, exec_lo, s0
	s_wait_loadcnt 0x0
	v_mov_b32_e32 v3, 0
	s_mov_b32 s0, exec_lo
	v_cmpx_lt_i32_e64 v2, v6
	s_cbranch_execz .LBB106_14
; %bb.8:
	v_ashrrev_i32_e32 v3, 31, v2
	v_lshl_add_u64 v[8:9], v[0:1], 2, s[6:7]
	s_cmp_lg_u64 s[8:9], 0
	s_mov_b32 s2, 0
	s_cselect_b32 s1, -1, 0
	v_lshlrev_b64_e32 v[12:13], 3, v[2:3]
	v_mov_b32_e32 v3, 0
	s_delay_alu instid0(VALU_DEP_2)
	v_add_nc_u64_e32 v[10:11], s[4:5], v[12:13]
	v_add_nc_u64_e32 v[12:13], s[8:9], v[12:13]
	s_branch .LBB106_11
.LBB106_9:                              ;   in Loop: Header=BB106_11 Depth=1
	global_load_b64 v[16:17], v[12:13], off
	s_wait_loadcnt 0x0
	v_xor_b32_e32 v7, v16, v17
	v_cls_i32_e32 v18, v17
	s_delay_alu instid0(VALU_DEP_2) | instskip(NEXT) | instid1(VALU_DEP_1)
	v_ashrrev_i32_e32 v7, 31, v7
	v_add_nc_u32_e32 v7, 32, v7
	s_delay_alu instid0(VALU_DEP_1) | instskip(NEXT) | instid1(VALU_DEP_1)
	v_add_min_u32_e64 v7, v18, -1, v7
	v_lshlrev_b64_e32 v[16:17], v7, v[16:17]
	v_sub_nc_u32_e32 v7, 32, v7
	s_delay_alu instid0(VALU_DEP_2) | instskip(NEXT) | instid1(VALU_DEP_1)
	v_min_u32_e32 v16, 1, v16
	v_or_b32_e32 v16, v17, v16
	s_delay_alu instid0(VALU_DEP_1) | instskip(NEXT) | instid1(VALU_DEP_1)
	v_cvt_f32_i32_e32 v16, v16
	v_ldexp_f32 v7, v16, v7
	s_delay_alu instid0(VALU_DEP_1) | instskip(NEXT) | instid1(VALU_DEP_1)
	v_div_scale_f32 v16, null, v7, v7, 1.0
	v_rcp_f32_e32 v17, v16
	v_nop
	s_delay_alu instid0(TRANS32_DEP_1) | instskip(NEXT) | instid1(VALU_DEP_1)
	v_fma_f32 v18, -v16, v17, 1.0
	v_fmac_f32_e32 v17, v18, v17
	v_div_scale_f32 v18, vcc_lo, 1.0, v7, 1.0
	s_delay_alu instid0(VALU_DEP_1) | instskip(NEXT) | instid1(VALU_DEP_1)
	v_mul_f32_e32 v19, v18, v17
	v_fma_f32 v20, -v16, v19, v18
	s_delay_alu instid0(VALU_DEP_1) | instskip(NEXT) | instid1(VALU_DEP_1)
	v_fmac_f32_e32 v19, v20, v17
	v_fma_f32 v16, -v16, v19, v18
	s_delay_alu instid0(VALU_DEP_1) | instskip(NEXT) | instid1(VALU_DEP_1)
	v_div_fmas_f32 v16, v16, v17, v19
	v_div_fixup_f32 v7, v16, v7, 1.0
.LBB106_10:                             ;   in Loop: Header=BB106_11 Depth=1
	s_wait_loadcnt 0x0
	v_mul_u64_e32 v[14:15], s[12:13], v[14:15]
	v_add_nc_u32_e32 v2, 1, v2
	v_add_nc_u64_e32 v[10:11], 8, v[10:11]
	v_add_nc_u64_e32 v[12:13], 8, v[12:13]
	s_delay_alu instid0(VALU_DEP_3)
	v_cmp_ge_i32_e32 vcc_lo, v2, v6
	s_or_b32 s2, vcc_lo, s2
	v_lshl_add_u64 v[14:15], v[14:15], 2, v[8:9]
	global_load_b32 v14, v[14:15], off
	s_wait_loadcnt 0x0
	v_fmac_f32_e32 v3, v7, v14
	s_and_not1_b32 exec_lo, exec_lo, s2
	s_cbranch_execz .LBB106_13
.LBB106_11:                             ; =>This Inner Loop Header: Depth=1
	global_load_b64 v[14:15], v[10:11], off
	s_and_not1_b32 vcc_lo, exec_lo, s1
	s_cbranch_vccz .LBB106_9
; %bb.12:                               ;   in Loop: Header=BB106_11 Depth=1
	v_mov_b32_e32 v7, 1.0
	s_branch .LBB106_10
.LBB106_13:
	s_or_b32 exec_lo, exec_lo, s2
.LBB106_14:
	s_delay_alu instid0(SALU_CYCLE_1) | instskip(SKIP_1) | instid1(VALU_DEP_1)
	s_or_b32 exec_lo, exec_lo, s0
	v_mul_u64_e32 v[4:5], s[12:13], v[4:5]
	v_lshl_add_u64 v[4:5], v[4:5], 2, s[18:19]
	s_delay_alu instid0(VALU_DEP_1)
	v_lshl_add_u64 v[0:1], v[0:1], 2, v[4:5]
	global_store_b32 v[0:1], v3, off
.LBB106_15:
	s_endpgm
	.section	.rodata,"a",@progbits
	.p2align	6, 0x0
	.amdhsa_kernel _ZN2at6native12_GLOBAL__N_119compute_grad_weightIflEEvPKT0_PKT_S5_llS5_PKlPNS_14AccumulateTypeIS6_Lb1EE4typeEl
		.amdhsa_group_segment_fixed_size 0
		.amdhsa_private_segment_fixed_size 0
		.amdhsa_kernarg_size 328
		.amdhsa_user_sgpr_count 2
		.amdhsa_user_sgpr_dispatch_ptr 0
		.amdhsa_user_sgpr_queue_ptr 0
		.amdhsa_user_sgpr_kernarg_segment_ptr 1
		.amdhsa_user_sgpr_dispatch_id 0
		.amdhsa_user_sgpr_kernarg_preload_length 0
		.amdhsa_user_sgpr_kernarg_preload_offset 0
		.amdhsa_user_sgpr_private_segment_size 0
		.amdhsa_wavefront_size32 1
		.amdhsa_uses_dynamic_stack 0
		.amdhsa_enable_private_segment 0
		.amdhsa_system_sgpr_workgroup_id_x 1
		.amdhsa_system_sgpr_workgroup_id_y 0
		.amdhsa_system_sgpr_workgroup_id_z 0
		.amdhsa_system_sgpr_workgroup_info 0
		.amdhsa_system_vgpr_workitem_id 0
		.amdhsa_next_free_vgpr 21
		.amdhsa_next_free_sgpr 36
		.amdhsa_named_barrier_count 0
		.amdhsa_reserve_vcc 1
		.amdhsa_float_round_mode_32 0
		.amdhsa_float_round_mode_16_64 0
		.amdhsa_float_denorm_mode_32 3
		.amdhsa_float_denorm_mode_16_64 3
		.amdhsa_fp16_overflow 0
		.amdhsa_memory_ordered 1
		.amdhsa_forward_progress 1
		.amdhsa_inst_pref_size 11
		.amdhsa_round_robin_scheduling 0
		.amdhsa_exception_fp_ieee_invalid_op 0
		.amdhsa_exception_fp_denorm_src 0
		.amdhsa_exception_fp_ieee_div_zero 0
		.amdhsa_exception_fp_ieee_overflow 0
		.amdhsa_exception_fp_ieee_underflow 0
		.amdhsa_exception_fp_ieee_inexact 0
		.amdhsa_exception_int_div_zero 0
	.end_amdhsa_kernel
	.section	.text._ZN2at6native12_GLOBAL__N_119compute_grad_weightIflEEvPKT0_PKT_S5_llS5_PKlPNS_14AccumulateTypeIS6_Lb1EE4typeEl,"axG",@progbits,_ZN2at6native12_GLOBAL__N_119compute_grad_weightIflEEvPKT0_PKT_S5_llS5_PKlPNS_14AccumulateTypeIS6_Lb1EE4typeEl,comdat
.Lfunc_end106:
	.size	_ZN2at6native12_GLOBAL__N_119compute_grad_weightIflEEvPKT0_PKT_S5_llS5_PKlPNS_14AccumulateTypeIS6_Lb1EE4typeEl, .Lfunc_end106-_ZN2at6native12_GLOBAL__N_119compute_grad_weightIflEEvPKT0_PKT_S5_llS5_PKlPNS_14AccumulateTypeIS6_Lb1EE4typeEl
                                        ; -- End function
	.set _ZN2at6native12_GLOBAL__N_119compute_grad_weightIflEEvPKT0_PKT_S5_llS5_PKlPNS_14AccumulateTypeIS6_Lb1EE4typeEl.num_vgpr, 21
	.set _ZN2at6native12_GLOBAL__N_119compute_grad_weightIflEEvPKT0_PKT_S5_llS5_PKlPNS_14AccumulateTypeIS6_Lb1EE4typeEl.num_agpr, 0
	.set _ZN2at6native12_GLOBAL__N_119compute_grad_weightIflEEvPKT0_PKT_S5_llS5_PKlPNS_14AccumulateTypeIS6_Lb1EE4typeEl.numbered_sgpr, 36
	.set _ZN2at6native12_GLOBAL__N_119compute_grad_weightIflEEvPKT0_PKT_S5_llS5_PKlPNS_14AccumulateTypeIS6_Lb1EE4typeEl.num_named_barrier, 0
	.set _ZN2at6native12_GLOBAL__N_119compute_grad_weightIflEEvPKT0_PKT_S5_llS5_PKlPNS_14AccumulateTypeIS6_Lb1EE4typeEl.private_seg_size, 0
	.set _ZN2at6native12_GLOBAL__N_119compute_grad_weightIflEEvPKT0_PKT_S5_llS5_PKlPNS_14AccumulateTypeIS6_Lb1EE4typeEl.uses_vcc, 1
	.set _ZN2at6native12_GLOBAL__N_119compute_grad_weightIflEEvPKT0_PKT_S5_llS5_PKlPNS_14AccumulateTypeIS6_Lb1EE4typeEl.uses_flat_scratch, 0
	.set _ZN2at6native12_GLOBAL__N_119compute_grad_weightIflEEvPKT0_PKT_S5_llS5_PKlPNS_14AccumulateTypeIS6_Lb1EE4typeEl.has_dyn_sized_stack, 0
	.set _ZN2at6native12_GLOBAL__N_119compute_grad_weightIflEEvPKT0_PKT_S5_llS5_PKlPNS_14AccumulateTypeIS6_Lb1EE4typeEl.has_recursion, 0
	.set _ZN2at6native12_GLOBAL__N_119compute_grad_weightIflEEvPKT0_PKT_S5_llS5_PKlPNS_14AccumulateTypeIS6_Lb1EE4typeEl.has_indirect_call, 0
	.section	.AMDGPU.csdata,"",@progbits
; Kernel info:
; codeLenInByte = 1368
; TotalNumSgprs: 38
; NumVgprs: 21
; ScratchSize: 0
; MemoryBound: 0
; FloatMode: 240
; IeeeMode: 1
; LDSByteSize: 0 bytes/workgroup (compile time only)
; SGPRBlocks: 0
; VGPRBlocks: 1
; NumSGPRsForWavesPerEU: 38
; NumVGPRsForWavesPerEU: 21
; NamedBarCnt: 0
; Occupancy: 16
; WaveLimiterHint : 1
; COMPUTE_PGM_RSRC2:SCRATCH_EN: 0
; COMPUTE_PGM_RSRC2:USER_SGPR: 2
; COMPUTE_PGM_RSRC2:TRAP_HANDLER: 0
; COMPUTE_PGM_RSRC2:TGID_X_EN: 1
; COMPUTE_PGM_RSRC2:TGID_Y_EN: 0
; COMPUTE_PGM_RSRC2:TGID_Z_EN: 0
; COMPUTE_PGM_RSRC2:TIDIG_COMP_CNT: 0
	.section	.text._ZN2at6native12_GLOBAL__N_115sum_and_scatterIflEEvPKT0_PT_lS5_PKlPKNS_14AccumulateTypeIS6_Lb1EE4typeES5_S9_ll,"axG",@progbits,_ZN2at6native12_GLOBAL__N_115sum_and_scatterIflEEvPKT0_PT_lS5_PKlPKNS_14AccumulateTypeIS6_Lb1EE4typeES5_S9_ll,comdat
	.globl	_ZN2at6native12_GLOBAL__N_115sum_and_scatterIflEEvPKT0_PT_lS5_PKlPKNS_14AccumulateTypeIS6_Lb1EE4typeES5_S9_ll ; -- Begin function _ZN2at6native12_GLOBAL__N_115sum_and_scatterIflEEvPKT0_PT_lS5_PKlPKNS_14AccumulateTypeIS6_Lb1EE4typeES5_S9_ll
	.p2align	8
	.type	_ZN2at6native12_GLOBAL__N_115sum_and_scatterIflEEvPKT0_PT_lS5_PKlPKNS_14AccumulateTypeIS6_Lb1EE4typeES5_S9_ll,@function
_ZN2at6native12_GLOBAL__N_115sum_and_scatterIflEEvPKT0_PT_lS5_PKlPKNS_14AccumulateTypeIS6_Lb1EE4typeES5_S9_ll: ; @_ZN2at6native12_GLOBAL__N_115sum_and_scatterIflEEvPKT0_PT_lS5_PKlPKNS_14AccumulateTypeIS6_Lb1EE4typeES5_S9_ll
; %bb.0:
	s_clause 0x1
	s_load_b32 s2, s[0:1], 0x5c
	s_load_b128 s[20:23], s[0:1], 0x40
	s_bfe_u32 s3, ttmp6, 0x4000c
	s_and_b32 s4, ttmp6, 15
	s_add_co_i32 s3, s3, 1
	s_getreg_b32 s5, hwreg(HW_REG_IB_STS2, 6, 4)
	s_mul_i32 s3, ttmp9, s3
	v_mov_b32_e32 v1, 0
	s_add_co_i32 s4, s4, s3
	s_wait_kmcnt 0x0
	s_and_b32 s2, s2, 0xffff
	s_cmp_eq_u32 s5, 0
	s_cselect_b32 s3, ttmp9, s4
	s_load_b512 s[4:19], s[0:1], 0x0
	v_mad_nc_u64_u32 v[2:3], s2, s3, v[0:1]
	s_wait_xcnt 0x0
	s_mov_b32 s1, 0
	s_delay_alu instid0(VALU_DEP_1) | instskip(NEXT) | instid1(VALU_DEP_1)
	v_dual_mov_b32 v4, v1 :: v_dual_bitop2_b32 v5, s23, v3 bitop3:0x54
	v_cmp_ne_u64_e32 vcc_lo, 0, v[4:5]
                                        ; implicit-def: $vgpr4_vgpr5
	s_and_saveexec_b32 s0, vcc_lo
	s_delay_alu instid0(SALU_CYCLE_1)
	s_xor_b32 s26, exec_lo, s0
	s_cbranch_execz .LBB107_2
; %bb.1:
	s_ashr_i32 s2, s23, 31
	v_dual_mov_b32 v9, v1 :: v_dual_ashrrev_i32 v4, 31, v3
	s_mov_b32 s3, s2
	v_mov_b32_e32 v15, v1
	s_add_nc_u64 s[24:25], s[22:23], s[2:3]
	s_delay_alu instid0(VALU_DEP_2) | instskip(SKIP_1) | instid1(SALU_CYCLE_1)
	v_mov_b32_e32 v5, v4
	s_xor_b64 s[24:25], s[24:25], s[2:3]
	s_cvt_f32_u32 s0, s24
	s_cvt_f32_u32 s3, s25
	s_sub_nc_u64 s[30:31], 0, s[24:25]
	v_add_nc_u64_e32 v[6:7], v[2:3], v[4:5]
	s_delay_alu instid0(SALU_CYCLE_1) | instskip(NEXT) | instid1(SALU_CYCLE_3)
	s_fmamk_f32 s0, s3, 0x4f800000, s0
	v_s_rcp_f32 s0, s0
	s_delay_alu instid0(VALU_DEP_1) | instskip(NEXT) | instid1(VALU_DEP_2)
	v_xor_b32_e32 v0, v6, v4
	v_xor_b32_e32 v8, v7, v4
	s_delay_alu instid0(TRANS32_DEP_1) | instskip(NEXT) | instid1(SALU_CYCLE_3)
	s_mul_f32 s0, s0, 0x5f7ffffc
	s_mul_f32 s3, s0, 0x2f800000
	s_delay_alu instid0(SALU_CYCLE_3) | instskip(NEXT) | instid1(SALU_CYCLE_3)
	s_trunc_f32 s3, s3
	s_fmamk_f32 s0, s3, 0xcf800000, s0
	s_cvt_u32_f32 s29, s3
	s_delay_alu instid0(SALU_CYCLE_2) | instskip(NEXT) | instid1(SALU_CYCLE_3)
	s_cvt_u32_f32 s28, s0
	s_mul_u64 s[34:35], s[30:31], s[28:29]
	s_delay_alu instid0(SALU_CYCLE_1)
	s_mul_hi_u32 s37, s28, s35
	s_mul_i32 s36, s28, s35
	s_mul_hi_u32 s0, s28, s34
	s_mul_i32 s27, s29, s34
	s_add_nc_u64 s[36:37], s[0:1], s[36:37]
	s_mul_hi_u32 s3, s29, s34
	s_mul_hi_u32 s33, s29, s35
	s_add_co_u32 s0, s36, s27
	s_add_co_ci_u32 s0, s37, s3
	s_mul_i32 s34, s29, s35
	s_add_co_ci_u32 s35, s33, 0
	s_delay_alu instid0(SALU_CYCLE_1) | instskip(NEXT) | instid1(SALU_CYCLE_1)
	s_add_nc_u64 s[34:35], s[0:1], s[34:35]
	s_add_co_u32 s28, s28, s34
	s_cselect_b32 s0, -1, 0
	s_delay_alu instid0(SALU_CYCLE_1) | instskip(SKIP_1) | instid1(SALU_CYCLE_1)
	s_cmp_lg_u32 s0, 0
	s_add_co_ci_u32 s29, s29, s35
	s_mul_u64 s[30:31], s[30:31], s[28:29]
	s_delay_alu instid0(SALU_CYCLE_1)
	s_mul_hi_u32 s35, s28, s31
	s_mul_i32 s34, s28, s31
	s_mul_hi_u32 s0, s28, s30
	s_mul_i32 s27, s29, s30
	s_add_nc_u64 s[34:35], s[0:1], s[34:35]
	s_mul_hi_u32 s3, s29, s30
	s_mul_hi_u32 s33, s29, s31
	s_add_co_u32 s0, s34, s27
	s_add_co_ci_u32 s0, s35, s3
	s_mul_i32 s30, s29, s31
	s_add_co_ci_u32 s31, s33, 0
	s_delay_alu instid0(SALU_CYCLE_1) | instskip(NEXT) | instid1(SALU_CYCLE_1)
	s_add_nc_u64 s[30:31], s[0:1], s[30:31]
	s_add_co_u32 s28, s28, s30
	s_cselect_b32 s0, -1, 0
	v_mul_hi_u32 v14, v0, s28
	s_cmp_lg_u32 s0, 0
	s_add_co_ci_u32 s0, s29, s31
	s_mov_b64 s[30:31], 0xffffffff
	v_mul_u64_e32 v[10:11], s[0:1], v[0:1]
	s_and_b64 s[30:31], s[28:29], s[30:31]
	v_mul_u64_e32 v[12:13], s[0:1], v[8:9]
	v_mul_u64_e32 v[6:7], s[30:31], v[8:9]
	s_delay_alu instid0(VALU_DEP_3) | instskip(NEXT) | instid1(VALU_DEP_1)
	v_add_nc_u64_e32 v[10:11], v[14:15], v[10:11]
	v_add_co_u32 v1, vcc_lo, v10, v6
	s_delay_alu instid0(VALU_DEP_2) | instskip(SKIP_1) | instid1(VALU_DEP_1)
	v_add_co_ci_u32_e32 v14, vcc_lo, v11, v7, vcc_lo
	v_add_co_ci_u32_e32 v13, vcc_lo, 0, v13, vcc_lo
	v_add_nc_u64_e32 v[6:7], v[14:15], v[12:13]
	s_delay_alu instid0(VALU_DEP_1) | instskip(NEXT) | instid1(VALU_DEP_1)
	v_mul_u64_e32 v[10:11], s[24:25], v[6:7]
	v_sub_nc_u32_e32 v1, v8, v11
	s_delay_alu instid0(VALU_DEP_2) | instskip(NEXT) | instid1(VALU_DEP_1)
	v_sub_co_u32 v0, vcc_lo, v0, v10
	v_sub_co_ci_u32_e64 v10, null, v8, v11, vcc_lo
	s_delay_alu instid0(VALU_DEP_3) | instskip(NEXT) | instid1(VALU_DEP_3)
	v_subrev_co_ci_u32_e64 v1, null, s25, v1, vcc_lo
	v_sub_co_u32 v5, s0, v0, s24
	s_delay_alu instid0(VALU_DEP_1) | instskip(NEXT) | instid1(VALU_DEP_2)
	v_subrev_co_ci_u32_e64 v1, null, 0, v1, s0
	v_cmp_le_u32_e32 vcc_lo, s24, v5
	v_cndmask_b32_e64 v5, 0, -1, vcc_lo
	s_delay_alu instid0(VALU_DEP_3)
	v_cmp_le_u32_e32 vcc_lo, s25, v1
	v_cndmask_b32_e64 v8, 0, -1, vcc_lo
	v_cmp_le_u32_e32 vcc_lo, s24, v0
	v_cndmask_b32_e64 v11, 0, -1, vcc_lo
	;; [unrolled: 2-line block ×3, first 2 shown]
	v_cmp_eq_u32_e32 vcc_lo, s25, v1
	v_add_nc_u64_e32 v[0:1], 2, v[6:7]
	v_cndmask_b32_e32 v5, v8, v5, vcc_lo
	v_cmp_eq_u32_e32 vcc_lo, s25, v10
	v_add_nc_u64_e32 v[8:9], 1, v[6:7]
	v_cndmask_b32_e32 v10, v12, v11, vcc_lo
	s_delay_alu instid0(VALU_DEP_4) | instskip(NEXT) | instid1(VALU_DEP_3)
	v_cmp_ne_u32_e32 vcc_lo, 0, v5
	v_cndmask_b32_e32 v1, v9, v1, vcc_lo
	s_delay_alu instid0(VALU_DEP_3) | instskip(SKIP_1) | instid1(VALU_DEP_2)
	v_cmp_ne_u32_e64 s0, 0, v10
	v_cndmask_b32_e32 v5, v8, v0, vcc_lo
	v_dual_cndmask_b32 v4, v7, v1, s0 :: v_dual_bitop2_b32 v0, s2, v4 bitop3:0x14
	s_delay_alu instid0(VALU_DEP_1) | instskip(NEXT) | instid1(VALU_DEP_2)
	v_dual_cndmask_b32 v6, v6, v5, s0 :: v_dual_mov_b32 v1, v0
	v_xor_b32_e32 v5, v4, v0
	s_delay_alu instid0(VALU_DEP_2) | instskip(NEXT) | instid1(VALU_DEP_1)
	v_xor_b32_e32 v4, v6, v0
	v_sub_nc_u64_e32 v[4:5], v[4:5], v[0:1]
.LBB107_2:
	s_or_saveexec_b32 s0, s26
	s_wait_kmcnt 0x0
	s_load_b64 s[2:3], s[12:13], 0x0
	s_xor_b32 exec_lo, exec_lo, s0
	s_cbranch_execz .LBB107_4
; %bb.3:
	v_cvt_f32_u32_e32 v0, s22
	s_sub_co_i32 s1, 0, s22
	s_delay_alu instid0(VALU_DEP_1) | instskip(SKIP_1) | instid1(TRANS32_DEP_1)
	v_rcp_iflag_f32_e32 v0, v0
	v_nop
	v_mul_f32_e32 v0, 0x4f7ffffe, v0
	s_delay_alu instid0(VALU_DEP_1) | instskip(NEXT) | instid1(VALU_DEP_1)
	v_cvt_u32_f32_e32 v0, v0
	v_mul_lo_u32 v1, s1, v0
	s_delay_alu instid0(VALU_DEP_1) | instskip(NEXT) | instid1(VALU_DEP_1)
	v_mul_hi_u32 v1, v0, v1
	v_add_nc_u32_e32 v0, v0, v1
	s_delay_alu instid0(VALU_DEP_1) | instskip(NEXT) | instid1(VALU_DEP_1)
	v_mul_hi_u32 v0, v2, v0
	v_mul_lo_u32 v1, v0, s22
	s_delay_alu instid0(VALU_DEP_1) | instskip(NEXT) | instid1(VALU_DEP_1)
	v_sub_nc_u32_e32 v1, v2, v1
	v_subrev_nc_u32_e32 v5, s22, v1
	v_cmp_le_u32_e32 vcc_lo, s22, v1
	s_delay_alu instid0(VALU_DEP_2) | instskip(NEXT) | instid1(VALU_DEP_1)
	v_dual_cndmask_b32 v1, v1, v5 :: v_dual_add_nc_u32 v4, 1, v0
	v_dual_cndmask_b32 v0, v0, v4 :: v_dual_mov_b32 v5, 0
	s_delay_alu instid0(VALU_DEP_2) | instskip(NEXT) | instid1(VALU_DEP_2)
	v_cmp_le_u32_e32 vcc_lo, s22, v1
	v_add_nc_u32_e32 v4, 1, v0
	s_delay_alu instid0(VALU_DEP_1)
	v_cndmask_b32_e32 v4, v0, v4, vcc_lo
.LBB107_4:
	s_or_b32 exec_lo, exec_lo, s0
	s_delay_alu instid0(VALU_DEP_1) | instskip(SKIP_2) | instid1(VALU_DEP_2)
	v_mul_u64_e32 v[8:9], s[22:23], v[4:5]
	s_wait_kmcnt 0x0
	v_cmp_gt_i64_e64 s0, s[2:3], v[4:5]
	v_sub_nc_u64_e32 v[0:1], v[2:3], v[8:9]
	s_delay_alu instid0(VALU_DEP_1) | instskip(SKIP_1) | instid1(SALU_CYCLE_1)
	v_cmp_gt_i64_e32 vcc_lo, s[8:9], v[0:1]
	s_and_b32 s0, vcc_lo, s0
	s_and_saveexec_b32 s1, s0
	s_cbranch_execz .LBB107_11
; %bb.5:
	v_lshl_add_u64 v[12:13], v[4:5], 3, s[16:17]
	s_add_nc_u64 s[0:1], s[2:3], -1
	s_mov_b32 s2, exec_lo
	v_cmp_eq_u64_e32 vcc_lo, s[0:1], v[4:5]
	s_delay_alu instid0(VALU_DEP_2) | instskip(NEXT) | instid1(VALU_DEP_1)
	v_add_nc_u64_e32 v[6:7], 8, v[12:13]
	v_cndmask_b32_e64 v15, v7, s19, vcc_lo
	s_delay_alu instid0(VALU_DEP_2)
	v_cndmask_b32_e64 v14, v6, s18, vcc_lo
	v_mov_b32_e32 v7, 0
	global_load_b32 v6, v[12:13], off
	global_load_b32 v10, v[14:15], off
	s_wait_loadcnt 0x0
	v_cmpx_lt_i32_e64 v6, v10
	s_cbranch_execz .LBB107_9
; %bb.6:
	v_ashrrev_i32_e32 v7, 31, v6
	v_lshlrev_b64_e32 v[2:3], 2, v[2:3]
	v_lshlrev_b64_e32 v[8:9], 2, v[8:9]
	s_lshl_b64 s[0:1], s[8:9], 2
	s_mov_b32 s3, 0
	v_mul_u64_e32 v[12:13], s[8:9], v[6:7]
	v_mov_b32_e32 v7, 0
	s_delay_alu instid0(VALU_DEP_2) | instskip(NEXT) | instid1(VALU_DEP_1)
	v_lshl_add_u64 v[2:3], v[12:13], 2, v[2:3]
	v_sub_nc_u64_e32 v[2:3], v[2:3], v[8:9]
	s_delay_alu instid0(VALU_DEP_1)
	v_add_nc_u64_e32 v[2:3], s[14:15], v[2:3]
.LBB107_7:                              ; =>This Inner Loop Header: Depth=1
	global_load_b32 v8, v[2:3], off
	v_add_nc_u32_e32 v6, 1, v6
	s_wait_xcnt 0x0
	v_add_nc_u64_e32 v[2:3], s[0:1], v[2:3]
	s_wait_loadcnt 0x0
	v_add_f32_e32 v7, v7, v8
	v_cmp_ge_i32_e32 vcc_lo, v6, v10
	s_or_b32 s3, vcc_lo, s3
	s_delay_alu instid0(SALU_CYCLE_1)
	s_and_not1_b32 exec_lo, exec_lo, s3
	s_cbranch_execnz .LBB107_7
; %bb.8:
	s_or_b32 exec_lo, exec_lo, s3
.LBB107_9:
	s_delay_alu instid0(SALU_CYCLE_1)
	s_or_b32 exec_lo, exec_lo, s2
	v_lshl_add_u64 v[2:3], v[4:5], 3, s[10:11]
	global_load_b64 v[2:3], v[2:3], off
	s_wait_loadcnt 0x0
	v_lshl_add_u64 v[2:3], v[2:3], 3, s[4:5]
	global_load_b64 v[2:3], v[2:3], off
	s_wait_loadcnt 0x0
	v_cmp_ne_u64_e32 vcc_lo, s[20:21], v[2:3]
	s_and_b32 exec_lo, exec_lo, vcc_lo
	s_cbranch_execz .LBB107_11
; %bb.10:
	v_mul_u64_e32 v[2:3], s[8:9], v[2:3]
	s_delay_alu instid0(VALU_DEP_1) | instskip(NEXT) | instid1(VALU_DEP_1)
	v_lshl_add_u64 v[2:3], v[2:3], 2, s[6:7]
	v_lshl_add_u64 v[0:1], v[0:1], 2, v[2:3]
	global_store_b32 v[0:1], v7, off
.LBB107_11:
	s_endpgm
	.section	.rodata,"a",@progbits
	.p2align	6, 0x0
	.amdhsa_kernel _ZN2at6native12_GLOBAL__N_115sum_and_scatterIflEEvPKT0_PT_lS5_PKlPKNS_14AccumulateTypeIS6_Lb1EE4typeES5_S9_ll
		.amdhsa_group_segment_fixed_size 0
		.amdhsa_private_segment_fixed_size 0
		.amdhsa_kernarg_size 336
		.amdhsa_user_sgpr_count 2
		.amdhsa_user_sgpr_dispatch_ptr 0
		.amdhsa_user_sgpr_queue_ptr 0
		.amdhsa_user_sgpr_kernarg_segment_ptr 1
		.amdhsa_user_sgpr_dispatch_id 0
		.amdhsa_user_sgpr_kernarg_preload_length 0
		.amdhsa_user_sgpr_kernarg_preload_offset 0
		.amdhsa_user_sgpr_private_segment_size 0
		.amdhsa_wavefront_size32 1
		.amdhsa_uses_dynamic_stack 0
		.amdhsa_enable_private_segment 0
		.amdhsa_system_sgpr_workgroup_id_x 1
		.amdhsa_system_sgpr_workgroup_id_y 0
		.amdhsa_system_sgpr_workgroup_id_z 0
		.amdhsa_system_sgpr_workgroup_info 0
		.amdhsa_system_vgpr_workitem_id 0
		.amdhsa_next_free_vgpr 16
		.amdhsa_next_free_sgpr 38
		.amdhsa_named_barrier_count 0
		.amdhsa_reserve_vcc 1
		.amdhsa_float_round_mode_32 0
		.amdhsa_float_round_mode_16_64 0
		.amdhsa_float_denorm_mode_32 3
		.amdhsa_float_denorm_mode_16_64 3
		.amdhsa_fp16_overflow 0
		.amdhsa_memory_ordered 1
		.amdhsa_forward_progress 1
		.amdhsa_inst_pref_size 10
		.amdhsa_round_robin_scheduling 0
		.amdhsa_exception_fp_ieee_invalid_op 0
		.amdhsa_exception_fp_denorm_src 0
		.amdhsa_exception_fp_ieee_div_zero 0
		.amdhsa_exception_fp_ieee_overflow 0
		.amdhsa_exception_fp_ieee_underflow 0
		.amdhsa_exception_fp_ieee_inexact 0
		.amdhsa_exception_int_div_zero 0
	.end_amdhsa_kernel
	.section	.text._ZN2at6native12_GLOBAL__N_115sum_and_scatterIflEEvPKT0_PT_lS5_PKlPKNS_14AccumulateTypeIS6_Lb1EE4typeES5_S9_ll,"axG",@progbits,_ZN2at6native12_GLOBAL__N_115sum_and_scatterIflEEvPKT0_PT_lS5_PKlPKNS_14AccumulateTypeIS6_Lb1EE4typeES5_S9_ll,comdat
.Lfunc_end107:
	.size	_ZN2at6native12_GLOBAL__N_115sum_and_scatterIflEEvPKT0_PT_lS5_PKlPKNS_14AccumulateTypeIS6_Lb1EE4typeES5_S9_ll, .Lfunc_end107-_ZN2at6native12_GLOBAL__N_115sum_and_scatterIflEEvPKT0_PT_lS5_PKlPKNS_14AccumulateTypeIS6_Lb1EE4typeES5_S9_ll
                                        ; -- End function
	.set _ZN2at6native12_GLOBAL__N_115sum_and_scatterIflEEvPKT0_PT_lS5_PKlPKNS_14AccumulateTypeIS6_Lb1EE4typeES5_S9_ll.num_vgpr, 16
	.set _ZN2at6native12_GLOBAL__N_115sum_and_scatterIflEEvPKT0_PT_lS5_PKlPKNS_14AccumulateTypeIS6_Lb1EE4typeES5_S9_ll.num_agpr, 0
	.set _ZN2at6native12_GLOBAL__N_115sum_and_scatterIflEEvPKT0_PT_lS5_PKlPKNS_14AccumulateTypeIS6_Lb1EE4typeES5_S9_ll.numbered_sgpr, 38
	.set _ZN2at6native12_GLOBAL__N_115sum_and_scatterIflEEvPKT0_PT_lS5_PKlPKNS_14AccumulateTypeIS6_Lb1EE4typeES5_S9_ll.num_named_barrier, 0
	.set _ZN2at6native12_GLOBAL__N_115sum_and_scatterIflEEvPKT0_PT_lS5_PKlPKNS_14AccumulateTypeIS6_Lb1EE4typeES5_S9_ll.private_seg_size, 0
	.set _ZN2at6native12_GLOBAL__N_115sum_and_scatterIflEEvPKT0_PT_lS5_PKlPKNS_14AccumulateTypeIS6_Lb1EE4typeES5_S9_ll.uses_vcc, 1
	.set _ZN2at6native12_GLOBAL__N_115sum_and_scatterIflEEvPKT0_PT_lS5_PKlPKNS_14AccumulateTypeIS6_Lb1EE4typeES5_S9_ll.uses_flat_scratch, 0
	.set _ZN2at6native12_GLOBAL__N_115sum_and_scatterIflEEvPKT0_PT_lS5_PKlPKNS_14AccumulateTypeIS6_Lb1EE4typeES5_S9_ll.has_dyn_sized_stack, 0
	.set _ZN2at6native12_GLOBAL__N_115sum_and_scatterIflEEvPKT0_PT_lS5_PKlPKNS_14AccumulateTypeIS6_Lb1EE4typeES5_S9_ll.has_recursion, 0
	.set _ZN2at6native12_GLOBAL__N_115sum_and_scatterIflEEvPKT0_PT_lS5_PKlPKNS_14AccumulateTypeIS6_Lb1EE4typeES5_S9_ll.has_indirect_call, 0
	.section	.AMDGPU.csdata,"",@progbits
; Kernel info:
; codeLenInByte = 1212
; TotalNumSgprs: 40
; NumVgprs: 16
; ScratchSize: 0
; MemoryBound: 0
; FloatMode: 240
; IeeeMode: 1
; LDSByteSize: 0 bytes/workgroup (compile time only)
; SGPRBlocks: 0
; VGPRBlocks: 0
; NumSGPRsForWavesPerEU: 40
; NumVGPRsForWavesPerEU: 16
; NamedBarCnt: 0
; Occupancy: 16
; WaveLimiterHint : 1
; COMPUTE_PGM_RSRC2:SCRATCH_EN: 0
; COMPUTE_PGM_RSRC2:USER_SGPR: 2
; COMPUTE_PGM_RSRC2:TRAP_HANDLER: 0
; COMPUTE_PGM_RSRC2:TGID_X_EN: 1
; COMPUTE_PGM_RSRC2:TGID_Y_EN: 0
; COMPUTE_PGM_RSRC2:TGID_Z_EN: 0
; COMPUTE_PGM_RSRC2:TIDIG_COMP_CNT: 0
	.section	.text._ZN2at6native12_GLOBAL__N_137compute_grad_weight_atomic_accumulateIN3c104HalfEflEEvPKT1_PKT_S7_llS7_PKlS7_S7_S7_PT0_ll,"axG",@progbits,_ZN2at6native12_GLOBAL__N_137compute_grad_weight_atomic_accumulateIN3c104HalfEflEEvPKT1_PKT_S7_llS7_PKlS7_S7_S7_PT0_ll,comdat
	.globl	_ZN2at6native12_GLOBAL__N_137compute_grad_weight_atomic_accumulateIN3c104HalfEflEEvPKT1_PKT_S7_llS7_PKlS7_S7_S7_PT0_ll ; -- Begin function _ZN2at6native12_GLOBAL__N_137compute_grad_weight_atomic_accumulateIN3c104HalfEflEEvPKT1_PKT_S7_llS7_PKlS7_S7_S7_PT0_ll
	.p2align	8
	.type	_ZN2at6native12_GLOBAL__N_137compute_grad_weight_atomic_accumulateIN3c104HalfEflEEvPKT1_PKT_S7_llS7_PKlS7_S7_S7_PT0_ll,@function
_ZN2at6native12_GLOBAL__N_137compute_grad_weight_atomic_accumulateIN3c104HalfEflEEvPKT1_PKT_S7_llS7_PKlS7_S7_S7_PT0_ll: ; @_ZN2at6native12_GLOBAL__N_137compute_grad_weight_atomic_accumulateIN3c104HalfEflEEvPKT1_PKT_S7_llS7_PKlS7_S7_S7_PT0_ll
; %bb.0:
	s_clause 0x1
	s_load_b32 s2, s[0:1], 0x74
	s_load_b64 s[20:21], s[0:1], 0x60
	s_bfe_u32 s3, ttmp6, 0x4000c
	s_and_b32 s4, ttmp6, 15
	s_add_co_i32 s3, s3, 1
	s_getreg_b32 s5, hwreg(HW_REG_IB_STS2, 6, 4)
	s_mul_i32 s3, ttmp9, s3
                                        ; implicit-def: $vgpr2_vgpr3
	v_mov_b32_e32 v4, 0
	s_add_co_i32 s4, s4, s3
	s_wait_kmcnt 0x0
	s_and_b32 s2, s2, 0xffff
	s_cmp_eq_u32 s5, 0
	s_cselect_b32 s3, ttmp9, s4
	s_delay_alu instid0(SALU_CYCLE_1) | instskip(SKIP_2) | instid1(VALU_DEP_1)
	v_mad_u32 v0, s3, s2, v0
	s_mov_b32 s3, 0
	s_mov_b32 s2, exec_lo
	v_ashrrev_i32_e32 v1, 31, v0
	s_delay_alu instid0(VALU_DEP_1) | instskip(NEXT) | instid1(VALU_DEP_1)
	v_or_b32_e32 v5, s21, v1
	v_cmpx_ne_u64_e32 0, v[4:5]
	s_xor_b32 s8, exec_lo, s2
	s_cbranch_execz .LBB108_2
; %bb.1:
	s_ashr_i32 s4, s21, 31
	v_dual_mov_b32 v9, v4 :: v_dual_ashrrev_i32 v2, 31, v1
	s_mov_b32 s5, s4
	v_mov_b32_e32 v11, v4
	s_add_nc_u64 s[6:7], s[20:21], s[4:5]
	s_delay_alu instid0(VALU_DEP_2)
	v_mov_b32_e32 v3, v2
	s_xor_b64 s[6:7], s[6:7], s[4:5]
	v_mov_b32_e32 v17, v4
	s_cvt_f32_u32 s2, s6
	s_cvt_f32_u32 s5, s7
	s_sub_nc_u64 s[12:13], 0, s[6:7]
	v_add_nc_u64_e32 v[6:7], v[0:1], v[2:3]
	v_mov_b32_e32 v5, v4
	s_fmamk_f32 s2, s5, 0x4f800000, s2
	s_delay_alu instid0(SALU_CYCLE_3) | instskip(NEXT) | instid1(VALU_DEP_2)
	v_s_rcp_f32 s2, s2
	v_xor_b32_e32 v8, v6, v2
	s_delay_alu instid0(VALU_DEP_3) | instskip(SKIP_1) | instid1(TRANS32_DEP_1)
	v_xor_b32_e32 v10, v7, v2
	v_xor_b32_e32 v2, s4, v2
	s_mul_f32 s2, s2, 0x5f7ffffc
	s_delay_alu instid0(SALU_CYCLE_3) | instskip(NEXT) | instid1(SALU_CYCLE_3)
	s_mul_f32 s5, s2, 0x2f800000
	s_trunc_f32 s5, s5
	s_delay_alu instid0(SALU_CYCLE_3) | instskip(SKIP_1) | instid1(SALU_CYCLE_2)
	s_fmamk_f32 s2, s5, 0xcf800000, s2
	s_cvt_u32_f32 s11, s5
	s_cvt_u32_f32 s10, s2
	s_delay_alu instid0(SALU_CYCLE_3) | instskip(NEXT) | instid1(SALU_CYCLE_1)
	s_mul_u64 s[14:15], s[12:13], s[10:11]
	s_mul_hi_u32 s17, s10, s15
	s_mul_i32 s16, s10, s15
	s_mul_hi_u32 s2, s10, s14
	s_mul_i32 s9, s11, s14
	s_add_nc_u64 s[16:17], s[2:3], s[16:17]
	s_mul_hi_u32 s5, s11, s14
	s_mul_hi_u32 s18, s11, s15
	s_add_co_u32 s2, s16, s9
	s_add_co_ci_u32 s2, s17, s5
	s_mul_i32 s14, s11, s15
	s_add_co_ci_u32 s15, s18, 0
	s_delay_alu instid0(SALU_CYCLE_1) | instskip(NEXT) | instid1(SALU_CYCLE_1)
	s_add_nc_u64 s[14:15], s[2:3], s[14:15]
	s_add_co_u32 s10, s10, s14
	s_cselect_b32 s2, -1, 0
	s_delay_alu instid0(SALU_CYCLE_1) | instskip(SKIP_1) | instid1(SALU_CYCLE_1)
	s_cmp_lg_u32 s2, 0
	s_add_co_ci_u32 s11, s11, s15
	s_mul_u64 s[12:13], s[12:13], s[10:11]
	s_delay_alu instid0(SALU_CYCLE_1)
	s_mul_hi_u32 s15, s10, s13
	s_mul_i32 s14, s10, s13
	s_mul_hi_u32 s2, s10, s12
	s_mul_i32 s9, s11, s12
	s_add_nc_u64 s[14:15], s[2:3], s[14:15]
	s_mul_hi_u32 s5, s11, s12
	s_mul_hi_u32 s16, s11, s13
	s_add_co_u32 s2, s14, s9
	s_add_co_ci_u32 s2, s15, s5
	s_mul_i32 s12, s11, s13
	s_add_co_ci_u32 s13, s16, 0
	s_delay_alu instid0(SALU_CYCLE_1) | instskip(NEXT) | instid1(SALU_CYCLE_1)
	s_add_nc_u64 s[12:13], s[2:3], s[12:13]
	s_add_co_u32 s10, s10, s12
	s_cselect_b32 s2, -1, 0
	v_mul_hi_u32 v16, v8, s10
	s_cmp_lg_u32 s2, 0
	s_add_co_ci_u32 s2, s11, s13
	s_mov_b64 s[12:13], 0xffffffff
	v_mul_u64_e32 v[12:13], s[2:3], v[8:9]
	s_and_b64 s[12:13], s[10:11], s[12:13]
	v_mul_u64_e32 v[14:15], s[2:3], v[10:11]
	v_mul_u64_e32 v[6:7], s[12:13], v[10:11]
	s_delay_alu instid0(VALU_DEP_3) | instskip(NEXT) | instid1(VALU_DEP_1)
	v_add_nc_u64_e32 v[12:13], v[16:17], v[12:13]
	v_add_co_u32 v3, vcc_lo, v12, v6
	s_delay_alu instid0(VALU_DEP_2) | instskip(SKIP_1) | instid1(VALU_DEP_1)
	v_add_co_ci_u32_e32 v4, vcc_lo, v13, v7, vcc_lo
	v_add_co_ci_u32_e32 v15, vcc_lo, 0, v15, vcc_lo
	v_add_nc_u64_e32 v[4:5], v[4:5], v[14:15]
	s_delay_alu instid0(VALU_DEP_1) | instskip(NEXT) | instid1(VALU_DEP_1)
	v_mul_u64_e32 v[6:7], s[6:7], v[4:5]
	v_sub_nc_u32_e32 v3, v10, v7
	s_delay_alu instid0(VALU_DEP_2) | instskip(NEXT) | instid1(VALU_DEP_1)
	v_sub_co_u32 v6, vcc_lo, v8, v6
	v_sub_co_ci_u32_e64 v10, null, v10, v7, vcc_lo
	s_delay_alu instid0(VALU_DEP_3) | instskip(NEXT) | instid1(VALU_DEP_3)
	v_subrev_co_ci_u32_e64 v3, null, s7, v3, vcc_lo
	v_sub_co_u32 v8, s2, v6, s6
	s_delay_alu instid0(VALU_DEP_1) | instskip(NEXT) | instid1(VALU_DEP_2)
	v_subrev_co_ci_u32_e64 v3, null, 0, v3, s2
	v_cmp_le_u32_e32 vcc_lo, s6, v8
	v_cndmask_b32_e64 v7, 0, -1, vcc_lo
	s_delay_alu instid0(VALU_DEP_3)
	v_cmp_le_u32_e32 vcc_lo, s7, v3
	v_cndmask_b32_e64 v8, 0, -1, vcc_lo
	v_cmp_le_u32_e32 vcc_lo, s6, v6
	v_cndmask_b32_e64 v11, 0, -1, vcc_lo
	;; [unrolled: 2-line block ×3, first 2 shown]
	v_cmp_eq_u32_e32 vcc_lo, s7, v3
	v_cndmask_b32_e32 v3, v8, v7, vcc_lo
	v_cmp_eq_u32_e32 vcc_lo, s7, v10
	v_add_nc_u64_e32 v[6:7], 2, v[4:5]
	v_add_nc_u64_e32 v[8:9], 1, v[4:5]
	v_cndmask_b32_e32 v10, v12, v11, vcc_lo
	v_cmp_ne_u32_e32 vcc_lo, 0, v3
	s_delay_alu instid0(VALU_DEP_2) | instskip(NEXT) | instid1(VALU_DEP_4)
	v_cmp_ne_u32_e64 s2, 0, v10
	v_dual_cndmask_b32 v6, v8, v6 :: v_dual_cndmask_b32 v3, v9, v7
	s_delay_alu instid0(VALU_DEP_1) | instskip(NEXT) | instid1(VALU_DEP_1)
	v_dual_cndmask_b32 v4, v4, v6, s2 :: v_dual_cndmask_b32 v5, v5, v3, s2
	v_dual_mov_b32 v3, v2 :: v_dual_bitop2_b32 v4, v4, v2 bitop3:0x14
	s_delay_alu instid0(VALU_DEP_2) | instskip(NEXT) | instid1(VALU_DEP_1)
	v_xor_b32_e32 v5, v5, v2
	v_sub_nc_u64_e32 v[2:3], v[4:5], v[2:3]
.LBB108_2:
	s_or_saveexec_b32 s2, s8
	s_load_b512 s[4:19], s[0:1], 0x0
	s_xor_b32 exec_lo, exec_lo, s2
	s_cbranch_execz .LBB108_4
; %bb.3:
	v_cvt_f32_u32_e32 v2, s20
	s_sub_co_i32 s3, 0, s20
	s_delay_alu instid0(VALU_DEP_1) | instskip(SKIP_1) | instid1(TRANS32_DEP_1)
	v_rcp_iflag_f32_e32 v2, v2
	v_nop
	v_mul_f32_e32 v2, 0x4f7ffffe, v2
	s_delay_alu instid0(VALU_DEP_1) | instskip(NEXT) | instid1(VALU_DEP_1)
	v_cvt_u32_f32_e32 v2, v2
	v_mul_lo_u32 v3, s3, v2
	s_delay_alu instid0(VALU_DEP_1) | instskip(NEXT) | instid1(VALU_DEP_1)
	v_mul_hi_u32 v3, v2, v3
	v_add_nc_u32_e32 v2, v2, v3
	s_delay_alu instid0(VALU_DEP_1) | instskip(NEXT) | instid1(VALU_DEP_1)
	v_mul_hi_u32 v2, v0, v2
	v_mul_lo_u32 v3, v2, s20
	s_delay_alu instid0(VALU_DEP_1) | instskip(NEXT) | instid1(VALU_DEP_1)
	v_dual_add_nc_u32 v4, 1, v2 :: v_dual_sub_nc_u32 v3, v0, v3
	v_subrev_nc_u32_e32 v5, s20, v3
	v_cmp_le_u32_e32 vcc_lo, s20, v3
	s_delay_alu instid0(VALU_DEP_2) | instskip(NEXT) | instid1(VALU_DEP_1)
	v_dual_cndmask_b32 v3, v3, v5 :: v_dual_cndmask_b32 v2, v2, v4
	v_cmp_le_u32_e32 vcc_lo, s20, v3
	s_delay_alu instid0(VALU_DEP_2) | instskip(NEXT) | instid1(VALU_DEP_1)
	v_dual_mov_b32 v3, 0 :: v_dual_add_nc_u32 v4, 1, v2
	v_cndmask_b32_e32 v2, v2, v4, vcc_lo
.LBB108_4:
	s_or_b32 exec_lo, exec_lo, s2
	s_delay_alu instid0(VALU_DEP_1) | instskip(SKIP_1) | instid1(VALU_DEP_1)
	v_mul_u64_e32 v[4:5], s[20:21], v[2:3]
	s_mov_b32 s2, exec_lo
	v_sub_nc_u64_e32 v[0:1], v[0:1], v[4:5]
	s_wait_kmcnt 0x0
	s_delay_alu instid0(VALU_DEP_1)
	v_cmpx_gt_i64_e64 s[12:13], v[0:1]
	s_cbranch_execz .LBB108_17
; %bb.5:
	s_load_b64 s[2:3], s[16:17], 0x0
	v_ashrrev_i32_e32 v3, 31, v2
	s_wait_kmcnt 0x0
	s_delay_alu instid0(VALU_DEP_1)
	v_cmp_gt_i64_e32 vcc_lo, s[2:3], v[2:3]
	s_and_b32 exec_lo, exec_lo, vcc_lo
	s_cbranch_execz .LBB108_17
; %bb.6:
	v_lshl_add_u64 v[4:5], v[2:3], 3, s[14:15]
	s_load_b256 s[20:27], s[0:1], 0x40
	s_wait_xcnt 0x0
	s_add_nc_u64 s[0:1], s[2:3], -1
	v_mov_b64_e32 v[6:7], s[10:11]
	v_cmp_ne_u64_e32 vcc_lo, s[0:1], v[2:3]
	global_load_b64 v[4:5], v[4:5], off
	s_wait_xcnt 0x0
	s_and_saveexec_b32 s0, vcc_lo
	s_cbranch_execz .LBB108_8
; %bb.7:
	v_dual_mov_b32 v6, 0 :: v_dual_add_nc_u32 v7, 1, v2
	s_delay_alu instid0(VALU_DEP_1) | instskip(NEXT) | instid1(VALU_DEP_1)
	v_ashrrev_i64 v[6:7], 29, v[6:7]
	v_add_nc_u64_e32 v[6:7], s[14:15], v[6:7]
	global_load_b64 v[6:7], v[6:7], off
.LBB108_8:
	s_wait_xcnt 0x0
	s_or_b32 exec_lo, exec_lo, s0
	v_mov_b32_e32 v16, 0
	s_mov_b32 s0, exec_lo
	s_wait_loadcnt 0x0
	v_cmpx_lt_i64_e64 v[4:5], v[6:7]
	s_cbranch_execz .LBB108_15
; %bb.9:
	v_lshlrev_b64_e32 v[12:13], 3, v[4:5]
	v_lshl_add_u64 v[8:9], v[0:1], 1, s[6:7]
	v_mov_b32_e32 v16, 0
	s_cmp_lg_u64 s[8:9], 0
	s_mov_b32 s2, 0
	s_cselect_b32 s1, -1, 0
	s_delay_alu instid0(VALU_DEP_3)
	v_add_nc_u64_e32 v[10:11], s[8:9], v[12:13]
	v_add_nc_u64_e32 v[12:13], s[4:5], v[12:13]
	s_branch .LBB108_12
.LBB108_10:                             ;   in Loop: Header=BB108_12 Depth=1
	global_load_b64 v[18:19], v[10:11], off
	s_wait_loadcnt 0x0
	v_xor_b32_e32 v17, v18, v19
	v_cls_i32_e32 v20, v19
	s_delay_alu instid0(VALU_DEP_2) | instskip(NEXT) | instid1(VALU_DEP_1)
	v_ashrrev_i32_e32 v17, 31, v17
	v_add_nc_u32_e32 v17, 32, v17
	s_delay_alu instid0(VALU_DEP_1) | instskip(NEXT) | instid1(VALU_DEP_1)
	v_add_min_u32_e64 v17, v20, -1, v17
	v_lshlrev_b64_e32 v[18:19], v17, v[18:19]
	v_sub_nc_u32_e32 v17, 32, v17
	s_delay_alu instid0(VALU_DEP_2) | instskip(NEXT) | instid1(VALU_DEP_1)
	v_min_u32_e32 v18, 1, v18
	v_or_b32_e32 v18, v19, v18
	s_delay_alu instid0(VALU_DEP_1) | instskip(NEXT) | instid1(VALU_DEP_1)
	v_cvt_f32_i32_e32 v18, v18
	v_ldexp_f32 v17, v18, v17
	s_delay_alu instid0(VALU_DEP_1) | instskip(NEXT) | instid1(VALU_DEP_1)
	v_div_scale_f32 v18, null, v17, v17, 1.0
	v_rcp_f32_e32 v19, v18
	v_nop
	s_delay_alu instid0(TRANS32_DEP_1) | instskip(NEXT) | instid1(VALU_DEP_1)
	v_fma_f32 v20, -v18, v19, 1.0
	v_fmac_f32_e32 v19, v20, v19
	v_div_scale_f32 v20, vcc_lo, 1.0, v17, 1.0
	s_delay_alu instid0(VALU_DEP_1) | instskip(NEXT) | instid1(VALU_DEP_1)
	v_mul_f32_e32 v21, v20, v19
	v_fma_f32 v22, -v18, v21, v20
	s_delay_alu instid0(VALU_DEP_1) | instskip(NEXT) | instid1(VALU_DEP_1)
	v_fmac_f32_e32 v21, v22, v19
	v_fma_f32 v18, -v18, v21, v20
	s_delay_alu instid0(VALU_DEP_1) | instskip(NEXT) | instid1(VALU_DEP_1)
	v_div_fmas_f32 v18, v18, v19, v21
	v_div_fixup_f32 v17, v18, v17, 1.0
.LBB108_11:                             ;   in Loop: Header=BB108_12 Depth=1
	s_wait_loadcnt 0x0
	v_mul_u64_e32 v[14:15], s[12:13], v[14:15]
	v_add_nc_u64_e32 v[4:5], 1, v[4:5]
	v_add_nc_u64_e32 v[10:11], 8, v[10:11]
	;; [unrolled: 1-line block ×3, first 2 shown]
	s_delay_alu instid0(VALU_DEP_3)
	v_cmp_ge_i64_e32 vcc_lo, v[4:5], v[6:7]
	s_or_b32 s2, vcc_lo, s2
	v_lshl_add_u64 v[14:15], v[14:15], 1, v[8:9]
	global_load_u16 v14, v[14:15], off
	s_wait_loadcnt 0x0
	v_fma_mix_f32 v16, v17, v14, v16 op_sel_hi:[0,1,0]
	s_and_not1_b32 exec_lo, exec_lo, s2
	s_cbranch_execz .LBB108_14
.LBB108_12:                             ; =>This Inner Loop Header: Depth=1
	global_load_b64 v[14:15], v[12:13], off
	s_and_not1_b32 vcc_lo, exec_lo, s1
	s_cbranch_vccz .LBB108_10
; %bb.13:                               ;   in Loop: Header=BB108_12 Depth=1
	v_mov_b32_e32 v17, 1.0
	s_branch .LBB108_11
.LBB108_14:
	s_or_b32 exec_lo, exec_lo, s2
.LBB108_15:
	s_delay_alu instid0(SALU_CYCLE_1)
	s_or_b32 exec_lo, exec_lo, s0
	s_wait_kmcnt 0x0
	v_lshl_add_u64 v[2:3], v[2:3], 3, s[20:21]
	global_load_b64 v[2:3], v[2:3], off
	s_wait_loadcnt 0x0
	v_lshl_add_u64 v[2:3], v[2:3], 3, s[22:23]
	global_load_b64 v[2:3], v[2:3], off
	s_wait_loadcnt 0x0
	v_lshl_add_u64 v[2:3], v[2:3], 3, s[18:19]
	global_load_b64 v[2:3], v[2:3], off
	s_wait_loadcnt 0x0
	v_cmp_ne_u64_e32 vcc_lo, s[26:27], v[2:3]
	s_and_b32 exec_lo, exec_lo, vcc_lo
	s_cbranch_execz .LBB108_17
; %bb.16:
	v_mul_u64_e32 v[2:3], s[12:13], v[2:3]
	s_delay_alu instid0(VALU_DEP_1) | instskip(NEXT) | instid1(VALU_DEP_1)
	v_lshl_add_u64 v[2:3], v[2:3], 2, s[24:25]
	v_lshl_add_u64 v[0:1], v[0:1], 2, v[2:3]
	global_atomic_add_f32 v[0:1], v16, off scope:SCOPE_DEV
.LBB108_17:
	s_endpgm
	.section	.rodata,"a",@progbits
	.p2align	6, 0x0
	.amdhsa_kernel _ZN2at6native12_GLOBAL__N_137compute_grad_weight_atomic_accumulateIN3c104HalfEflEEvPKT1_PKT_S7_llS7_PKlS7_S7_S7_PT0_ll
		.amdhsa_group_segment_fixed_size 0
		.amdhsa_private_segment_fixed_size 0
		.amdhsa_kernarg_size 360
		.amdhsa_user_sgpr_count 2
		.amdhsa_user_sgpr_dispatch_ptr 0
		.amdhsa_user_sgpr_queue_ptr 0
		.amdhsa_user_sgpr_kernarg_segment_ptr 1
		.amdhsa_user_sgpr_dispatch_id 0
		.amdhsa_user_sgpr_kernarg_preload_length 0
		.amdhsa_user_sgpr_kernarg_preload_offset 0
		.amdhsa_user_sgpr_private_segment_size 0
		.amdhsa_wavefront_size32 1
		.amdhsa_uses_dynamic_stack 0
		.amdhsa_enable_private_segment 0
		.amdhsa_system_sgpr_workgroup_id_x 1
		.amdhsa_system_sgpr_workgroup_id_y 0
		.amdhsa_system_sgpr_workgroup_id_z 0
		.amdhsa_system_sgpr_workgroup_info 0
		.amdhsa_system_vgpr_workitem_id 0
		.amdhsa_next_free_vgpr 23
		.amdhsa_next_free_sgpr 28
		.amdhsa_named_barrier_count 0
		.amdhsa_reserve_vcc 1
		.amdhsa_float_round_mode_32 0
		.amdhsa_float_round_mode_16_64 0
		.amdhsa_float_denorm_mode_32 3
		.amdhsa_float_denorm_mode_16_64 3
		.amdhsa_fp16_overflow 0
		.amdhsa_memory_ordered 1
		.amdhsa_forward_progress 1
		.amdhsa_inst_pref_size 12
		.amdhsa_round_robin_scheduling 0
		.amdhsa_exception_fp_ieee_invalid_op 0
		.amdhsa_exception_fp_denorm_src 0
		.amdhsa_exception_fp_ieee_div_zero 0
		.amdhsa_exception_fp_ieee_overflow 0
		.amdhsa_exception_fp_ieee_underflow 0
		.amdhsa_exception_fp_ieee_inexact 0
		.amdhsa_exception_int_div_zero 0
	.end_amdhsa_kernel
	.section	.text._ZN2at6native12_GLOBAL__N_137compute_grad_weight_atomic_accumulateIN3c104HalfEflEEvPKT1_PKT_S7_llS7_PKlS7_S7_S7_PT0_ll,"axG",@progbits,_ZN2at6native12_GLOBAL__N_137compute_grad_weight_atomic_accumulateIN3c104HalfEflEEvPKT1_PKT_S7_llS7_PKlS7_S7_S7_PT0_ll,comdat
.Lfunc_end108:
	.size	_ZN2at6native12_GLOBAL__N_137compute_grad_weight_atomic_accumulateIN3c104HalfEflEEvPKT1_PKT_S7_llS7_PKlS7_S7_S7_PT0_ll, .Lfunc_end108-_ZN2at6native12_GLOBAL__N_137compute_grad_weight_atomic_accumulateIN3c104HalfEflEEvPKT1_PKT_S7_llS7_PKlS7_S7_S7_PT0_ll
                                        ; -- End function
	.set _ZN2at6native12_GLOBAL__N_137compute_grad_weight_atomic_accumulateIN3c104HalfEflEEvPKT1_PKT_S7_llS7_PKlS7_S7_S7_PT0_ll.num_vgpr, 23
	.set _ZN2at6native12_GLOBAL__N_137compute_grad_weight_atomic_accumulateIN3c104HalfEflEEvPKT1_PKT_S7_llS7_PKlS7_S7_S7_PT0_ll.num_agpr, 0
	.set _ZN2at6native12_GLOBAL__N_137compute_grad_weight_atomic_accumulateIN3c104HalfEflEEvPKT1_PKT_S7_llS7_PKlS7_S7_S7_PT0_ll.numbered_sgpr, 28
	.set _ZN2at6native12_GLOBAL__N_137compute_grad_weight_atomic_accumulateIN3c104HalfEflEEvPKT1_PKT_S7_llS7_PKlS7_S7_S7_PT0_ll.num_named_barrier, 0
	.set _ZN2at6native12_GLOBAL__N_137compute_grad_weight_atomic_accumulateIN3c104HalfEflEEvPKT1_PKT_S7_llS7_PKlS7_S7_S7_PT0_ll.private_seg_size, 0
	.set _ZN2at6native12_GLOBAL__N_137compute_grad_weight_atomic_accumulateIN3c104HalfEflEEvPKT1_PKT_S7_llS7_PKlS7_S7_S7_PT0_ll.uses_vcc, 1
	.set _ZN2at6native12_GLOBAL__N_137compute_grad_weight_atomic_accumulateIN3c104HalfEflEEvPKT1_PKT_S7_llS7_PKlS7_S7_S7_PT0_ll.uses_flat_scratch, 0
	.set _ZN2at6native12_GLOBAL__N_137compute_grad_weight_atomic_accumulateIN3c104HalfEflEEvPKT1_PKT_S7_llS7_PKlS7_S7_S7_PT0_ll.has_dyn_sized_stack, 0
	.set _ZN2at6native12_GLOBAL__N_137compute_grad_weight_atomic_accumulateIN3c104HalfEflEEvPKT1_PKT_S7_llS7_PKlS7_S7_S7_PT0_ll.has_recursion, 0
	.set _ZN2at6native12_GLOBAL__N_137compute_grad_weight_atomic_accumulateIN3c104HalfEflEEvPKT1_PKT_S7_llS7_PKlS7_S7_S7_PT0_ll.has_indirect_call, 0
	.section	.AMDGPU.csdata,"",@progbits
; Kernel info:
; codeLenInByte = 1496
; TotalNumSgprs: 30
; NumVgprs: 23
; ScratchSize: 0
; MemoryBound: 0
; FloatMode: 240
; IeeeMode: 1
; LDSByteSize: 0 bytes/workgroup (compile time only)
; SGPRBlocks: 0
; VGPRBlocks: 1
; NumSGPRsForWavesPerEU: 30
; NumVGPRsForWavesPerEU: 23
; NamedBarCnt: 0
; Occupancy: 16
; WaveLimiterHint : 1
; COMPUTE_PGM_RSRC2:SCRATCH_EN: 0
; COMPUTE_PGM_RSRC2:USER_SGPR: 2
; COMPUTE_PGM_RSRC2:TRAP_HANDLER: 0
; COMPUTE_PGM_RSRC2:TGID_X_EN: 1
; COMPUTE_PGM_RSRC2:TGID_Y_EN: 0
; COMPUTE_PGM_RSRC2:TGID_Z_EN: 0
; COMPUTE_PGM_RSRC2:TIDIG_COMP_CNT: 0
	.section	.text._ZN2at6native12_GLOBAL__N_124compute_grad_weight_bagsIN3c104HalfElEEvPKT0_PKT_S7_S7_lliS7_SA_lS7_PKlPNS_14AccumulateTypeIS8_Lb1EE4typeEl,"axG",@progbits,_ZN2at6native12_GLOBAL__N_124compute_grad_weight_bagsIN3c104HalfElEEvPKT0_PKT_S7_S7_lliS7_SA_lS7_PKlPNS_14AccumulateTypeIS8_Lb1EE4typeEl,comdat
	.globl	_ZN2at6native12_GLOBAL__N_124compute_grad_weight_bagsIN3c104HalfElEEvPKT0_PKT_S7_S7_lliS7_SA_lS7_PKlPNS_14AccumulateTypeIS8_Lb1EE4typeEl ; -- Begin function _ZN2at6native12_GLOBAL__N_124compute_grad_weight_bagsIN3c104HalfElEEvPKT0_PKT_S7_S7_lliS7_SA_lS7_PKlPNS_14AccumulateTypeIS8_Lb1EE4typeEl
	.p2align	8
	.type	_ZN2at6native12_GLOBAL__N_124compute_grad_weight_bagsIN3c104HalfElEEvPKT0_PKT_S7_S7_lliS7_SA_lS7_PKlPNS_14AccumulateTypeIS8_Lb1EE4typeEl,@function
_ZN2at6native12_GLOBAL__N_124compute_grad_weight_bagsIN3c104HalfElEEvPKT0_PKT_S7_S7_lliS7_SA_lS7_PKlPNS_14AccumulateTypeIS8_Lb1EE4typeEl: ; @_ZN2at6native12_GLOBAL__N_124compute_grad_weight_bagsIN3c104HalfElEEvPKT0_PKT_S7_S7_lliS7_SA_lS7_PKlPNS_14AccumulateTypeIS8_Lb1EE4typeEl
; %bb.0:
	s_load_b32 s2, s[0:1], 0x7c
	s_bfe_u32 s3, ttmp6, 0x4000c
	s_clause 0x1
	s_load_b64 s[4:5], s[0:1], 0x68
	s_load_b128 s[20:23], s[0:1], 0x58
	s_add_co_i32 s3, s3, 1
	s_and_b32 s6, ttmp6, 15
	s_mul_i32 s3, ttmp9, s3
	s_getreg_b32 s7, hwreg(HW_REG_IB_STS2, 6, 4)
	v_mov_b32_e32 v1, 0
	s_add_co_i32 s6, s6, s3
	s_wait_kmcnt 0x0
	s_and_b32 s2, s2, 0xffff
	s_cmp_eq_u32 s7, 0
	s_cselect_b32 s3, ttmp9, s6
	s_delay_alu instid0(SALU_CYCLE_1) | instskip(SKIP_1) | instid1(VALU_DEP_1)
	v_mad_nc_u64_u32 v[4:5], s2, s3, v[0:1]
	s_mov_b32 s3, 0
	v_dual_mov_b32 v2, v1 :: v_dual_bitop2_b32 v3, s5, v5 bitop3:0x54
	s_delay_alu instid0(VALU_DEP_1) | instskip(SKIP_1) | instid1(SALU_CYCLE_1)
	v_cmp_ne_u64_e32 vcc_lo, 0, v[2:3]
                                        ; implicit-def: $vgpr2_vgpr3
	s_and_saveexec_b32 s2, vcc_lo
	s_xor_b32 s10, exec_lo, s2
	s_cbranch_execz .LBB109_2
; %bb.1:
	s_ashr_i32 s6, s5, 31
	v_dual_mov_b32 v9, v1 :: v_dual_ashrrev_i32 v2, 31, v5
	s_mov_b32 s7, s6
	v_mov_b32_e32 v15, v1
	s_add_nc_u64 s[8:9], s[4:5], s[6:7]
	s_delay_alu instid0(VALU_DEP_2) | instskip(SKIP_1) | instid1(SALU_CYCLE_1)
	v_mov_b32_e32 v3, v2
	s_xor_b64 s[8:9], s[8:9], s[6:7]
	s_cvt_f32_u32 s2, s8
	s_cvt_f32_u32 s7, s9
	s_sub_nc_u64 s[14:15], 0, s[8:9]
	v_add_nc_u64_e32 v[6:7], v[4:5], v[2:3]
	s_delay_alu instid0(SALU_CYCLE_1) | instskip(NEXT) | instid1(SALU_CYCLE_3)
	s_fmamk_f32 s2, s7, 0x4f800000, s2
	v_s_rcp_f32 s2, s2
	s_delay_alu instid0(VALU_DEP_1) | instskip(NEXT) | instid1(VALU_DEP_2)
	v_xor_b32_e32 v0, v6, v2
	v_xor_b32_e32 v8, v7, v2
	s_delay_alu instid0(TRANS32_DEP_1) | instskip(NEXT) | instid1(SALU_CYCLE_3)
	s_mul_f32 s2, s2, 0x5f7ffffc
	s_mul_f32 s7, s2, 0x2f800000
	s_delay_alu instid0(SALU_CYCLE_3) | instskip(NEXT) | instid1(SALU_CYCLE_3)
	s_trunc_f32 s7, s7
	s_fmamk_f32 s2, s7, 0xcf800000, s2
	s_cvt_u32_f32 s13, s7
	s_delay_alu instid0(SALU_CYCLE_2) | instskip(NEXT) | instid1(SALU_CYCLE_3)
	s_cvt_u32_f32 s12, s2
	s_mul_u64 s[16:17], s[14:15], s[12:13]
	s_delay_alu instid0(SALU_CYCLE_1)
	s_mul_hi_u32 s19, s12, s17
	s_mul_i32 s18, s12, s17
	s_mul_hi_u32 s2, s12, s16
	s_mul_i32 s11, s13, s16
	s_add_nc_u64 s[18:19], s[2:3], s[18:19]
	s_mul_hi_u32 s7, s13, s16
	s_mul_hi_u32 s24, s13, s17
	s_add_co_u32 s2, s18, s11
	s_add_co_ci_u32 s2, s19, s7
	s_mul_i32 s16, s13, s17
	s_add_co_ci_u32 s17, s24, 0
	s_delay_alu instid0(SALU_CYCLE_1) | instskip(NEXT) | instid1(SALU_CYCLE_1)
	s_add_nc_u64 s[16:17], s[2:3], s[16:17]
	s_add_co_u32 s12, s12, s16
	s_cselect_b32 s2, -1, 0
	s_delay_alu instid0(SALU_CYCLE_1) | instskip(SKIP_1) | instid1(SALU_CYCLE_1)
	s_cmp_lg_u32 s2, 0
	s_add_co_ci_u32 s13, s13, s17
	s_mul_u64 s[14:15], s[14:15], s[12:13]
	s_delay_alu instid0(SALU_CYCLE_1)
	s_mul_hi_u32 s17, s12, s15
	s_mul_i32 s16, s12, s15
	s_mul_hi_u32 s2, s12, s14
	s_mul_i32 s11, s13, s14
	s_add_nc_u64 s[16:17], s[2:3], s[16:17]
	s_mul_hi_u32 s7, s13, s14
	s_mul_hi_u32 s18, s13, s15
	s_add_co_u32 s2, s16, s11
	s_add_co_ci_u32 s2, s17, s7
	s_mul_i32 s14, s13, s15
	s_add_co_ci_u32 s15, s18, 0
	s_delay_alu instid0(SALU_CYCLE_1) | instskip(NEXT) | instid1(SALU_CYCLE_1)
	s_add_nc_u64 s[14:15], s[2:3], s[14:15]
	s_add_co_u32 s12, s12, s14
	s_cselect_b32 s2, -1, 0
	v_mul_hi_u32 v14, v0, s12
	s_cmp_lg_u32 s2, 0
	s_add_co_ci_u32 s2, s13, s15
	s_mov_b64 s[14:15], 0xffffffff
	v_mul_u64_e32 v[10:11], s[2:3], v[0:1]
	s_and_b64 s[14:15], s[12:13], s[14:15]
	v_mul_u64_e32 v[12:13], s[2:3], v[8:9]
	v_mul_u64_e32 v[6:7], s[14:15], v[8:9]
	s_delay_alu instid0(VALU_DEP_3) | instskip(NEXT) | instid1(VALU_DEP_1)
	v_add_nc_u64_e32 v[10:11], v[14:15], v[10:11]
	v_add_co_u32 v1, vcc_lo, v10, v6
	s_delay_alu instid0(VALU_DEP_2) | instskip(SKIP_1) | instid1(VALU_DEP_1)
	v_add_co_ci_u32_e32 v14, vcc_lo, v11, v7, vcc_lo
	v_add_co_ci_u32_e32 v13, vcc_lo, 0, v13, vcc_lo
	v_add_nc_u64_e32 v[6:7], v[14:15], v[12:13]
	s_delay_alu instid0(VALU_DEP_1) | instskip(NEXT) | instid1(VALU_DEP_1)
	v_mul_u64_e32 v[10:11], s[8:9], v[6:7]
	v_sub_nc_u32_e32 v1, v8, v11
	s_delay_alu instid0(VALU_DEP_2) | instskip(NEXT) | instid1(VALU_DEP_1)
	v_sub_co_u32 v0, vcc_lo, v0, v10
	v_sub_co_ci_u32_e64 v10, null, v8, v11, vcc_lo
	s_delay_alu instid0(VALU_DEP_3) | instskip(NEXT) | instid1(VALU_DEP_3)
	v_subrev_co_ci_u32_e64 v1, null, s9, v1, vcc_lo
	v_sub_co_u32 v3, s2, v0, s8
	s_delay_alu instid0(VALU_DEP_1) | instskip(NEXT) | instid1(VALU_DEP_2)
	v_subrev_co_ci_u32_e64 v1, null, 0, v1, s2
	v_cmp_le_u32_e32 vcc_lo, s8, v3
	v_cndmask_b32_e64 v3, 0, -1, vcc_lo
	s_delay_alu instid0(VALU_DEP_3)
	v_cmp_le_u32_e32 vcc_lo, s9, v1
	v_cndmask_b32_e64 v8, 0, -1, vcc_lo
	v_cmp_le_u32_e32 vcc_lo, s8, v0
	v_cndmask_b32_e64 v11, 0, -1, vcc_lo
	;; [unrolled: 2-line block ×3, first 2 shown]
	v_cmp_eq_u32_e32 vcc_lo, s9, v1
	v_add_nc_u64_e32 v[0:1], 2, v[6:7]
	v_cndmask_b32_e32 v3, v8, v3, vcc_lo
	v_cmp_eq_u32_e32 vcc_lo, s9, v10
	v_add_nc_u64_e32 v[8:9], 1, v[6:7]
	v_cndmask_b32_e32 v10, v12, v11, vcc_lo
	s_delay_alu instid0(VALU_DEP_4) | instskip(NEXT) | instid1(VALU_DEP_3)
	v_cmp_ne_u32_e32 vcc_lo, 0, v3
	v_dual_cndmask_b32 v1, v9, v1, vcc_lo :: v_dual_cndmask_b32 v3, v8, v0, vcc_lo
	v_xor_b32_e32 v0, s6, v2
	s_delay_alu instid0(VALU_DEP_4) | instskip(NEXT) | instid1(VALU_DEP_1)
	v_cmp_ne_u32_e64 s2, 0, v10
	v_dual_cndmask_b32 v2, v7, v1, s2 :: v_dual_cndmask_b32 v6, v6, v3, s2
	s_delay_alu instid0(VALU_DEP_1) | instskip(NEXT) | instid1(VALU_DEP_2)
	v_dual_mov_b32 v1, v0 :: v_dual_bitop2_b32 v3, v2, v0 bitop3:0x14
	v_xor_b32_e32 v2, v6, v0
	s_delay_alu instid0(VALU_DEP_1)
	v_sub_nc_u64_e32 v[2:3], v[2:3], v[0:1]
.LBB109_2:
	s_or_saveexec_b32 s2, s10
	s_load_b64 s[20:21], s[20:21], 0x0
	s_xor_b32 exec_lo, exec_lo, s2
	s_cbranch_execz .LBB109_4
; %bb.3:
	v_cvt_f32_u32_e32 v0, s4
	s_sub_co_i32 s3, 0, s4
	s_delay_alu instid0(VALU_DEP_1) | instskip(SKIP_1) | instid1(TRANS32_DEP_1)
	v_rcp_iflag_f32_e32 v0, v0
	v_nop
	v_mul_f32_e32 v0, 0x4f7ffffe, v0
	s_delay_alu instid0(VALU_DEP_1) | instskip(NEXT) | instid1(VALU_DEP_1)
	v_cvt_u32_f32_e32 v0, v0
	v_mul_lo_u32 v1, s3, v0
	s_delay_alu instid0(VALU_DEP_1) | instskip(NEXT) | instid1(VALU_DEP_1)
	v_mul_hi_u32 v1, v0, v1
	v_add_nc_u32_e32 v0, v0, v1
	s_delay_alu instid0(VALU_DEP_1) | instskip(NEXT) | instid1(VALU_DEP_1)
	v_mul_hi_u32 v0, v4, v0
	v_mul_lo_u32 v1, v0, s4
	s_delay_alu instid0(VALU_DEP_1) | instskip(NEXT) | instid1(VALU_DEP_1)
	v_dual_add_nc_u32 v2, 1, v0 :: v_dual_sub_nc_u32 v1, v4, v1
	v_subrev_nc_u32_e32 v3, s4, v1
	v_cmp_le_u32_e32 vcc_lo, s4, v1
	s_delay_alu instid0(VALU_DEP_2) | instskip(NEXT) | instid1(VALU_DEP_4)
	v_dual_cndmask_b32 v1, v1, v3, vcc_lo :: v_dual_mov_b32 v3, 0
	v_cndmask_b32_e32 v0, v0, v2, vcc_lo
	s_delay_alu instid0(VALU_DEP_2) | instskip(NEXT) | instid1(VALU_DEP_2)
	v_cmp_le_u32_e32 vcc_lo, s4, v1
	v_add_nc_u32_e32 v2, 1, v0
	s_delay_alu instid0(VALU_DEP_1)
	v_cndmask_b32_e32 v2, v0, v2, vcc_lo
.LBB109_4:
	s_or_b32 exec_lo, exec_lo, s2
	s_delay_alu instid0(VALU_DEP_1) | instskip(SKIP_3) | instid1(VALU_DEP_2)
	v_mul_u64_e32 v[0:1], s[4:5], v[2:3]
	s_load_b128 s[24:27], s[0:1], 0x20
	s_wait_kmcnt 0x0
	v_cmp_gt_i64_e64 s2, s[20:21], v[2:3]
	v_sub_nc_u64_e32 v[0:1], v[4:5], v[0:1]
	s_delay_alu instid0(VALU_DEP_1) | instskip(SKIP_1) | instid1(SALU_CYCLE_1)
	v_cmp_gt_i64_e32 vcc_lo, s[26:27], v[0:1]
	s_and_b32 s2, vcc_lo, s2
	s_and_saveexec_b32 s3, s2
	s_cbranch_execz .LBB109_18
; %bb.5:
	s_clause 0x1
	s_load_b256 s[4:11], s[0:1], 0x38
	s_load_b256 s[12:19], s[0:1], 0x0
	s_add_nc_u64 s[2:3], s[20:21], -1
	v_mov_b64_e32 v[6:7], s[24:25]
	v_cmp_ne_u64_e32 vcc_lo, s[2:3], v[2:3]
	s_wait_kmcnt 0x0
	v_lshl_add_u64 v[8:9], v[2:3], 3, s[10:11]
	global_load_b64 v[4:5], v[8:9], off
	s_wait_xcnt 0x0
	s_and_saveexec_b32 s2, vcc_lo
	s_cbranch_execz .LBB109_7
; %bb.6:
	global_load_b64 v[6:7], v[8:9], off offset:8
.LBB109_7:
	s_wait_xcnt 0x0
	s_or_b32 exec_lo, exec_lo, s2
	s_wait_loadcnt 0x0
	v_mov_b32_e32 v5, 0
	s_mov_b32 s2, exec_lo
	v_cmpx_lt_i32_e64 v4, v6
	s_cbranch_execz .LBB109_17
; %bb.8:
	s_load_b32 s0, s[0:1], 0x30
	v_dual_mov_b32 v10, 0 :: v_dual_ashrrev_i32 v5, 31, v4
	s_cmp_lg_u64 s[18:19], 0
	v_lshl_add_u64 v[8:9], v[0:1], 1, s[14:15]
	s_cselect_b32 s3, -1, 0
	s_delay_alu instid0(VALU_DEP_2)
	v_lshlrev_b64_e32 v[14:15], 3, v[4:5]
	s_cmp_lg_u64 s[6:7], 0
	v_mov_b32_e32 v5, 0
	s_cselect_b32 s10, -1, 0
	s_wait_xcnt 0x0
	s_mov_b32 s1, s26
	s_delay_alu instid0(VALU_DEP_2)
	v_add_nc_u64_e32 v[12:13], s[12:13], v[14:15]
	v_add_nc_u64_e32 v[14:15], s[18:19], v[14:15]
	s_wait_kmcnt 0x0
	s_cmp_lg_u32 s0, 0
	s_mov_b32 s0, 0
	s_cselect_b32 s11, -1, 0
	s_mov_b32 s12, s0
	s_branch .LBB109_10
.LBB109_9:                              ;   in Loop: Header=BB109_10 Depth=1
	s_delay_alu instid0(VALU_DEP_1) | instskip(SKIP_2) | instid1(VALU_DEP_3)
	v_dual_fmac_f32 v5, v7, v17 :: v_dual_add_nc_u32 v4, 1, v4
	v_add_nc_u64_e32 v[12:13], 8, v[12:13]
	v_add_nc_u64_e32 v[14:15], 8, v[14:15]
	v_cmp_ge_i32_e32 vcc_lo, v4, v6
	s_or_b32 s12, vcc_lo, s12
	s_delay_alu instid0(SALU_CYCLE_1)
	s_and_not1_b32 exec_lo, exec_lo, s12
	s_cbranch_execz .LBB109_16
.LBB109_10:                             ; =>This Inner Loop Header: Depth=1
	global_load_b64 v[18:19], v[12:13], off
	s_and_not1_b32 vcc_lo, exec_lo, s3
	s_wait_loadcnt 0x0
	v_mov_b32_e32 v11, v18
	s_delay_alu instid0(VALU_DEP_1) | instskip(NEXT) | instid1(VALU_DEP_1)
	v_ashrrev_i64 v[16:17], 29, v[10:11]
	v_add_nc_u64_e32 v[16:17], s[16:17], v[16:17]
	global_load_b64 v[16:17], v[16:17], off
	s_cbranch_vccnz .LBB109_15
; %bb.11:                               ;   in Loop: Header=BB109_10 Depth=1
	global_load_b64 v[20:21], v[14:15], off
	s_wait_loadcnt 0x0
	v_cvt_f64_i32_e32 v[22:23], v21
	v_cvt_f64_u32_e32 v[20:21], v20
	s_delay_alu instid0(VALU_DEP_2) | instskip(NEXT) | instid1(VALU_DEP_1)
	v_ldexp_f64 v[22:23], v[22:23], 32
	v_add_f64_e32 v[20:21], v[22:23], v[20:21]
	s_delay_alu instid0(VALU_DEP_1) | instskip(NEXT) | instid1(VALU_DEP_1)
	v_div_scale_f64 v[22:23], null, v[20:21], v[20:21], 1.0
	v_rcp_f64_e32 v[24:25], v[22:23]
	v_nop
	s_delay_alu instid0(TRANS32_DEP_1) | instskip(NEXT) | instid1(VALU_DEP_1)
	v_fma_f64 v[26:27], -v[22:23], v[24:25], 1.0
	v_fmac_f64_e32 v[24:25], v[24:25], v[26:27]
	s_delay_alu instid0(VALU_DEP_1) | instskip(NEXT) | instid1(VALU_DEP_1)
	v_fma_f64 v[26:27], -v[22:23], v[24:25], 1.0
	v_fmac_f64_e32 v[24:25], v[24:25], v[26:27]
	v_div_scale_f64 v[26:27], vcc_lo, 1.0, v[20:21], 1.0
	s_delay_alu instid0(VALU_DEP_1) | instskip(NEXT) | instid1(VALU_DEP_1)
	v_mul_f64_e32 v[28:29], v[26:27], v[24:25]
	v_fma_f64 v[22:23], -v[22:23], v[28:29], v[26:27]
	s_delay_alu instid0(VALU_DEP_1) | instskip(NEXT) | instid1(VALU_DEP_1)
	v_div_fmas_f64 v[22:23], v[22:23], v[24:25], v[28:29]
	v_div_fixup_f64 v[20:21], v[22:23], v[20:21], 1.0
	s_delay_alu instid0(VALU_DEP_1)
	v_cvt_f32_f64_e32 v7, v[20:21]
	s_and_not1_b32 vcc_lo, exec_lo, s10
	s_cbranch_vccnz .LBB109_13
.LBB109_12:                             ;   in Loop: Header=BB109_10 Depth=1
	v_ashrrev_i32_e32 v19, 31, v18
	s_delay_alu instid0(VALU_DEP_1) | instskip(NEXT) | instid1(VALU_DEP_1)
	v_mul_u64_e32 v[18:19], s[8:9], v[18:19]
	v_lshl_add_u64 v[18:19], v[18:19], 1, s[6:7]
	global_load_u16 v11, v[18:19], off
	s_wait_loadcnt 0x0
	v_cvt_f32_f16_e32 v11, v11
	s_delay_alu instid0(VALU_DEP_1)
	v_mul_f32_e32 v7, v7, v11
.LBB109_13:                             ;   in Loop: Header=BB109_10 Depth=1
	s_wait_loadcnt 0x0
	v_mul_u64_e32 v[18:19], s[0:1], v[16:17]
	s_and_not1_b32 vcc_lo, exec_lo, s11
	s_delay_alu instid0(VALU_DEP_1) | instskip(NEXT) | instid1(VALU_DEP_1)
	v_ashrrev_i64 v[18:19], 31, v[18:19]
	v_add_nc_u64_e32 v[18:19], v[8:9], v[18:19]
	global_load_u16 v11, v[18:19], off
	s_wait_loadcnt 0x0
	v_cvt_f32_f16_e32 v17, v11
	s_cbranch_vccnz .LBB109_9
; %bb.14:                               ;   in Loop: Header=BB109_10 Depth=1
	v_mov_b32_e32 v11, v16
	s_delay_alu instid0(VALU_DEP_1) | instskip(NEXT) | instid1(VALU_DEP_1)
	v_ashrrev_i64 v[18:19], 29, v[10:11]
	v_add_nc_u64_e32 v[18:19], s[4:5], v[18:19]
	global_load_b64 v[18:19], v[18:19], off
	s_wait_loadcnt 0x0
	v_xor_b32_e32 v11, v18, v19
	v_cls_i32_e32 v16, v19
	s_delay_alu instid0(VALU_DEP_2) | instskip(NEXT) | instid1(VALU_DEP_1)
	v_ashrrev_i32_e32 v11, 31, v11
	v_add_nc_u32_e32 v11, 32, v11
	s_delay_alu instid0(VALU_DEP_1) | instskip(NEXT) | instid1(VALU_DEP_1)
	v_add_min_u32_e64 v11, v16, -1, v11
	v_lshlrev_b64_e32 v[18:19], v11, v[18:19]
	v_sub_nc_u32_e32 v11, 32, v11
	s_delay_alu instid0(VALU_DEP_2) | instskip(NEXT) | instid1(VALU_DEP_1)
	v_min_u32_e32 v16, 1, v18
	v_or_b32_e32 v16, v19, v16
	s_delay_alu instid0(VALU_DEP_1) | instskip(NEXT) | instid1(VALU_DEP_1)
	v_cvt_f32_i32_e32 v16, v16
	v_ldexp_f32 v11, v16, v11
	s_delay_alu instid0(VALU_DEP_1) | instskip(NEXT) | instid1(VALU_DEP_1)
	v_div_scale_f32 v16, null, v11, v11, v17
	v_rcp_f32_e32 v18, v16
	v_nop
	s_delay_alu instid0(TRANS32_DEP_1) | instskip(NEXT) | instid1(VALU_DEP_1)
	v_fma_f32 v19, -v16, v18, 1.0
	v_fmac_f32_e32 v18, v19, v18
	v_div_scale_f32 v19, vcc_lo, v17, v11, v17
	s_delay_alu instid0(VALU_DEP_1) | instskip(NEXT) | instid1(VALU_DEP_1)
	v_mul_f32_e32 v20, v19, v18
	v_fma_f32 v21, -v16, v20, v19
	s_delay_alu instid0(VALU_DEP_1) | instskip(NEXT) | instid1(VALU_DEP_1)
	v_fmac_f32_e32 v20, v21, v18
	v_fma_f32 v16, -v16, v20, v19
	s_delay_alu instid0(VALU_DEP_1) | instskip(NEXT) | instid1(VALU_DEP_1)
	v_div_fmas_f32 v16, v16, v18, v20
	v_div_fixup_f32 v17, v16, v11, v17
	s_branch .LBB109_9
.LBB109_15:                             ;   in Loop: Header=BB109_10 Depth=1
	v_mov_b32_e32 v7, 1.0
	s_and_not1_b32 vcc_lo, exec_lo, s10
	s_cbranch_vccz .LBB109_12
	s_branch .LBB109_13
.LBB109_16:
	s_or_b32 exec_lo, exec_lo, s12
.LBB109_17:
	s_delay_alu instid0(SALU_CYCLE_1) | instskip(SKIP_1) | instid1(VALU_DEP_1)
	s_or_b32 exec_lo, exec_lo, s2
	v_mul_u64_e32 v[2:3], s[26:27], v[2:3]
	v_lshl_add_u64 v[2:3], v[2:3], 2, s[22:23]
	s_delay_alu instid0(VALU_DEP_1)
	v_lshl_add_u64 v[0:1], v[0:1], 2, v[2:3]
	global_store_b32 v[0:1], v5, off
.LBB109_18:
	s_endpgm
	.section	.rodata,"a",@progbits
	.p2align	6, 0x0
	.amdhsa_kernel _ZN2at6native12_GLOBAL__N_124compute_grad_weight_bagsIN3c104HalfElEEvPKT0_PKT_S7_S7_lliS7_SA_lS7_PKlPNS_14AccumulateTypeIS8_Lb1EE4typeEl
		.amdhsa_group_segment_fixed_size 0
		.amdhsa_private_segment_fixed_size 0
		.amdhsa_kernarg_size 368
		.amdhsa_user_sgpr_count 2
		.amdhsa_user_sgpr_dispatch_ptr 0
		.amdhsa_user_sgpr_queue_ptr 0
		.amdhsa_user_sgpr_kernarg_segment_ptr 1
		.amdhsa_user_sgpr_dispatch_id 0
		.amdhsa_user_sgpr_kernarg_preload_length 0
		.amdhsa_user_sgpr_kernarg_preload_offset 0
		.amdhsa_user_sgpr_private_segment_size 0
		.amdhsa_wavefront_size32 1
		.amdhsa_uses_dynamic_stack 0
		.amdhsa_enable_private_segment 0
		.amdhsa_system_sgpr_workgroup_id_x 1
		.amdhsa_system_sgpr_workgroup_id_y 0
		.amdhsa_system_sgpr_workgroup_id_z 0
		.amdhsa_system_sgpr_workgroup_info 0
		.amdhsa_system_vgpr_workitem_id 0
		.amdhsa_next_free_vgpr 30
		.amdhsa_next_free_sgpr 28
		.amdhsa_named_barrier_count 0
		.amdhsa_reserve_vcc 1
		.amdhsa_float_round_mode_32 0
		.amdhsa_float_round_mode_16_64 0
		.amdhsa_float_denorm_mode_32 3
		.amdhsa_float_denorm_mode_16_64 3
		.amdhsa_fp16_overflow 0
		.amdhsa_memory_ordered 1
		.amdhsa_forward_progress 1
		.amdhsa_inst_pref_size 14
		.amdhsa_round_robin_scheduling 0
		.amdhsa_exception_fp_ieee_invalid_op 0
		.amdhsa_exception_fp_denorm_src 0
		.amdhsa_exception_fp_ieee_div_zero 0
		.amdhsa_exception_fp_ieee_overflow 0
		.amdhsa_exception_fp_ieee_underflow 0
		.amdhsa_exception_fp_ieee_inexact 0
		.amdhsa_exception_int_div_zero 0
	.end_amdhsa_kernel
	.section	.text._ZN2at6native12_GLOBAL__N_124compute_grad_weight_bagsIN3c104HalfElEEvPKT0_PKT_S7_S7_lliS7_SA_lS7_PKlPNS_14AccumulateTypeIS8_Lb1EE4typeEl,"axG",@progbits,_ZN2at6native12_GLOBAL__N_124compute_grad_weight_bagsIN3c104HalfElEEvPKT0_PKT_S7_S7_lliS7_SA_lS7_PKlPNS_14AccumulateTypeIS8_Lb1EE4typeEl,comdat
.Lfunc_end109:
	.size	_ZN2at6native12_GLOBAL__N_124compute_grad_weight_bagsIN3c104HalfElEEvPKT0_PKT_S7_S7_lliS7_SA_lS7_PKlPNS_14AccumulateTypeIS8_Lb1EE4typeEl, .Lfunc_end109-_ZN2at6native12_GLOBAL__N_124compute_grad_weight_bagsIN3c104HalfElEEvPKT0_PKT_S7_S7_lliS7_SA_lS7_PKlPNS_14AccumulateTypeIS8_Lb1EE4typeEl
                                        ; -- End function
	.set _ZN2at6native12_GLOBAL__N_124compute_grad_weight_bagsIN3c104HalfElEEvPKT0_PKT_S7_S7_lliS7_SA_lS7_PKlPNS_14AccumulateTypeIS8_Lb1EE4typeEl.num_vgpr, 30
	.set _ZN2at6native12_GLOBAL__N_124compute_grad_weight_bagsIN3c104HalfElEEvPKT0_PKT_S7_S7_lliS7_SA_lS7_PKlPNS_14AccumulateTypeIS8_Lb1EE4typeEl.num_agpr, 0
	.set _ZN2at6native12_GLOBAL__N_124compute_grad_weight_bagsIN3c104HalfElEEvPKT0_PKT_S7_S7_lliS7_SA_lS7_PKlPNS_14AccumulateTypeIS8_Lb1EE4typeEl.numbered_sgpr, 28
	.set _ZN2at6native12_GLOBAL__N_124compute_grad_weight_bagsIN3c104HalfElEEvPKT0_PKT_S7_S7_lliS7_SA_lS7_PKlPNS_14AccumulateTypeIS8_Lb1EE4typeEl.num_named_barrier, 0
	.set _ZN2at6native12_GLOBAL__N_124compute_grad_weight_bagsIN3c104HalfElEEvPKT0_PKT_S7_S7_lliS7_SA_lS7_PKlPNS_14AccumulateTypeIS8_Lb1EE4typeEl.private_seg_size, 0
	.set _ZN2at6native12_GLOBAL__N_124compute_grad_weight_bagsIN3c104HalfElEEvPKT0_PKT_S7_S7_lliS7_SA_lS7_PKlPNS_14AccumulateTypeIS8_Lb1EE4typeEl.uses_vcc, 1
	.set _ZN2at6native12_GLOBAL__N_124compute_grad_weight_bagsIN3c104HalfElEEvPKT0_PKT_S7_S7_lliS7_SA_lS7_PKlPNS_14AccumulateTypeIS8_Lb1EE4typeEl.uses_flat_scratch, 0
	.set _ZN2at6native12_GLOBAL__N_124compute_grad_weight_bagsIN3c104HalfElEEvPKT0_PKT_S7_S7_lliS7_SA_lS7_PKlPNS_14AccumulateTypeIS8_Lb1EE4typeEl.has_dyn_sized_stack, 0
	.set _ZN2at6native12_GLOBAL__N_124compute_grad_weight_bagsIN3c104HalfElEEvPKT0_PKT_S7_S7_lliS7_SA_lS7_PKlPNS_14AccumulateTypeIS8_Lb1EE4typeEl.has_recursion, 0
	.set _ZN2at6native12_GLOBAL__N_124compute_grad_weight_bagsIN3c104HalfElEEvPKT0_PKT_S7_S7_lliS7_SA_lS7_PKlPNS_14AccumulateTypeIS8_Lb1EE4typeEl.has_indirect_call, 0
	.section	.AMDGPU.csdata,"",@progbits
; Kernel info:
; codeLenInByte = 1744
; TotalNumSgprs: 30
; NumVgprs: 30
; ScratchSize: 0
; MemoryBound: 0
; FloatMode: 240
; IeeeMode: 1
; LDSByteSize: 0 bytes/workgroup (compile time only)
; SGPRBlocks: 0
; VGPRBlocks: 1
; NumSGPRsForWavesPerEU: 30
; NumVGPRsForWavesPerEU: 30
; NamedBarCnt: 0
; Occupancy: 16
; WaveLimiterHint : 1
; COMPUTE_PGM_RSRC2:SCRATCH_EN: 0
; COMPUTE_PGM_RSRC2:USER_SGPR: 2
; COMPUTE_PGM_RSRC2:TRAP_HANDLER: 0
; COMPUTE_PGM_RSRC2:TGID_X_EN: 1
; COMPUTE_PGM_RSRC2:TGID_Y_EN: 0
; COMPUTE_PGM_RSRC2:TGID_Z_EN: 0
; COMPUTE_PGM_RSRC2:TIDIG_COMP_CNT: 0
	.section	.text._ZN2at6native12_GLOBAL__N_119compute_grad_weightIN3c104HalfElEEvPKT0_PKT_S7_llS7_PKlPNS_14AccumulateTypeIS8_Lb1EE4typeEl,"axG",@progbits,_ZN2at6native12_GLOBAL__N_119compute_grad_weightIN3c104HalfElEEvPKT0_PKT_S7_llS7_PKlPNS_14AccumulateTypeIS8_Lb1EE4typeEl,comdat
	.globl	_ZN2at6native12_GLOBAL__N_119compute_grad_weightIN3c104HalfElEEvPKT0_PKT_S7_llS7_PKlPNS_14AccumulateTypeIS8_Lb1EE4typeEl ; -- Begin function _ZN2at6native12_GLOBAL__N_119compute_grad_weightIN3c104HalfElEEvPKT0_PKT_S7_llS7_PKlPNS_14AccumulateTypeIS8_Lb1EE4typeEl
	.p2align	8
	.type	_ZN2at6native12_GLOBAL__N_119compute_grad_weightIN3c104HalfElEEvPKT0_PKT_S7_llS7_PKlPNS_14AccumulateTypeIS8_Lb1EE4typeEl,@function
_ZN2at6native12_GLOBAL__N_119compute_grad_weightIN3c104HalfElEEvPKT0_PKT_S7_llS7_PKlPNS_14AccumulateTypeIS8_Lb1EE4typeEl: ; @_ZN2at6native12_GLOBAL__N_119compute_grad_weightIN3c104HalfElEEvPKT0_PKT_S7_llS7_PKlPNS_14AccumulateTypeIS8_Lb1EE4typeEl
; %bb.0:
	s_clause 0x1
	s_load_b32 s4, s[0:1], 0x54
	s_load_b64 s[2:3], s[0:1], 0x40
	s_bfe_u32 s5, ttmp6, 0x4000c
	s_and_b32 s6, ttmp6, 15
	s_add_co_i32 s5, s5, 1
	s_getreg_b32 s7, hwreg(HW_REG_IB_STS2, 6, 4)
	s_mul_i32 s5, ttmp9, s5
	v_mov_b32_e32 v1, 0
	s_add_co_i32 s6, s6, s5
	s_wait_kmcnt 0x0
	s_and_b32 s4, s4, 0xffff
	s_cmp_eq_u32 s7, 0
	s_cselect_b32 s5, ttmp9, s6
	s_delay_alu instid0(SALU_CYCLE_1) | instskip(SKIP_3) | instid1(VALU_DEP_1)
	v_mad_nc_u64_u32 v[2:3], s4, s5, v[0:1]
	s_load_b512 s[4:19], s[0:1], 0x0
	s_wait_xcnt 0x0
	s_mov_b32 s1, 0
	v_dual_mov_b32 v4, v1 :: v_dual_bitop2_b32 v5, s3, v3 bitop3:0x54
	s_delay_alu instid0(VALU_DEP_1) | instskip(SKIP_1) | instid1(SALU_CYCLE_1)
	v_cmp_ne_u64_e32 vcc_lo, 0, v[4:5]
                                        ; implicit-def: $vgpr4_vgpr5
	s_and_saveexec_b32 s0, vcc_lo
	s_xor_b32 s24, exec_lo, s0
	s_cbranch_execz .LBB110_2
; %bb.1:
	s_ashr_i32 s20, s3, 31
	v_dual_mov_b32 v9, v1 :: v_dual_ashrrev_i32 v4, 31, v3
	s_mov_b32 s21, s20
	v_mov_b32_e32 v15, v1
	s_add_nc_u64 s[22:23], s[2:3], s[20:21]
	s_delay_alu instid0(VALU_DEP_2) | instskip(SKIP_1) | instid1(SALU_CYCLE_1)
	v_mov_b32_e32 v5, v4
	s_xor_b64 s[22:23], s[22:23], s[20:21]
	s_cvt_f32_u32 s0, s22
	s_cvt_f32_u32 s21, s23
	s_sub_nc_u64 s[28:29], 0, s[22:23]
	v_add_nc_u64_e32 v[6:7], v[2:3], v[4:5]
	s_delay_alu instid0(SALU_CYCLE_1) | instskip(NEXT) | instid1(SALU_CYCLE_3)
	s_fmamk_f32 s0, s21, 0x4f800000, s0
	v_s_rcp_f32 s0, s0
	s_delay_alu instid0(VALU_DEP_1) | instskip(NEXT) | instid1(VALU_DEP_2)
	v_xor_b32_e32 v0, v6, v4
	v_xor_b32_e32 v8, v7, v4
	s_delay_alu instid0(TRANS32_DEP_1) | instskip(NEXT) | instid1(SALU_CYCLE_3)
	s_mul_f32 s0, s0, 0x5f7ffffc
	s_mul_f32 s21, s0, 0x2f800000
	s_delay_alu instid0(SALU_CYCLE_3) | instskip(NEXT) | instid1(SALU_CYCLE_3)
	s_trunc_f32 s21, s21
	s_fmamk_f32 s0, s21, 0xcf800000, s0
	s_cvt_u32_f32 s27, s21
	s_delay_alu instid0(SALU_CYCLE_2) | instskip(NEXT) | instid1(SALU_CYCLE_3)
	s_cvt_u32_f32 s26, s0
	s_mul_u64 s[30:31], s[28:29], s[26:27]
	s_delay_alu instid0(SALU_CYCLE_1)
	s_mul_hi_u32 s35, s26, s31
	s_mul_i32 s34, s26, s31
	s_mul_hi_u32 s0, s26, s30
	s_mul_i32 s25, s27, s30
	s_add_nc_u64 s[34:35], s[0:1], s[34:35]
	s_mul_hi_u32 s21, s27, s30
	s_mul_hi_u32 s33, s27, s31
	s_add_co_u32 s0, s34, s25
	s_add_co_ci_u32 s0, s35, s21
	s_mul_i32 s30, s27, s31
	s_add_co_ci_u32 s31, s33, 0
	s_delay_alu instid0(SALU_CYCLE_1) | instskip(NEXT) | instid1(SALU_CYCLE_1)
	s_add_nc_u64 s[30:31], s[0:1], s[30:31]
	s_add_co_u32 s26, s26, s30
	s_cselect_b32 s0, -1, 0
	s_delay_alu instid0(SALU_CYCLE_1) | instskip(SKIP_1) | instid1(SALU_CYCLE_1)
	s_cmp_lg_u32 s0, 0
	s_add_co_ci_u32 s27, s27, s31
	s_mul_u64 s[28:29], s[28:29], s[26:27]
	s_delay_alu instid0(SALU_CYCLE_1)
	s_mul_hi_u32 s31, s26, s29
	s_mul_i32 s30, s26, s29
	s_mul_hi_u32 s0, s26, s28
	s_mul_i32 s25, s27, s28
	s_add_nc_u64 s[30:31], s[0:1], s[30:31]
	s_mul_hi_u32 s21, s27, s28
	s_mul_hi_u32 s33, s27, s29
	s_add_co_u32 s0, s30, s25
	s_add_co_ci_u32 s0, s31, s21
	s_mul_i32 s28, s27, s29
	s_add_co_ci_u32 s29, s33, 0
	s_delay_alu instid0(SALU_CYCLE_1) | instskip(NEXT) | instid1(SALU_CYCLE_1)
	s_add_nc_u64 s[28:29], s[0:1], s[28:29]
	s_add_co_u32 s26, s26, s28
	s_cselect_b32 s0, -1, 0
	v_mul_hi_u32 v14, v0, s26
	s_cmp_lg_u32 s0, 0
	s_add_co_ci_u32 s0, s27, s29
	s_mov_b64 s[28:29], 0xffffffff
	v_mul_u64_e32 v[10:11], s[0:1], v[0:1]
	s_and_b64 s[28:29], s[26:27], s[28:29]
	v_mul_u64_e32 v[12:13], s[0:1], v[8:9]
	v_mul_u64_e32 v[6:7], s[28:29], v[8:9]
	s_delay_alu instid0(VALU_DEP_3) | instskip(NEXT) | instid1(VALU_DEP_1)
	v_add_nc_u64_e32 v[10:11], v[14:15], v[10:11]
	v_add_co_u32 v1, vcc_lo, v10, v6
	s_delay_alu instid0(VALU_DEP_2) | instskip(SKIP_1) | instid1(VALU_DEP_1)
	v_add_co_ci_u32_e32 v14, vcc_lo, v11, v7, vcc_lo
	v_add_co_ci_u32_e32 v13, vcc_lo, 0, v13, vcc_lo
	v_add_nc_u64_e32 v[6:7], v[14:15], v[12:13]
	s_delay_alu instid0(VALU_DEP_1) | instskip(NEXT) | instid1(VALU_DEP_1)
	v_mul_u64_e32 v[10:11], s[22:23], v[6:7]
	v_sub_nc_u32_e32 v1, v8, v11
	s_delay_alu instid0(VALU_DEP_2) | instskip(NEXT) | instid1(VALU_DEP_1)
	v_sub_co_u32 v0, vcc_lo, v0, v10
	v_sub_co_ci_u32_e64 v10, null, v8, v11, vcc_lo
	s_delay_alu instid0(VALU_DEP_3) | instskip(NEXT) | instid1(VALU_DEP_3)
	v_subrev_co_ci_u32_e64 v1, null, s23, v1, vcc_lo
	v_sub_co_u32 v5, s0, v0, s22
	s_delay_alu instid0(VALU_DEP_1) | instskip(NEXT) | instid1(VALU_DEP_2)
	v_subrev_co_ci_u32_e64 v1, null, 0, v1, s0
	v_cmp_le_u32_e32 vcc_lo, s22, v5
	v_cndmask_b32_e64 v5, 0, -1, vcc_lo
	s_delay_alu instid0(VALU_DEP_3)
	v_cmp_le_u32_e32 vcc_lo, s23, v1
	v_cndmask_b32_e64 v8, 0, -1, vcc_lo
	v_cmp_le_u32_e32 vcc_lo, s22, v0
	v_cndmask_b32_e64 v11, 0, -1, vcc_lo
	;; [unrolled: 2-line block ×3, first 2 shown]
	v_cmp_eq_u32_e32 vcc_lo, s23, v1
	v_add_nc_u64_e32 v[0:1], 2, v[6:7]
	v_cndmask_b32_e32 v5, v8, v5, vcc_lo
	v_cmp_eq_u32_e32 vcc_lo, s23, v10
	v_add_nc_u64_e32 v[8:9], 1, v[6:7]
	v_cndmask_b32_e32 v10, v12, v11, vcc_lo
	s_delay_alu instid0(VALU_DEP_4) | instskip(NEXT) | instid1(VALU_DEP_3)
	v_cmp_ne_u32_e32 vcc_lo, 0, v5
	v_cndmask_b32_e32 v1, v9, v1, vcc_lo
	s_delay_alu instid0(VALU_DEP_3) | instskip(SKIP_1) | instid1(VALU_DEP_2)
	v_cmp_ne_u32_e64 s0, 0, v10
	v_cndmask_b32_e32 v5, v8, v0, vcc_lo
	v_dual_cndmask_b32 v4, v7, v1, s0 :: v_dual_bitop2_b32 v0, s20, v4 bitop3:0x14
	s_delay_alu instid0(VALU_DEP_1) | instskip(NEXT) | instid1(VALU_DEP_2)
	v_dual_cndmask_b32 v6, v6, v5, s0 :: v_dual_mov_b32 v1, v0
	v_xor_b32_e32 v5, v4, v0
	s_delay_alu instid0(VALU_DEP_2) | instskip(NEXT) | instid1(VALU_DEP_1)
	v_xor_b32_e32 v4, v6, v0
	v_sub_nc_u64_e32 v[4:5], v[4:5], v[0:1]
.LBB110_2:
	s_or_saveexec_b32 s0, s24
	s_wait_kmcnt 0x0
	s_load_b64 s[16:17], s[16:17], 0x0
	s_xor_b32 exec_lo, exec_lo, s0
	s_cbranch_execz .LBB110_4
; %bb.3:
	v_cvt_f32_u32_e32 v0, s2
	s_sub_co_i32 s1, 0, s2
	s_delay_alu instid0(VALU_DEP_1) | instskip(SKIP_1) | instid1(TRANS32_DEP_1)
	v_rcp_iflag_f32_e32 v0, v0
	v_nop
	v_mul_f32_e32 v0, 0x4f7ffffe, v0
	s_delay_alu instid0(VALU_DEP_1) | instskip(NEXT) | instid1(VALU_DEP_1)
	v_cvt_u32_f32_e32 v0, v0
	v_mul_lo_u32 v1, s1, v0
	s_delay_alu instid0(VALU_DEP_1) | instskip(NEXT) | instid1(VALU_DEP_1)
	v_mul_hi_u32 v1, v0, v1
	v_add_nc_u32_e32 v0, v0, v1
	s_delay_alu instid0(VALU_DEP_1) | instskip(NEXT) | instid1(VALU_DEP_1)
	v_mul_hi_u32 v0, v2, v0
	v_mul_lo_u32 v1, v0, s2
	s_delay_alu instid0(VALU_DEP_1) | instskip(NEXT) | instid1(VALU_DEP_1)
	v_sub_nc_u32_e32 v1, v2, v1
	v_subrev_nc_u32_e32 v5, s2, v1
	v_cmp_le_u32_e32 vcc_lo, s2, v1
	s_delay_alu instid0(VALU_DEP_2) | instskip(NEXT) | instid1(VALU_DEP_1)
	v_dual_cndmask_b32 v1, v1, v5 :: v_dual_add_nc_u32 v4, 1, v0
	v_dual_cndmask_b32 v0, v0, v4 :: v_dual_mov_b32 v5, 0
	s_delay_alu instid0(VALU_DEP_2) | instskip(NEXT) | instid1(VALU_DEP_2)
	v_cmp_le_u32_e32 vcc_lo, s2, v1
	v_add_nc_u32_e32 v4, 1, v0
	s_delay_alu instid0(VALU_DEP_1)
	v_cndmask_b32_e32 v4, v0, v4, vcc_lo
.LBB110_4:
	s_or_b32 exec_lo, exec_lo, s0
	s_delay_alu instid0(VALU_DEP_1) | instskip(SKIP_2) | instid1(VALU_DEP_2)
	v_mul_u64_e32 v[0:1], s[2:3], v[4:5]
	s_wait_kmcnt 0x0
	v_cmp_gt_i64_e64 s0, s[16:17], v[4:5]
	v_sub_nc_u64_e32 v[0:1], v[2:3], v[0:1]
	s_delay_alu instid0(VALU_DEP_1) | instskip(SKIP_1) | instid1(SALU_CYCLE_1)
	v_cmp_gt_i64_e32 vcc_lo, s[12:13], v[0:1]
	s_and_b32 s0, vcc_lo, s0
	s_and_saveexec_b32 s1, s0
	s_cbranch_execz .LBB110_15
; %bb.5:
	v_lshl_add_u64 v[8:9], v[4:5], 3, s[14:15]
	s_add_nc_u64 s[0:1], s[16:17], -1
	v_mov_b64_e32 v[6:7], s[10:11]
	v_cmp_ne_u64_e32 vcc_lo, s[0:1], v[4:5]
	global_load_b64 v[2:3], v[8:9], off
	s_wait_xcnt 0x0
	s_and_saveexec_b32 s0, vcc_lo
	s_cbranch_execz .LBB110_7
; %bb.6:
	global_load_b64 v[6:7], v[8:9], off offset:8
.LBB110_7:
	s_wait_xcnt 0x0
	s_or_b32 exec_lo, exec_lo, s0
	s_wait_loadcnt 0x0
	v_mov_b32_e32 v3, 0
	s_mov_b32 s0, exec_lo
	v_cmpx_lt_i32_e64 v2, v6
	s_cbranch_execz .LBB110_14
; %bb.8:
	v_ashrrev_i32_e32 v3, 31, v2
	v_lshl_add_u64 v[8:9], v[0:1], 1, s[6:7]
	s_cmp_lg_u64 s[8:9], 0
	s_mov_b32 s2, 0
	s_cselect_b32 s1, -1, 0
	v_lshlrev_b64_e32 v[12:13], 3, v[2:3]
	v_mov_b32_e32 v3, 0
	s_delay_alu instid0(VALU_DEP_2)
	v_add_nc_u64_e32 v[10:11], s[4:5], v[12:13]
	v_add_nc_u64_e32 v[12:13], s[8:9], v[12:13]
	s_branch .LBB110_11
.LBB110_9:                              ;   in Loop: Header=BB110_11 Depth=1
	global_load_b64 v[16:17], v[12:13], off
	s_wait_loadcnt 0x0
	v_xor_b32_e32 v7, v16, v17
	v_cls_i32_e32 v18, v17
	s_delay_alu instid0(VALU_DEP_2) | instskip(NEXT) | instid1(VALU_DEP_1)
	v_ashrrev_i32_e32 v7, 31, v7
	v_add_nc_u32_e32 v7, 32, v7
	s_delay_alu instid0(VALU_DEP_1) | instskip(NEXT) | instid1(VALU_DEP_1)
	v_add_min_u32_e64 v7, v18, -1, v7
	v_lshlrev_b64_e32 v[16:17], v7, v[16:17]
	v_sub_nc_u32_e32 v7, 32, v7
	s_delay_alu instid0(VALU_DEP_2) | instskip(NEXT) | instid1(VALU_DEP_1)
	v_min_u32_e32 v16, 1, v16
	v_or_b32_e32 v16, v17, v16
	s_delay_alu instid0(VALU_DEP_1) | instskip(NEXT) | instid1(VALU_DEP_1)
	v_cvt_f32_i32_e32 v16, v16
	v_ldexp_f32 v7, v16, v7
	s_delay_alu instid0(VALU_DEP_1) | instskip(NEXT) | instid1(VALU_DEP_1)
	v_div_scale_f32 v16, null, v7, v7, 1.0
	v_rcp_f32_e32 v17, v16
	v_nop
	s_delay_alu instid0(TRANS32_DEP_1) | instskip(NEXT) | instid1(VALU_DEP_1)
	v_fma_f32 v18, -v16, v17, 1.0
	v_fmac_f32_e32 v17, v18, v17
	v_div_scale_f32 v18, vcc_lo, 1.0, v7, 1.0
	s_delay_alu instid0(VALU_DEP_1) | instskip(NEXT) | instid1(VALU_DEP_1)
	v_mul_f32_e32 v19, v18, v17
	v_fma_f32 v20, -v16, v19, v18
	s_delay_alu instid0(VALU_DEP_1) | instskip(NEXT) | instid1(VALU_DEP_1)
	v_fmac_f32_e32 v19, v20, v17
	v_fma_f32 v16, -v16, v19, v18
	s_delay_alu instid0(VALU_DEP_1) | instskip(NEXT) | instid1(VALU_DEP_1)
	v_div_fmas_f32 v16, v16, v17, v19
	v_div_fixup_f32 v7, v16, v7, 1.0
.LBB110_10:                             ;   in Loop: Header=BB110_11 Depth=1
	s_wait_loadcnt 0x0
	v_mul_u64_e32 v[14:15], s[12:13], v[14:15]
	v_add_nc_u32_e32 v2, 1, v2
	v_add_nc_u64_e32 v[10:11], 8, v[10:11]
	v_add_nc_u64_e32 v[12:13], 8, v[12:13]
	s_delay_alu instid0(VALU_DEP_3)
	v_cmp_ge_i32_e32 vcc_lo, v2, v6
	s_or_b32 s2, vcc_lo, s2
	v_lshl_add_u64 v[14:15], v[14:15], 1, v[8:9]
	global_load_u16 v14, v[14:15], off
	s_wait_loadcnt 0x0
	v_fma_mix_f32 v3, v7, v14, v3 op_sel_hi:[0,1,0]
	s_and_not1_b32 exec_lo, exec_lo, s2
	s_cbranch_execz .LBB110_13
.LBB110_11:                             ; =>This Inner Loop Header: Depth=1
	global_load_b64 v[14:15], v[10:11], off
	s_and_not1_b32 vcc_lo, exec_lo, s1
	s_cbranch_vccz .LBB110_9
; %bb.12:                               ;   in Loop: Header=BB110_11 Depth=1
	v_mov_b32_e32 v7, 1.0
	s_branch .LBB110_10
.LBB110_13:
	s_or_b32 exec_lo, exec_lo, s2
.LBB110_14:
	s_delay_alu instid0(SALU_CYCLE_1) | instskip(SKIP_1) | instid1(VALU_DEP_1)
	s_or_b32 exec_lo, exec_lo, s0
	v_mul_u64_e32 v[4:5], s[12:13], v[4:5]
	v_lshl_add_u64 v[4:5], v[4:5], 2, s[18:19]
	s_delay_alu instid0(VALU_DEP_1)
	v_lshl_add_u64 v[0:1], v[0:1], 2, v[4:5]
	global_store_b32 v[0:1], v3, off
.LBB110_15:
	s_endpgm
	.section	.rodata,"a",@progbits
	.p2align	6, 0x0
	.amdhsa_kernel _ZN2at6native12_GLOBAL__N_119compute_grad_weightIN3c104HalfElEEvPKT0_PKT_S7_llS7_PKlPNS_14AccumulateTypeIS8_Lb1EE4typeEl
		.amdhsa_group_segment_fixed_size 0
		.amdhsa_private_segment_fixed_size 0
		.amdhsa_kernarg_size 328
		.amdhsa_user_sgpr_count 2
		.amdhsa_user_sgpr_dispatch_ptr 0
		.amdhsa_user_sgpr_queue_ptr 0
		.amdhsa_user_sgpr_kernarg_segment_ptr 1
		.amdhsa_user_sgpr_dispatch_id 0
		.amdhsa_user_sgpr_kernarg_preload_length 0
		.amdhsa_user_sgpr_kernarg_preload_offset 0
		.amdhsa_user_sgpr_private_segment_size 0
		.amdhsa_wavefront_size32 1
		.amdhsa_uses_dynamic_stack 0
		.amdhsa_enable_private_segment 0
		.amdhsa_system_sgpr_workgroup_id_x 1
		.amdhsa_system_sgpr_workgroup_id_y 0
		.amdhsa_system_sgpr_workgroup_id_z 0
		.amdhsa_system_sgpr_workgroup_info 0
		.amdhsa_system_vgpr_workitem_id 0
		.amdhsa_next_free_vgpr 21
		.amdhsa_next_free_sgpr 36
		.amdhsa_named_barrier_count 0
		.amdhsa_reserve_vcc 1
		.amdhsa_float_round_mode_32 0
		.amdhsa_float_round_mode_16_64 0
		.amdhsa_float_denorm_mode_32 3
		.amdhsa_float_denorm_mode_16_64 3
		.amdhsa_fp16_overflow 0
		.amdhsa_memory_ordered 1
		.amdhsa_forward_progress 1
		.amdhsa_inst_pref_size 11
		.amdhsa_round_robin_scheduling 0
		.amdhsa_exception_fp_ieee_invalid_op 0
		.amdhsa_exception_fp_denorm_src 0
		.amdhsa_exception_fp_ieee_div_zero 0
		.amdhsa_exception_fp_ieee_overflow 0
		.amdhsa_exception_fp_ieee_underflow 0
		.amdhsa_exception_fp_ieee_inexact 0
		.amdhsa_exception_int_div_zero 0
	.end_amdhsa_kernel
	.section	.text._ZN2at6native12_GLOBAL__N_119compute_grad_weightIN3c104HalfElEEvPKT0_PKT_S7_llS7_PKlPNS_14AccumulateTypeIS8_Lb1EE4typeEl,"axG",@progbits,_ZN2at6native12_GLOBAL__N_119compute_grad_weightIN3c104HalfElEEvPKT0_PKT_S7_llS7_PKlPNS_14AccumulateTypeIS8_Lb1EE4typeEl,comdat
.Lfunc_end110:
	.size	_ZN2at6native12_GLOBAL__N_119compute_grad_weightIN3c104HalfElEEvPKT0_PKT_S7_llS7_PKlPNS_14AccumulateTypeIS8_Lb1EE4typeEl, .Lfunc_end110-_ZN2at6native12_GLOBAL__N_119compute_grad_weightIN3c104HalfElEEvPKT0_PKT_S7_llS7_PKlPNS_14AccumulateTypeIS8_Lb1EE4typeEl
                                        ; -- End function
	.set _ZN2at6native12_GLOBAL__N_119compute_grad_weightIN3c104HalfElEEvPKT0_PKT_S7_llS7_PKlPNS_14AccumulateTypeIS8_Lb1EE4typeEl.num_vgpr, 21
	.set _ZN2at6native12_GLOBAL__N_119compute_grad_weightIN3c104HalfElEEvPKT0_PKT_S7_llS7_PKlPNS_14AccumulateTypeIS8_Lb1EE4typeEl.num_agpr, 0
	.set _ZN2at6native12_GLOBAL__N_119compute_grad_weightIN3c104HalfElEEvPKT0_PKT_S7_llS7_PKlPNS_14AccumulateTypeIS8_Lb1EE4typeEl.numbered_sgpr, 36
	.set _ZN2at6native12_GLOBAL__N_119compute_grad_weightIN3c104HalfElEEvPKT0_PKT_S7_llS7_PKlPNS_14AccumulateTypeIS8_Lb1EE4typeEl.num_named_barrier, 0
	.set _ZN2at6native12_GLOBAL__N_119compute_grad_weightIN3c104HalfElEEvPKT0_PKT_S7_llS7_PKlPNS_14AccumulateTypeIS8_Lb1EE4typeEl.private_seg_size, 0
	.set _ZN2at6native12_GLOBAL__N_119compute_grad_weightIN3c104HalfElEEvPKT0_PKT_S7_llS7_PKlPNS_14AccumulateTypeIS8_Lb1EE4typeEl.uses_vcc, 1
	.set _ZN2at6native12_GLOBAL__N_119compute_grad_weightIN3c104HalfElEEvPKT0_PKT_S7_llS7_PKlPNS_14AccumulateTypeIS8_Lb1EE4typeEl.uses_flat_scratch, 0
	.set _ZN2at6native12_GLOBAL__N_119compute_grad_weightIN3c104HalfElEEvPKT0_PKT_S7_llS7_PKlPNS_14AccumulateTypeIS8_Lb1EE4typeEl.has_dyn_sized_stack, 0
	.set _ZN2at6native12_GLOBAL__N_119compute_grad_weightIN3c104HalfElEEvPKT0_PKT_S7_llS7_PKlPNS_14AccumulateTypeIS8_Lb1EE4typeEl.has_recursion, 0
	.set _ZN2at6native12_GLOBAL__N_119compute_grad_weightIN3c104HalfElEEvPKT0_PKT_S7_llS7_PKlPNS_14AccumulateTypeIS8_Lb1EE4typeEl.has_indirect_call, 0
	.section	.AMDGPU.csdata,"",@progbits
; Kernel info:
; codeLenInByte = 1372
; TotalNumSgprs: 38
; NumVgprs: 21
; ScratchSize: 0
; MemoryBound: 0
; FloatMode: 240
; IeeeMode: 1
; LDSByteSize: 0 bytes/workgroup (compile time only)
; SGPRBlocks: 0
; VGPRBlocks: 1
; NumSGPRsForWavesPerEU: 38
; NumVGPRsForWavesPerEU: 21
; NamedBarCnt: 0
; Occupancy: 16
; WaveLimiterHint : 1
; COMPUTE_PGM_RSRC2:SCRATCH_EN: 0
; COMPUTE_PGM_RSRC2:USER_SGPR: 2
; COMPUTE_PGM_RSRC2:TRAP_HANDLER: 0
; COMPUTE_PGM_RSRC2:TGID_X_EN: 1
; COMPUTE_PGM_RSRC2:TGID_Y_EN: 0
; COMPUTE_PGM_RSRC2:TGID_Z_EN: 0
; COMPUTE_PGM_RSRC2:TIDIG_COMP_CNT: 0
	.section	.text._ZN2at6native12_GLOBAL__N_115sum_and_scatterIN3c104HalfElEEvPKT0_PT_lS7_PKlPKNS_14AccumulateTypeIS8_Lb1EE4typeES7_SB_ll,"axG",@progbits,_ZN2at6native12_GLOBAL__N_115sum_and_scatterIN3c104HalfElEEvPKT0_PT_lS7_PKlPKNS_14AccumulateTypeIS8_Lb1EE4typeES7_SB_ll,comdat
	.globl	_ZN2at6native12_GLOBAL__N_115sum_and_scatterIN3c104HalfElEEvPKT0_PT_lS7_PKlPKNS_14AccumulateTypeIS8_Lb1EE4typeES7_SB_ll ; -- Begin function _ZN2at6native12_GLOBAL__N_115sum_and_scatterIN3c104HalfElEEvPKT0_PT_lS7_PKlPKNS_14AccumulateTypeIS8_Lb1EE4typeES7_SB_ll
	.p2align	8
	.type	_ZN2at6native12_GLOBAL__N_115sum_and_scatterIN3c104HalfElEEvPKT0_PT_lS7_PKlPKNS_14AccumulateTypeIS8_Lb1EE4typeES7_SB_ll,@function
_ZN2at6native12_GLOBAL__N_115sum_and_scatterIN3c104HalfElEEvPKT0_PT_lS7_PKlPKNS_14AccumulateTypeIS8_Lb1EE4typeES7_SB_ll: ; @_ZN2at6native12_GLOBAL__N_115sum_and_scatterIN3c104HalfElEEvPKT0_PT_lS7_PKlPKNS_14AccumulateTypeIS8_Lb1EE4typeES7_SB_ll
; %bb.0:
	s_clause 0x1
	s_load_b32 s2, s[0:1], 0x5c
	s_load_b128 s[20:23], s[0:1], 0x40
	s_bfe_u32 s3, ttmp6, 0x4000c
	s_and_b32 s4, ttmp6, 15
	s_add_co_i32 s3, s3, 1
	s_getreg_b32 s5, hwreg(HW_REG_IB_STS2, 6, 4)
	s_mul_i32 s3, ttmp9, s3
	v_mov_b32_e32 v1, 0
	s_add_co_i32 s4, s4, s3
	s_wait_kmcnt 0x0
	s_and_b32 s2, s2, 0xffff
	s_cmp_eq_u32 s5, 0
	s_cselect_b32 s3, ttmp9, s4
	s_load_b512 s[4:19], s[0:1], 0x0
	v_mad_nc_u64_u32 v[2:3], s2, s3, v[0:1]
	s_wait_xcnt 0x0
	s_mov_b32 s1, 0
	s_delay_alu instid0(VALU_DEP_1) | instskip(NEXT) | instid1(VALU_DEP_1)
	v_dual_mov_b32 v4, v1 :: v_dual_bitop2_b32 v5, s23, v3 bitop3:0x54
	v_cmp_ne_u64_e32 vcc_lo, 0, v[4:5]
                                        ; implicit-def: $vgpr4_vgpr5
	s_and_saveexec_b32 s0, vcc_lo
	s_delay_alu instid0(SALU_CYCLE_1)
	s_xor_b32 s26, exec_lo, s0
	s_cbranch_execz .LBB111_2
; %bb.1:
	s_ashr_i32 s2, s23, 31
	v_dual_mov_b32 v9, v1 :: v_dual_ashrrev_i32 v4, 31, v3
	s_mov_b32 s3, s2
	v_mov_b32_e32 v15, v1
	s_add_nc_u64 s[24:25], s[22:23], s[2:3]
	s_delay_alu instid0(VALU_DEP_2) | instskip(SKIP_1) | instid1(SALU_CYCLE_1)
	v_mov_b32_e32 v5, v4
	s_xor_b64 s[24:25], s[24:25], s[2:3]
	s_cvt_f32_u32 s0, s24
	s_cvt_f32_u32 s3, s25
	s_sub_nc_u64 s[30:31], 0, s[24:25]
	v_add_nc_u64_e32 v[6:7], v[2:3], v[4:5]
	s_delay_alu instid0(SALU_CYCLE_1) | instskip(NEXT) | instid1(SALU_CYCLE_3)
	s_fmamk_f32 s0, s3, 0x4f800000, s0
	v_s_rcp_f32 s0, s0
	s_delay_alu instid0(VALU_DEP_1) | instskip(NEXT) | instid1(VALU_DEP_2)
	v_xor_b32_e32 v0, v6, v4
	v_xor_b32_e32 v8, v7, v4
	s_delay_alu instid0(TRANS32_DEP_1) | instskip(NEXT) | instid1(SALU_CYCLE_3)
	s_mul_f32 s0, s0, 0x5f7ffffc
	s_mul_f32 s3, s0, 0x2f800000
	s_delay_alu instid0(SALU_CYCLE_3) | instskip(NEXT) | instid1(SALU_CYCLE_3)
	s_trunc_f32 s3, s3
	s_fmamk_f32 s0, s3, 0xcf800000, s0
	s_cvt_u32_f32 s29, s3
	s_delay_alu instid0(SALU_CYCLE_2) | instskip(NEXT) | instid1(SALU_CYCLE_3)
	s_cvt_u32_f32 s28, s0
	s_mul_u64 s[34:35], s[30:31], s[28:29]
	s_delay_alu instid0(SALU_CYCLE_1)
	s_mul_hi_u32 s37, s28, s35
	s_mul_i32 s36, s28, s35
	s_mul_hi_u32 s0, s28, s34
	s_mul_i32 s27, s29, s34
	s_add_nc_u64 s[36:37], s[0:1], s[36:37]
	s_mul_hi_u32 s3, s29, s34
	s_mul_hi_u32 s33, s29, s35
	s_add_co_u32 s0, s36, s27
	s_add_co_ci_u32 s0, s37, s3
	s_mul_i32 s34, s29, s35
	s_add_co_ci_u32 s35, s33, 0
	s_delay_alu instid0(SALU_CYCLE_1) | instskip(NEXT) | instid1(SALU_CYCLE_1)
	s_add_nc_u64 s[34:35], s[0:1], s[34:35]
	s_add_co_u32 s28, s28, s34
	s_cselect_b32 s0, -1, 0
	s_delay_alu instid0(SALU_CYCLE_1) | instskip(SKIP_1) | instid1(SALU_CYCLE_1)
	s_cmp_lg_u32 s0, 0
	s_add_co_ci_u32 s29, s29, s35
	s_mul_u64 s[30:31], s[30:31], s[28:29]
	s_delay_alu instid0(SALU_CYCLE_1)
	s_mul_hi_u32 s35, s28, s31
	s_mul_i32 s34, s28, s31
	s_mul_hi_u32 s0, s28, s30
	s_mul_i32 s27, s29, s30
	s_add_nc_u64 s[34:35], s[0:1], s[34:35]
	s_mul_hi_u32 s3, s29, s30
	s_mul_hi_u32 s33, s29, s31
	s_add_co_u32 s0, s34, s27
	s_add_co_ci_u32 s0, s35, s3
	s_mul_i32 s30, s29, s31
	s_add_co_ci_u32 s31, s33, 0
	s_delay_alu instid0(SALU_CYCLE_1) | instskip(NEXT) | instid1(SALU_CYCLE_1)
	s_add_nc_u64 s[30:31], s[0:1], s[30:31]
	s_add_co_u32 s28, s28, s30
	s_cselect_b32 s0, -1, 0
	v_mul_hi_u32 v14, v0, s28
	s_cmp_lg_u32 s0, 0
	s_add_co_ci_u32 s0, s29, s31
	s_mov_b64 s[30:31], 0xffffffff
	v_mul_u64_e32 v[10:11], s[0:1], v[0:1]
	s_and_b64 s[30:31], s[28:29], s[30:31]
	v_mul_u64_e32 v[12:13], s[0:1], v[8:9]
	v_mul_u64_e32 v[6:7], s[30:31], v[8:9]
	s_delay_alu instid0(VALU_DEP_3) | instskip(NEXT) | instid1(VALU_DEP_1)
	v_add_nc_u64_e32 v[10:11], v[14:15], v[10:11]
	v_add_co_u32 v1, vcc_lo, v10, v6
	s_delay_alu instid0(VALU_DEP_2) | instskip(SKIP_1) | instid1(VALU_DEP_1)
	v_add_co_ci_u32_e32 v14, vcc_lo, v11, v7, vcc_lo
	v_add_co_ci_u32_e32 v13, vcc_lo, 0, v13, vcc_lo
	v_add_nc_u64_e32 v[6:7], v[14:15], v[12:13]
	s_delay_alu instid0(VALU_DEP_1) | instskip(NEXT) | instid1(VALU_DEP_1)
	v_mul_u64_e32 v[10:11], s[24:25], v[6:7]
	v_sub_nc_u32_e32 v1, v8, v11
	s_delay_alu instid0(VALU_DEP_2) | instskip(NEXT) | instid1(VALU_DEP_1)
	v_sub_co_u32 v0, vcc_lo, v0, v10
	v_sub_co_ci_u32_e64 v10, null, v8, v11, vcc_lo
	s_delay_alu instid0(VALU_DEP_3) | instskip(NEXT) | instid1(VALU_DEP_3)
	v_subrev_co_ci_u32_e64 v1, null, s25, v1, vcc_lo
	v_sub_co_u32 v5, s0, v0, s24
	s_delay_alu instid0(VALU_DEP_1) | instskip(NEXT) | instid1(VALU_DEP_2)
	v_subrev_co_ci_u32_e64 v1, null, 0, v1, s0
	v_cmp_le_u32_e32 vcc_lo, s24, v5
	v_cndmask_b32_e64 v5, 0, -1, vcc_lo
	s_delay_alu instid0(VALU_DEP_3)
	v_cmp_le_u32_e32 vcc_lo, s25, v1
	v_cndmask_b32_e64 v8, 0, -1, vcc_lo
	v_cmp_le_u32_e32 vcc_lo, s24, v0
	v_cndmask_b32_e64 v11, 0, -1, vcc_lo
	;; [unrolled: 2-line block ×3, first 2 shown]
	v_cmp_eq_u32_e32 vcc_lo, s25, v1
	v_add_nc_u64_e32 v[0:1], 2, v[6:7]
	v_cndmask_b32_e32 v5, v8, v5, vcc_lo
	v_cmp_eq_u32_e32 vcc_lo, s25, v10
	v_add_nc_u64_e32 v[8:9], 1, v[6:7]
	v_cndmask_b32_e32 v10, v12, v11, vcc_lo
	s_delay_alu instid0(VALU_DEP_4) | instskip(NEXT) | instid1(VALU_DEP_3)
	v_cmp_ne_u32_e32 vcc_lo, 0, v5
	v_cndmask_b32_e32 v1, v9, v1, vcc_lo
	s_delay_alu instid0(VALU_DEP_3) | instskip(SKIP_1) | instid1(VALU_DEP_2)
	v_cmp_ne_u32_e64 s0, 0, v10
	v_cndmask_b32_e32 v5, v8, v0, vcc_lo
	v_dual_cndmask_b32 v4, v7, v1, s0 :: v_dual_bitop2_b32 v0, s2, v4 bitop3:0x14
	s_delay_alu instid0(VALU_DEP_1) | instskip(NEXT) | instid1(VALU_DEP_2)
	v_dual_cndmask_b32 v6, v6, v5, s0 :: v_dual_mov_b32 v1, v0
	v_xor_b32_e32 v5, v4, v0
	s_delay_alu instid0(VALU_DEP_2) | instskip(NEXT) | instid1(VALU_DEP_1)
	v_xor_b32_e32 v4, v6, v0
	v_sub_nc_u64_e32 v[4:5], v[4:5], v[0:1]
.LBB111_2:
	s_or_saveexec_b32 s0, s26
	s_wait_kmcnt 0x0
	s_load_b64 s[2:3], s[12:13], 0x0
	s_xor_b32 exec_lo, exec_lo, s0
	s_cbranch_execz .LBB111_4
; %bb.3:
	v_cvt_f32_u32_e32 v0, s22
	s_sub_co_i32 s1, 0, s22
	s_delay_alu instid0(VALU_DEP_1) | instskip(SKIP_1) | instid1(TRANS32_DEP_1)
	v_rcp_iflag_f32_e32 v0, v0
	v_nop
	v_mul_f32_e32 v0, 0x4f7ffffe, v0
	s_delay_alu instid0(VALU_DEP_1) | instskip(NEXT) | instid1(VALU_DEP_1)
	v_cvt_u32_f32_e32 v0, v0
	v_mul_lo_u32 v1, s1, v0
	s_delay_alu instid0(VALU_DEP_1) | instskip(NEXT) | instid1(VALU_DEP_1)
	v_mul_hi_u32 v1, v0, v1
	v_add_nc_u32_e32 v0, v0, v1
	s_delay_alu instid0(VALU_DEP_1) | instskip(NEXT) | instid1(VALU_DEP_1)
	v_mul_hi_u32 v0, v2, v0
	v_mul_lo_u32 v1, v0, s22
	s_delay_alu instid0(VALU_DEP_1) | instskip(NEXT) | instid1(VALU_DEP_1)
	v_sub_nc_u32_e32 v1, v2, v1
	v_subrev_nc_u32_e32 v5, s22, v1
	v_cmp_le_u32_e32 vcc_lo, s22, v1
	s_delay_alu instid0(VALU_DEP_2) | instskip(NEXT) | instid1(VALU_DEP_1)
	v_dual_cndmask_b32 v1, v1, v5 :: v_dual_add_nc_u32 v4, 1, v0
	v_dual_cndmask_b32 v0, v0, v4 :: v_dual_mov_b32 v5, 0
	s_delay_alu instid0(VALU_DEP_2) | instskip(NEXT) | instid1(VALU_DEP_2)
	v_cmp_le_u32_e32 vcc_lo, s22, v1
	v_add_nc_u32_e32 v4, 1, v0
	s_delay_alu instid0(VALU_DEP_1)
	v_cndmask_b32_e32 v4, v0, v4, vcc_lo
.LBB111_4:
	s_or_b32 exec_lo, exec_lo, s0
	s_delay_alu instid0(VALU_DEP_1) | instskip(SKIP_2) | instid1(VALU_DEP_2)
	v_mul_u64_e32 v[8:9], s[22:23], v[4:5]
	s_wait_kmcnt 0x0
	v_cmp_gt_i64_e64 s0, s[2:3], v[4:5]
	v_sub_nc_u64_e32 v[0:1], v[2:3], v[8:9]
	s_delay_alu instid0(VALU_DEP_1) | instskip(SKIP_1) | instid1(SALU_CYCLE_1)
	v_cmp_gt_i64_e32 vcc_lo, s[8:9], v[0:1]
	s_and_b32 s0, vcc_lo, s0
	s_and_saveexec_b32 s1, s0
	s_cbranch_execz .LBB111_11
; %bb.5:
	v_lshl_add_u64 v[12:13], v[4:5], 3, s[16:17]
	s_add_nc_u64 s[0:1], s[2:3], -1
	s_mov_b32 s2, exec_lo
	v_cmp_eq_u64_e32 vcc_lo, s[0:1], v[4:5]
	s_delay_alu instid0(VALU_DEP_2) | instskip(NEXT) | instid1(VALU_DEP_1)
	v_add_nc_u64_e32 v[6:7], 8, v[12:13]
	v_cndmask_b32_e64 v15, v7, s19, vcc_lo
	s_delay_alu instid0(VALU_DEP_2)
	v_cndmask_b32_e64 v14, v6, s18, vcc_lo
	v_mov_b32_e32 v7, 0
	global_load_b32 v6, v[12:13], off
	global_load_b32 v10, v[14:15], off
	s_wait_loadcnt 0x0
	v_cmpx_lt_i32_e64 v6, v10
	s_cbranch_execz .LBB111_9
; %bb.6:
	v_ashrrev_i32_e32 v7, 31, v6
	v_lshlrev_b64_e32 v[2:3], 2, v[2:3]
	v_lshlrev_b64_e32 v[8:9], 2, v[8:9]
	s_lshl_b64 s[0:1], s[8:9], 2
	s_mov_b32 s3, 0
	v_mul_u64_e32 v[12:13], s[8:9], v[6:7]
	v_mov_b32_e32 v7, 0
	s_delay_alu instid0(VALU_DEP_2) | instskip(NEXT) | instid1(VALU_DEP_1)
	v_lshl_add_u64 v[2:3], v[12:13], 2, v[2:3]
	v_sub_nc_u64_e32 v[2:3], v[2:3], v[8:9]
	s_delay_alu instid0(VALU_DEP_1)
	v_add_nc_u64_e32 v[2:3], s[14:15], v[2:3]
.LBB111_7:                              ; =>This Inner Loop Header: Depth=1
	global_load_b32 v8, v[2:3], off
	v_add_nc_u32_e32 v6, 1, v6
	s_wait_xcnt 0x0
	v_add_nc_u64_e32 v[2:3], s[0:1], v[2:3]
	s_wait_loadcnt 0x0
	v_add_f32_e32 v7, v7, v8
	v_cmp_ge_i32_e32 vcc_lo, v6, v10
	s_or_b32 s3, vcc_lo, s3
	s_delay_alu instid0(SALU_CYCLE_1)
	s_and_not1_b32 exec_lo, exec_lo, s3
	s_cbranch_execnz .LBB111_7
; %bb.8:
	s_or_b32 exec_lo, exec_lo, s3
	v_cvt_f16_f32_e32 v7, v7
.LBB111_9:
	s_or_b32 exec_lo, exec_lo, s2
	v_lshl_add_u64 v[2:3], v[4:5], 3, s[10:11]
	global_load_b64 v[2:3], v[2:3], off
	s_wait_loadcnt 0x0
	v_lshl_add_u64 v[2:3], v[2:3], 3, s[4:5]
	global_load_b64 v[2:3], v[2:3], off
	s_wait_loadcnt 0x0
	v_cmp_ne_u64_e32 vcc_lo, s[20:21], v[2:3]
	s_and_b32 exec_lo, exec_lo, vcc_lo
	s_cbranch_execz .LBB111_11
; %bb.10:
	v_mul_u64_e32 v[2:3], s[8:9], v[2:3]
	s_delay_alu instid0(VALU_DEP_1) | instskip(NEXT) | instid1(VALU_DEP_1)
	v_lshl_add_u64 v[2:3], v[2:3], 1, s[6:7]
	v_lshl_add_u64 v[0:1], v[0:1], 1, v[2:3]
	global_store_b16 v[0:1], v7, off
.LBB111_11:
	s_endpgm
	.section	.rodata,"a",@progbits
	.p2align	6, 0x0
	.amdhsa_kernel _ZN2at6native12_GLOBAL__N_115sum_and_scatterIN3c104HalfElEEvPKT0_PT_lS7_PKlPKNS_14AccumulateTypeIS8_Lb1EE4typeES7_SB_ll
		.amdhsa_group_segment_fixed_size 0
		.amdhsa_private_segment_fixed_size 0
		.amdhsa_kernarg_size 336
		.amdhsa_user_sgpr_count 2
		.amdhsa_user_sgpr_dispatch_ptr 0
		.amdhsa_user_sgpr_queue_ptr 0
		.amdhsa_user_sgpr_kernarg_segment_ptr 1
		.amdhsa_user_sgpr_dispatch_id 0
		.amdhsa_user_sgpr_kernarg_preload_length 0
		.amdhsa_user_sgpr_kernarg_preload_offset 0
		.amdhsa_user_sgpr_private_segment_size 0
		.amdhsa_wavefront_size32 1
		.amdhsa_uses_dynamic_stack 0
		.amdhsa_enable_private_segment 0
		.amdhsa_system_sgpr_workgroup_id_x 1
		.amdhsa_system_sgpr_workgroup_id_y 0
		.amdhsa_system_sgpr_workgroup_id_z 0
		.amdhsa_system_sgpr_workgroup_info 0
		.amdhsa_system_vgpr_workitem_id 0
		.amdhsa_next_free_vgpr 16
		.amdhsa_next_free_sgpr 38
		.amdhsa_named_barrier_count 0
		.amdhsa_reserve_vcc 1
		.amdhsa_float_round_mode_32 0
		.amdhsa_float_round_mode_16_64 0
		.amdhsa_float_denorm_mode_32 3
		.amdhsa_float_denorm_mode_16_64 3
		.amdhsa_fp16_overflow 0
		.amdhsa_memory_ordered 1
		.amdhsa_forward_progress 1
		.amdhsa_inst_pref_size 10
		.amdhsa_round_robin_scheduling 0
		.amdhsa_exception_fp_ieee_invalid_op 0
		.amdhsa_exception_fp_denorm_src 0
		.amdhsa_exception_fp_ieee_div_zero 0
		.amdhsa_exception_fp_ieee_overflow 0
		.amdhsa_exception_fp_ieee_underflow 0
		.amdhsa_exception_fp_ieee_inexact 0
		.amdhsa_exception_int_div_zero 0
	.end_amdhsa_kernel
	.section	.text._ZN2at6native12_GLOBAL__N_115sum_and_scatterIN3c104HalfElEEvPKT0_PT_lS7_PKlPKNS_14AccumulateTypeIS8_Lb1EE4typeES7_SB_ll,"axG",@progbits,_ZN2at6native12_GLOBAL__N_115sum_and_scatterIN3c104HalfElEEvPKT0_PT_lS7_PKlPKNS_14AccumulateTypeIS8_Lb1EE4typeES7_SB_ll,comdat
.Lfunc_end111:
	.size	_ZN2at6native12_GLOBAL__N_115sum_and_scatterIN3c104HalfElEEvPKT0_PT_lS7_PKlPKNS_14AccumulateTypeIS8_Lb1EE4typeES7_SB_ll, .Lfunc_end111-_ZN2at6native12_GLOBAL__N_115sum_and_scatterIN3c104HalfElEEvPKT0_PT_lS7_PKlPKNS_14AccumulateTypeIS8_Lb1EE4typeES7_SB_ll
                                        ; -- End function
	.set _ZN2at6native12_GLOBAL__N_115sum_and_scatterIN3c104HalfElEEvPKT0_PT_lS7_PKlPKNS_14AccumulateTypeIS8_Lb1EE4typeES7_SB_ll.num_vgpr, 16
	.set _ZN2at6native12_GLOBAL__N_115sum_and_scatterIN3c104HalfElEEvPKT0_PT_lS7_PKlPKNS_14AccumulateTypeIS8_Lb1EE4typeES7_SB_ll.num_agpr, 0
	.set _ZN2at6native12_GLOBAL__N_115sum_and_scatterIN3c104HalfElEEvPKT0_PT_lS7_PKlPKNS_14AccumulateTypeIS8_Lb1EE4typeES7_SB_ll.numbered_sgpr, 38
	.set _ZN2at6native12_GLOBAL__N_115sum_and_scatterIN3c104HalfElEEvPKT0_PT_lS7_PKlPKNS_14AccumulateTypeIS8_Lb1EE4typeES7_SB_ll.num_named_barrier, 0
	.set _ZN2at6native12_GLOBAL__N_115sum_and_scatterIN3c104HalfElEEvPKT0_PT_lS7_PKlPKNS_14AccumulateTypeIS8_Lb1EE4typeES7_SB_ll.private_seg_size, 0
	.set _ZN2at6native12_GLOBAL__N_115sum_and_scatterIN3c104HalfElEEvPKT0_PT_lS7_PKlPKNS_14AccumulateTypeIS8_Lb1EE4typeES7_SB_ll.uses_vcc, 1
	.set _ZN2at6native12_GLOBAL__N_115sum_and_scatterIN3c104HalfElEEvPKT0_PT_lS7_PKlPKNS_14AccumulateTypeIS8_Lb1EE4typeES7_SB_ll.uses_flat_scratch, 0
	.set _ZN2at6native12_GLOBAL__N_115sum_and_scatterIN3c104HalfElEEvPKT0_PT_lS7_PKlPKNS_14AccumulateTypeIS8_Lb1EE4typeES7_SB_ll.has_dyn_sized_stack, 0
	.set _ZN2at6native12_GLOBAL__N_115sum_and_scatterIN3c104HalfElEEvPKT0_PT_lS7_PKlPKNS_14AccumulateTypeIS8_Lb1EE4typeES7_SB_ll.has_recursion, 0
	.set _ZN2at6native12_GLOBAL__N_115sum_and_scatterIN3c104HalfElEEvPKT0_PT_lS7_PKlPKNS_14AccumulateTypeIS8_Lb1EE4typeES7_SB_ll.has_indirect_call, 0
	.section	.AMDGPU.csdata,"",@progbits
; Kernel info:
; codeLenInByte = 1212
; TotalNumSgprs: 40
; NumVgprs: 16
; ScratchSize: 0
; MemoryBound: 0
; FloatMode: 240
; IeeeMode: 1
; LDSByteSize: 0 bytes/workgroup (compile time only)
; SGPRBlocks: 0
; VGPRBlocks: 0
; NumSGPRsForWavesPerEU: 40
; NumVGPRsForWavesPerEU: 16
; NamedBarCnt: 0
; Occupancy: 16
; WaveLimiterHint : 1
; COMPUTE_PGM_RSRC2:SCRATCH_EN: 0
; COMPUTE_PGM_RSRC2:USER_SGPR: 2
; COMPUTE_PGM_RSRC2:TRAP_HANDLER: 0
; COMPUTE_PGM_RSRC2:TGID_X_EN: 1
; COMPUTE_PGM_RSRC2:TGID_Y_EN: 0
; COMPUTE_PGM_RSRC2:TGID_Z_EN: 0
; COMPUTE_PGM_RSRC2:TIDIG_COMP_CNT: 0
	.section	.text._ZN2at6native12_GLOBAL__N_137compute_grad_weight_atomic_accumulateIN3c108BFloat16EflEEvPKT1_PKT_S7_llS7_PKlS7_S7_S7_PT0_ll,"axG",@progbits,_ZN2at6native12_GLOBAL__N_137compute_grad_weight_atomic_accumulateIN3c108BFloat16EflEEvPKT1_PKT_S7_llS7_PKlS7_S7_S7_PT0_ll,comdat
	.globl	_ZN2at6native12_GLOBAL__N_137compute_grad_weight_atomic_accumulateIN3c108BFloat16EflEEvPKT1_PKT_S7_llS7_PKlS7_S7_S7_PT0_ll ; -- Begin function _ZN2at6native12_GLOBAL__N_137compute_grad_weight_atomic_accumulateIN3c108BFloat16EflEEvPKT1_PKT_S7_llS7_PKlS7_S7_S7_PT0_ll
	.p2align	8
	.type	_ZN2at6native12_GLOBAL__N_137compute_grad_weight_atomic_accumulateIN3c108BFloat16EflEEvPKT1_PKT_S7_llS7_PKlS7_S7_S7_PT0_ll,@function
_ZN2at6native12_GLOBAL__N_137compute_grad_weight_atomic_accumulateIN3c108BFloat16EflEEvPKT1_PKT_S7_llS7_PKlS7_S7_S7_PT0_ll: ; @_ZN2at6native12_GLOBAL__N_137compute_grad_weight_atomic_accumulateIN3c108BFloat16EflEEvPKT1_PKT_S7_llS7_PKlS7_S7_S7_PT0_ll
; %bb.0:
	s_clause 0x1
	s_load_b32 s2, s[0:1], 0x74
	s_load_b64 s[20:21], s[0:1], 0x60
	s_bfe_u32 s3, ttmp6, 0x4000c
	s_and_b32 s4, ttmp6, 15
	s_add_co_i32 s3, s3, 1
	s_getreg_b32 s5, hwreg(HW_REG_IB_STS2, 6, 4)
	s_mul_i32 s3, ttmp9, s3
                                        ; implicit-def: $vgpr2_vgpr3
	v_mov_b32_e32 v4, 0
	s_add_co_i32 s4, s4, s3
	s_wait_kmcnt 0x0
	s_and_b32 s2, s2, 0xffff
	s_cmp_eq_u32 s5, 0
	s_cselect_b32 s3, ttmp9, s4
	s_delay_alu instid0(SALU_CYCLE_1) | instskip(SKIP_2) | instid1(VALU_DEP_1)
	v_mad_u32 v0, s3, s2, v0
	s_mov_b32 s3, 0
	s_mov_b32 s2, exec_lo
	v_ashrrev_i32_e32 v1, 31, v0
	s_delay_alu instid0(VALU_DEP_1) | instskip(NEXT) | instid1(VALU_DEP_1)
	v_or_b32_e32 v5, s21, v1
	v_cmpx_ne_u64_e32 0, v[4:5]
	s_xor_b32 s8, exec_lo, s2
	s_cbranch_execz .LBB112_2
; %bb.1:
	s_ashr_i32 s4, s21, 31
	v_dual_mov_b32 v9, v4 :: v_dual_ashrrev_i32 v2, 31, v1
	s_mov_b32 s5, s4
	v_mov_b32_e32 v11, v4
	s_add_nc_u64 s[6:7], s[20:21], s[4:5]
	s_delay_alu instid0(VALU_DEP_2)
	v_mov_b32_e32 v3, v2
	s_xor_b64 s[6:7], s[6:7], s[4:5]
	v_mov_b32_e32 v17, v4
	s_cvt_f32_u32 s2, s6
	s_cvt_f32_u32 s5, s7
	s_sub_nc_u64 s[12:13], 0, s[6:7]
	v_add_nc_u64_e32 v[6:7], v[0:1], v[2:3]
	v_mov_b32_e32 v5, v4
	s_fmamk_f32 s2, s5, 0x4f800000, s2
	s_delay_alu instid0(SALU_CYCLE_3) | instskip(NEXT) | instid1(VALU_DEP_2)
	v_s_rcp_f32 s2, s2
	v_xor_b32_e32 v8, v6, v2
	s_delay_alu instid0(VALU_DEP_3) | instskip(SKIP_1) | instid1(TRANS32_DEP_1)
	v_xor_b32_e32 v10, v7, v2
	v_xor_b32_e32 v2, s4, v2
	s_mul_f32 s2, s2, 0x5f7ffffc
	s_delay_alu instid0(SALU_CYCLE_3) | instskip(NEXT) | instid1(SALU_CYCLE_3)
	s_mul_f32 s5, s2, 0x2f800000
	s_trunc_f32 s5, s5
	s_delay_alu instid0(SALU_CYCLE_3) | instskip(SKIP_1) | instid1(SALU_CYCLE_2)
	s_fmamk_f32 s2, s5, 0xcf800000, s2
	s_cvt_u32_f32 s11, s5
	s_cvt_u32_f32 s10, s2
	s_delay_alu instid0(SALU_CYCLE_3) | instskip(NEXT) | instid1(SALU_CYCLE_1)
	s_mul_u64 s[14:15], s[12:13], s[10:11]
	s_mul_hi_u32 s17, s10, s15
	s_mul_i32 s16, s10, s15
	s_mul_hi_u32 s2, s10, s14
	s_mul_i32 s9, s11, s14
	s_add_nc_u64 s[16:17], s[2:3], s[16:17]
	s_mul_hi_u32 s5, s11, s14
	s_mul_hi_u32 s18, s11, s15
	s_add_co_u32 s2, s16, s9
	s_add_co_ci_u32 s2, s17, s5
	s_mul_i32 s14, s11, s15
	s_add_co_ci_u32 s15, s18, 0
	s_delay_alu instid0(SALU_CYCLE_1) | instskip(NEXT) | instid1(SALU_CYCLE_1)
	s_add_nc_u64 s[14:15], s[2:3], s[14:15]
	s_add_co_u32 s10, s10, s14
	s_cselect_b32 s2, -1, 0
	s_delay_alu instid0(SALU_CYCLE_1) | instskip(SKIP_1) | instid1(SALU_CYCLE_1)
	s_cmp_lg_u32 s2, 0
	s_add_co_ci_u32 s11, s11, s15
	s_mul_u64 s[12:13], s[12:13], s[10:11]
	s_delay_alu instid0(SALU_CYCLE_1)
	s_mul_hi_u32 s15, s10, s13
	s_mul_i32 s14, s10, s13
	s_mul_hi_u32 s2, s10, s12
	s_mul_i32 s9, s11, s12
	s_add_nc_u64 s[14:15], s[2:3], s[14:15]
	s_mul_hi_u32 s5, s11, s12
	s_mul_hi_u32 s16, s11, s13
	s_add_co_u32 s2, s14, s9
	s_add_co_ci_u32 s2, s15, s5
	s_mul_i32 s12, s11, s13
	s_add_co_ci_u32 s13, s16, 0
	s_delay_alu instid0(SALU_CYCLE_1) | instskip(NEXT) | instid1(SALU_CYCLE_1)
	s_add_nc_u64 s[12:13], s[2:3], s[12:13]
	s_add_co_u32 s10, s10, s12
	s_cselect_b32 s2, -1, 0
	v_mul_hi_u32 v16, v8, s10
	s_cmp_lg_u32 s2, 0
	s_add_co_ci_u32 s2, s11, s13
	s_mov_b64 s[12:13], 0xffffffff
	v_mul_u64_e32 v[12:13], s[2:3], v[8:9]
	s_and_b64 s[12:13], s[10:11], s[12:13]
	v_mul_u64_e32 v[14:15], s[2:3], v[10:11]
	v_mul_u64_e32 v[6:7], s[12:13], v[10:11]
	s_delay_alu instid0(VALU_DEP_3) | instskip(NEXT) | instid1(VALU_DEP_1)
	v_add_nc_u64_e32 v[12:13], v[16:17], v[12:13]
	v_add_co_u32 v3, vcc_lo, v12, v6
	s_delay_alu instid0(VALU_DEP_2) | instskip(SKIP_1) | instid1(VALU_DEP_1)
	v_add_co_ci_u32_e32 v4, vcc_lo, v13, v7, vcc_lo
	v_add_co_ci_u32_e32 v15, vcc_lo, 0, v15, vcc_lo
	v_add_nc_u64_e32 v[4:5], v[4:5], v[14:15]
	s_delay_alu instid0(VALU_DEP_1) | instskip(NEXT) | instid1(VALU_DEP_1)
	v_mul_u64_e32 v[6:7], s[6:7], v[4:5]
	v_sub_nc_u32_e32 v3, v10, v7
	s_delay_alu instid0(VALU_DEP_2) | instskip(NEXT) | instid1(VALU_DEP_1)
	v_sub_co_u32 v6, vcc_lo, v8, v6
	v_sub_co_ci_u32_e64 v10, null, v10, v7, vcc_lo
	s_delay_alu instid0(VALU_DEP_3) | instskip(NEXT) | instid1(VALU_DEP_3)
	v_subrev_co_ci_u32_e64 v3, null, s7, v3, vcc_lo
	v_sub_co_u32 v8, s2, v6, s6
	s_delay_alu instid0(VALU_DEP_1) | instskip(NEXT) | instid1(VALU_DEP_2)
	v_subrev_co_ci_u32_e64 v3, null, 0, v3, s2
	v_cmp_le_u32_e32 vcc_lo, s6, v8
	v_cndmask_b32_e64 v7, 0, -1, vcc_lo
	s_delay_alu instid0(VALU_DEP_3)
	v_cmp_le_u32_e32 vcc_lo, s7, v3
	v_cndmask_b32_e64 v8, 0, -1, vcc_lo
	v_cmp_le_u32_e32 vcc_lo, s6, v6
	v_cndmask_b32_e64 v11, 0, -1, vcc_lo
	;; [unrolled: 2-line block ×3, first 2 shown]
	v_cmp_eq_u32_e32 vcc_lo, s7, v3
	v_cndmask_b32_e32 v3, v8, v7, vcc_lo
	v_cmp_eq_u32_e32 vcc_lo, s7, v10
	v_add_nc_u64_e32 v[6:7], 2, v[4:5]
	v_add_nc_u64_e32 v[8:9], 1, v[4:5]
	v_cndmask_b32_e32 v10, v12, v11, vcc_lo
	v_cmp_ne_u32_e32 vcc_lo, 0, v3
	s_delay_alu instid0(VALU_DEP_2) | instskip(NEXT) | instid1(VALU_DEP_4)
	v_cmp_ne_u32_e64 s2, 0, v10
	v_dual_cndmask_b32 v6, v8, v6 :: v_dual_cndmask_b32 v3, v9, v7
	s_delay_alu instid0(VALU_DEP_1) | instskip(NEXT) | instid1(VALU_DEP_1)
	v_dual_cndmask_b32 v4, v4, v6, s2 :: v_dual_cndmask_b32 v5, v5, v3, s2
	v_dual_mov_b32 v3, v2 :: v_dual_bitop2_b32 v4, v4, v2 bitop3:0x14
	s_delay_alu instid0(VALU_DEP_2) | instskip(NEXT) | instid1(VALU_DEP_1)
	v_xor_b32_e32 v5, v5, v2
	v_sub_nc_u64_e32 v[2:3], v[4:5], v[2:3]
.LBB112_2:
	s_or_saveexec_b32 s2, s8
	s_load_b512 s[4:19], s[0:1], 0x0
	s_xor_b32 exec_lo, exec_lo, s2
	s_cbranch_execz .LBB112_4
; %bb.3:
	v_cvt_f32_u32_e32 v2, s20
	s_sub_co_i32 s3, 0, s20
	s_delay_alu instid0(VALU_DEP_1) | instskip(SKIP_1) | instid1(TRANS32_DEP_1)
	v_rcp_iflag_f32_e32 v2, v2
	v_nop
	v_mul_f32_e32 v2, 0x4f7ffffe, v2
	s_delay_alu instid0(VALU_DEP_1) | instskip(NEXT) | instid1(VALU_DEP_1)
	v_cvt_u32_f32_e32 v2, v2
	v_mul_lo_u32 v3, s3, v2
	s_delay_alu instid0(VALU_DEP_1) | instskip(NEXT) | instid1(VALU_DEP_1)
	v_mul_hi_u32 v3, v2, v3
	v_add_nc_u32_e32 v2, v2, v3
	s_delay_alu instid0(VALU_DEP_1) | instskip(NEXT) | instid1(VALU_DEP_1)
	v_mul_hi_u32 v2, v0, v2
	v_mul_lo_u32 v3, v2, s20
	s_delay_alu instid0(VALU_DEP_1) | instskip(NEXT) | instid1(VALU_DEP_1)
	v_dual_add_nc_u32 v4, 1, v2 :: v_dual_sub_nc_u32 v3, v0, v3
	v_subrev_nc_u32_e32 v5, s20, v3
	v_cmp_le_u32_e32 vcc_lo, s20, v3
	s_delay_alu instid0(VALU_DEP_2) | instskip(NEXT) | instid1(VALU_DEP_1)
	v_dual_cndmask_b32 v3, v3, v5 :: v_dual_cndmask_b32 v2, v2, v4
	v_cmp_le_u32_e32 vcc_lo, s20, v3
	s_delay_alu instid0(VALU_DEP_2) | instskip(NEXT) | instid1(VALU_DEP_1)
	v_dual_mov_b32 v3, 0 :: v_dual_add_nc_u32 v4, 1, v2
	v_cndmask_b32_e32 v2, v2, v4, vcc_lo
.LBB112_4:
	s_or_b32 exec_lo, exec_lo, s2
	s_delay_alu instid0(VALU_DEP_1) | instskip(SKIP_1) | instid1(VALU_DEP_1)
	v_mul_u64_e32 v[4:5], s[20:21], v[2:3]
	s_mov_b32 s2, exec_lo
	v_sub_nc_u64_e32 v[0:1], v[0:1], v[4:5]
	s_wait_kmcnt 0x0
	s_delay_alu instid0(VALU_DEP_1)
	v_cmpx_gt_i64_e64 s[12:13], v[0:1]
	s_cbranch_execz .LBB112_17
; %bb.5:
	s_load_b64 s[2:3], s[16:17], 0x0
	v_ashrrev_i32_e32 v3, 31, v2
	s_wait_kmcnt 0x0
	s_delay_alu instid0(VALU_DEP_1)
	v_cmp_gt_i64_e32 vcc_lo, s[2:3], v[2:3]
	s_and_b32 exec_lo, exec_lo, vcc_lo
	s_cbranch_execz .LBB112_17
; %bb.6:
	v_lshl_add_u64 v[4:5], v[2:3], 3, s[14:15]
	s_load_b256 s[20:27], s[0:1], 0x40
	s_wait_xcnt 0x0
	s_add_nc_u64 s[0:1], s[2:3], -1
	v_mov_b64_e32 v[6:7], s[10:11]
	v_cmp_ne_u64_e32 vcc_lo, s[0:1], v[2:3]
	global_load_b64 v[4:5], v[4:5], off
	s_wait_xcnt 0x0
	s_and_saveexec_b32 s0, vcc_lo
	s_cbranch_execz .LBB112_8
; %bb.7:
	v_dual_mov_b32 v6, 0 :: v_dual_add_nc_u32 v7, 1, v2
	s_delay_alu instid0(VALU_DEP_1) | instskip(NEXT) | instid1(VALU_DEP_1)
	v_ashrrev_i64 v[6:7], 29, v[6:7]
	v_add_nc_u64_e32 v[6:7], s[14:15], v[6:7]
	global_load_b64 v[6:7], v[6:7], off
.LBB112_8:
	s_wait_xcnt 0x0
	s_or_b32 exec_lo, exec_lo, s0
	v_mov_b32_e32 v16, 0
	s_mov_b32 s0, exec_lo
	s_wait_loadcnt 0x0
	v_cmpx_lt_i64_e64 v[4:5], v[6:7]
	s_cbranch_execz .LBB112_15
; %bb.9:
	v_lshlrev_b64_e32 v[12:13], 3, v[4:5]
	v_lshl_add_u64 v[8:9], v[0:1], 1, s[6:7]
	v_mov_b32_e32 v16, 0
	s_cmp_lg_u64 s[8:9], 0
	s_mov_b32 s2, 0
	s_cselect_b32 s1, -1, 0
	s_delay_alu instid0(VALU_DEP_3)
	v_add_nc_u64_e32 v[10:11], s[8:9], v[12:13]
	v_add_nc_u64_e32 v[12:13], s[4:5], v[12:13]
	s_branch .LBB112_12
.LBB112_10:                             ;   in Loop: Header=BB112_12 Depth=1
	global_load_b64 v[18:19], v[10:11], off
	s_wait_loadcnt 0x0
	v_xor_b32_e32 v17, v18, v19
	v_cls_i32_e32 v20, v19
	s_delay_alu instid0(VALU_DEP_2) | instskip(NEXT) | instid1(VALU_DEP_1)
	v_ashrrev_i32_e32 v17, 31, v17
	v_add_nc_u32_e32 v17, 32, v17
	s_delay_alu instid0(VALU_DEP_1) | instskip(NEXT) | instid1(VALU_DEP_1)
	v_add_min_u32_e64 v17, v20, -1, v17
	v_lshlrev_b64_e32 v[18:19], v17, v[18:19]
	v_sub_nc_u32_e32 v17, 32, v17
	s_delay_alu instid0(VALU_DEP_2) | instskip(NEXT) | instid1(VALU_DEP_1)
	v_min_u32_e32 v18, 1, v18
	v_or_b32_e32 v18, v19, v18
	s_delay_alu instid0(VALU_DEP_1) | instskip(NEXT) | instid1(VALU_DEP_1)
	v_cvt_f32_i32_e32 v18, v18
	v_ldexp_f32 v17, v18, v17
	s_delay_alu instid0(VALU_DEP_1) | instskip(NEXT) | instid1(VALU_DEP_1)
	v_div_scale_f32 v18, null, v17, v17, 1.0
	v_rcp_f32_e32 v19, v18
	v_nop
	s_delay_alu instid0(TRANS32_DEP_1) | instskip(NEXT) | instid1(VALU_DEP_1)
	v_fma_f32 v20, -v18, v19, 1.0
	v_fmac_f32_e32 v19, v20, v19
	v_div_scale_f32 v20, vcc_lo, 1.0, v17, 1.0
	s_delay_alu instid0(VALU_DEP_1) | instskip(NEXT) | instid1(VALU_DEP_1)
	v_mul_f32_e32 v21, v20, v19
	v_fma_f32 v22, -v18, v21, v20
	s_delay_alu instid0(VALU_DEP_1) | instskip(NEXT) | instid1(VALU_DEP_1)
	v_fmac_f32_e32 v21, v22, v19
	v_fma_f32 v18, -v18, v21, v20
	s_delay_alu instid0(VALU_DEP_1) | instskip(NEXT) | instid1(VALU_DEP_1)
	v_div_fmas_f32 v18, v18, v19, v21
	v_div_fixup_f32 v17, v18, v17, 1.0
.LBB112_11:                             ;   in Loop: Header=BB112_12 Depth=1
	s_wait_loadcnt 0x0
	v_mul_u64_e32 v[14:15], s[12:13], v[14:15]
	v_add_nc_u64_e32 v[4:5], 1, v[4:5]
	v_add_nc_u64_e32 v[10:11], 8, v[10:11]
	;; [unrolled: 1-line block ×3, first 2 shown]
	s_delay_alu instid0(VALU_DEP_3)
	v_cmp_ge_i64_e32 vcc_lo, v[4:5], v[6:7]
	s_or_b32 s2, vcc_lo, s2
	v_lshl_add_u64 v[14:15], v[14:15], 1, v[8:9]
	global_load_u16 v14, v[14:15], off
	s_wait_loadcnt 0x0
	v_fma_mix_f32_bf16 v16, v17, v14, v16 op_sel_hi:[0,1,0]
	s_and_not1_b32 exec_lo, exec_lo, s2
	s_cbranch_execz .LBB112_14
.LBB112_12:                             ; =>This Inner Loop Header: Depth=1
	global_load_b64 v[14:15], v[12:13], off
	s_and_not1_b32 vcc_lo, exec_lo, s1
	s_cbranch_vccz .LBB112_10
; %bb.13:                               ;   in Loop: Header=BB112_12 Depth=1
	v_mov_b32_e32 v17, 1.0
	s_branch .LBB112_11
.LBB112_14:
	s_or_b32 exec_lo, exec_lo, s2
.LBB112_15:
	s_delay_alu instid0(SALU_CYCLE_1)
	s_or_b32 exec_lo, exec_lo, s0
	s_wait_kmcnt 0x0
	v_lshl_add_u64 v[2:3], v[2:3], 3, s[20:21]
	global_load_b64 v[2:3], v[2:3], off
	s_wait_loadcnt 0x0
	v_lshl_add_u64 v[2:3], v[2:3], 3, s[22:23]
	global_load_b64 v[2:3], v[2:3], off
	s_wait_loadcnt 0x0
	;; [unrolled: 3-line block ×3, first 2 shown]
	v_cmp_ne_u64_e32 vcc_lo, s[26:27], v[2:3]
	s_and_b32 exec_lo, exec_lo, vcc_lo
	s_cbranch_execz .LBB112_17
; %bb.16:
	v_mul_u64_e32 v[2:3], s[12:13], v[2:3]
	s_delay_alu instid0(VALU_DEP_1) | instskip(NEXT) | instid1(VALU_DEP_1)
	v_lshl_add_u64 v[2:3], v[2:3], 2, s[24:25]
	v_lshl_add_u64 v[0:1], v[0:1], 2, v[2:3]
	global_atomic_add_f32 v[0:1], v16, off scope:SCOPE_DEV
.LBB112_17:
	s_endpgm
	.section	.rodata,"a",@progbits
	.p2align	6, 0x0
	.amdhsa_kernel _ZN2at6native12_GLOBAL__N_137compute_grad_weight_atomic_accumulateIN3c108BFloat16EflEEvPKT1_PKT_S7_llS7_PKlS7_S7_S7_PT0_ll
		.amdhsa_group_segment_fixed_size 0
		.amdhsa_private_segment_fixed_size 0
		.amdhsa_kernarg_size 360
		.amdhsa_user_sgpr_count 2
		.amdhsa_user_sgpr_dispatch_ptr 0
		.amdhsa_user_sgpr_queue_ptr 0
		.amdhsa_user_sgpr_kernarg_segment_ptr 1
		.amdhsa_user_sgpr_dispatch_id 0
		.amdhsa_user_sgpr_kernarg_preload_length 0
		.amdhsa_user_sgpr_kernarg_preload_offset 0
		.amdhsa_user_sgpr_private_segment_size 0
		.amdhsa_wavefront_size32 1
		.amdhsa_uses_dynamic_stack 0
		.amdhsa_enable_private_segment 0
		.amdhsa_system_sgpr_workgroup_id_x 1
		.amdhsa_system_sgpr_workgroup_id_y 0
		.amdhsa_system_sgpr_workgroup_id_z 0
		.amdhsa_system_sgpr_workgroup_info 0
		.amdhsa_system_vgpr_workitem_id 0
		.amdhsa_next_free_vgpr 23
		.amdhsa_next_free_sgpr 28
		.amdhsa_named_barrier_count 0
		.amdhsa_reserve_vcc 1
		.amdhsa_float_round_mode_32 0
		.amdhsa_float_round_mode_16_64 0
		.amdhsa_float_denorm_mode_32 3
		.amdhsa_float_denorm_mode_16_64 3
		.amdhsa_fp16_overflow 0
		.amdhsa_memory_ordered 1
		.amdhsa_forward_progress 1
		.amdhsa_inst_pref_size 12
		.amdhsa_round_robin_scheduling 0
		.amdhsa_exception_fp_ieee_invalid_op 0
		.amdhsa_exception_fp_denorm_src 0
		.amdhsa_exception_fp_ieee_div_zero 0
		.amdhsa_exception_fp_ieee_overflow 0
		.amdhsa_exception_fp_ieee_underflow 0
		.amdhsa_exception_fp_ieee_inexact 0
		.amdhsa_exception_int_div_zero 0
	.end_amdhsa_kernel
	.section	.text._ZN2at6native12_GLOBAL__N_137compute_grad_weight_atomic_accumulateIN3c108BFloat16EflEEvPKT1_PKT_S7_llS7_PKlS7_S7_S7_PT0_ll,"axG",@progbits,_ZN2at6native12_GLOBAL__N_137compute_grad_weight_atomic_accumulateIN3c108BFloat16EflEEvPKT1_PKT_S7_llS7_PKlS7_S7_S7_PT0_ll,comdat
.Lfunc_end112:
	.size	_ZN2at6native12_GLOBAL__N_137compute_grad_weight_atomic_accumulateIN3c108BFloat16EflEEvPKT1_PKT_S7_llS7_PKlS7_S7_S7_PT0_ll, .Lfunc_end112-_ZN2at6native12_GLOBAL__N_137compute_grad_weight_atomic_accumulateIN3c108BFloat16EflEEvPKT1_PKT_S7_llS7_PKlS7_S7_S7_PT0_ll
                                        ; -- End function
	.set _ZN2at6native12_GLOBAL__N_137compute_grad_weight_atomic_accumulateIN3c108BFloat16EflEEvPKT1_PKT_S7_llS7_PKlS7_S7_S7_PT0_ll.num_vgpr, 23
	.set _ZN2at6native12_GLOBAL__N_137compute_grad_weight_atomic_accumulateIN3c108BFloat16EflEEvPKT1_PKT_S7_llS7_PKlS7_S7_S7_PT0_ll.num_agpr, 0
	.set _ZN2at6native12_GLOBAL__N_137compute_grad_weight_atomic_accumulateIN3c108BFloat16EflEEvPKT1_PKT_S7_llS7_PKlS7_S7_S7_PT0_ll.numbered_sgpr, 28
	.set _ZN2at6native12_GLOBAL__N_137compute_grad_weight_atomic_accumulateIN3c108BFloat16EflEEvPKT1_PKT_S7_llS7_PKlS7_S7_S7_PT0_ll.num_named_barrier, 0
	.set _ZN2at6native12_GLOBAL__N_137compute_grad_weight_atomic_accumulateIN3c108BFloat16EflEEvPKT1_PKT_S7_llS7_PKlS7_S7_S7_PT0_ll.private_seg_size, 0
	.set _ZN2at6native12_GLOBAL__N_137compute_grad_weight_atomic_accumulateIN3c108BFloat16EflEEvPKT1_PKT_S7_llS7_PKlS7_S7_S7_PT0_ll.uses_vcc, 1
	.set _ZN2at6native12_GLOBAL__N_137compute_grad_weight_atomic_accumulateIN3c108BFloat16EflEEvPKT1_PKT_S7_llS7_PKlS7_S7_S7_PT0_ll.uses_flat_scratch, 0
	.set _ZN2at6native12_GLOBAL__N_137compute_grad_weight_atomic_accumulateIN3c108BFloat16EflEEvPKT1_PKT_S7_llS7_PKlS7_S7_S7_PT0_ll.has_dyn_sized_stack, 0
	.set _ZN2at6native12_GLOBAL__N_137compute_grad_weight_atomic_accumulateIN3c108BFloat16EflEEvPKT1_PKT_S7_llS7_PKlS7_S7_S7_PT0_ll.has_recursion, 0
	.set _ZN2at6native12_GLOBAL__N_137compute_grad_weight_atomic_accumulateIN3c108BFloat16EflEEvPKT1_PKT_S7_llS7_PKlS7_S7_S7_PT0_ll.has_indirect_call, 0
	.section	.AMDGPU.csdata,"",@progbits
; Kernel info:
; codeLenInByte = 1496
; TotalNumSgprs: 30
; NumVgprs: 23
; ScratchSize: 0
; MemoryBound: 0
; FloatMode: 240
; IeeeMode: 1
; LDSByteSize: 0 bytes/workgroup (compile time only)
; SGPRBlocks: 0
; VGPRBlocks: 1
; NumSGPRsForWavesPerEU: 30
; NumVGPRsForWavesPerEU: 23
; NamedBarCnt: 0
; Occupancy: 16
; WaveLimiterHint : 1
; COMPUTE_PGM_RSRC2:SCRATCH_EN: 0
; COMPUTE_PGM_RSRC2:USER_SGPR: 2
; COMPUTE_PGM_RSRC2:TRAP_HANDLER: 0
; COMPUTE_PGM_RSRC2:TGID_X_EN: 1
; COMPUTE_PGM_RSRC2:TGID_Y_EN: 0
; COMPUTE_PGM_RSRC2:TGID_Z_EN: 0
; COMPUTE_PGM_RSRC2:TIDIG_COMP_CNT: 0
	.section	.text._ZN2at6native12_GLOBAL__N_124compute_grad_weight_bagsIN3c108BFloat16ElEEvPKT0_PKT_S7_S7_lliS7_SA_lS7_PKlPNS_14AccumulateTypeIS8_Lb1EE4typeEl,"axG",@progbits,_ZN2at6native12_GLOBAL__N_124compute_grad_weight_bagsIN3c108BFloat16ElEEvPKT0_PKT_S7_S7_lliS7_SA_lS7_PKlPNS_14AccumulateTypeIS8_Lb1EE4typeEl,comdat
	.globl	_ZN2at6native12_GLOBAL__N_124compute_grad_weight_bagsIN3c108BFloat16ElEEvPKT0_PKT_S7_S7_lliS7_SA_lS7_PKlPNS_14AccumulateTypeIS8_Lb1EE4typeEl ; -- Begin function _ZN2at6native12_GLOBAL__N_124compute_grad_weight_bagsIN3c108BFloat16ElEEvPKT0_PKT_S7_S7_lliS7_SA_lS7_PKlPNS_14AccumulateTypeIS8_Lb1EE4typeEl
	.p2align	8
	.type	_ZN2at6native12_GLOBAL__N_124compute_grad_weight_bagsIN3c108BFloat16ElEEvPKT0_PKT_S7_S7_lliS7_SA_lS7_PKlPNS_14AccumulateTypeIS8_Lb1EE4typeEl,@function
_ZN2at6native12_GLOBAL__N_124compute_grad_weight_bagsIN3c108BFloat16ElEEvPKT0_PKT_S7_S7_lliS7_SA_lS7_PKlPNS_14AccumulateTypeIS8_Lb1EE4typeEl: ; @_ZN2at6native12_GLOBAL__N_124compute_grad_weight_bagsIN3c108BFloat16ElEEvPKT0_PKT_S7_S7_lliS7_SA_lS7_PKlPNS_14AccumulateTypeIS8_Lb1EE4typeEl
; %bb.0:
	s_load_b32 s2, s[0:1], 0x7c
	s_bfe_u32 s3, ttmp6, 0x4000c
	s_clause 0x1
	s_load_b64 s[4:5], s[0:1], 0x68
	s_load_b128 s[20:23], s[0:1], 0x58
	s_add_co_i32 s3, s3, 1
	s_and_b32 s6, ttmp6, 15
	s_mul_i32 s3, ttmp9, s3
	s_getreg_b32 s7, hwreg(HW_REG_IB_STS2, 6, 4)
	v_mov_b32_e32 v1, 0
	s_add_co_i32 s6, s6, s3
	s_wait_kmcnt 0x0
	s_and_b32 s2, s2, 0xffff
	s_cmp_eq_u32 s7, 0
	s_cselect_b32 s3, ttmp9, s6
	s_delay_alu instid0(SALU_CYCLE_1) | instskip(SKIP_1) | instid1(VALU_DEP_1)
	v_mad_nc_u64_u32 v[4:5], s2, s3, v[0:1]
	s_mov_b32 s3, 0
	v_dual_mov_b32 v2, v1 :: v_dual_bitop2_b32 v3, s5, v5 bitop3:0x54
	s_delay_alu instid0(VALU_DEP_1) | instskip(SKIP_1) | instid1(SALU_CYCLE_1)
	v_cmp_ne_u64_e32 vcc_lo, 0, v[2:3]
                                        ; implicit-def: $vgpr2_vgpr3
	s_and_saveexec_b32 s2, vcc_lo
	s_xor_b32 s10, exec_lo, s2
	s_cbranch_execz .LBB113_2
; %bb.1:
	s_ashr_i32 s6, s5, 31
	v_dual_mov_b32 v9, v1 :: v_dual_ashrrev_i32 v2, 31, v5
	s_mov_b32 s7, s6
	v_mov_b32_e32 v15, v1
	s_add_nc_u64 s[8:9], s[4:5], s[6:7]
	s_delay_alu instid0(VALU_DEP_2) | instskip(SKIP_1) | instid1(SALU_CYCLE_1)
	v_mov_b32_e32 v3, v2
	s_xor_b64 s[8:9], s[8:9], s[6:7]
	s_cvt_f32_u32 s2, s8
	s_cvt_f32_u32 s7, s9
	s_sub_nc_u64 s[14:15], 0, s[8:9]
	v_add_nc_u64_e32 v[6:7], v[4:5], v[2:3]
	s_delay_alu instid0(SALU_CYCLE_1) | instskip(NEXT) | instid1(SALU_CYCLE_3)
	s_fmamk_f32 s2, s7, 0x4f800000, s2
	v_s_rcp_f32 s2, s2
	s_delay_alu instid0(VALU_DEP_1) | instskip(NEXT) | instid1(VALU_DEP_2)
	v_xor_b32_e32 v0, v6, v2
	v_xor_b32_e32 v8, v7, v2
	s_delay_alu instid0(TRANS32_DEP_1) | instskip(NEXT) | instid1(SALU_CYCLE_3)
	s_mul_f32 s2, s2, 0x5f7ffffc
	s_mul_f32 s7, s2, 0x2f800000
	s_delay_alu instid0(SALU_CYCLE_3) | instskip(NEXT) | instid1(SALU_CYCLE_3)
	s_trunc_f32 s7, s7
	s_fmamk_f32 s2, s7, 0xcf800000, s2
	s_cvt_u32_f32 s13, s7
	s_delay_alu instid0(SALU_CYCLE_2) | instskip(NEXT) | instid1(SALU_CYCLE_3)
	s_cvt_u32_f32 s12, s2
	s_mul_u64 s[16:17], s[14:15], s[12:13]
	s_delay_alu instid0(SALU_CYCLE_1)
	s_mul_hi_u32 s19, s12, s17
	s_mul_i32 s18, s12, s17
	s_mul_hi_u32 s2, s12, s16
	s_mul_i32 s11, s13, s16
	s_add_nc_u64 s[18:19], s[2:3], s[18:19]
	s_mul_hi_u32 s7, s13, s16
	s_mul_hi_u32 s24, s13, s17
	s_add_co_u32 s2, s18, s11
	s_add_co_ci_u32 s2, s19, s7
	s_mul_i32 s16, s13, s17
	s_add_co_ci_u32 s17, s24, 0
	s_delay_alu instid0(SALU_CYCLE_1) | instskip(NEXT) | instid1(SALU_CYCLE_1)
	s_add_nc_u64 s[16:17], s[2:3], s[16:17]
	s_add_co_u32 s12, s12, s16
	s_cselect_b32 s2, -1, 0
	s_delay_alu instid0(SALU_CYCLE_1) | instskip(SKIP_1) | instid1(SALU_CYCLE_1)
	s_cmp_lg_u32 s2, 0
	s_add_co_ci_u32 s13, s13, s17
	s_mul_u64 s[14:15], s[14:15], s[12:13]
	s_delay_alu instid0(SALU_CYCLE_1)
	s_mul_hi_u32 s17, s12, s15
	s_mul_i32 s16, s12, s15
	s_mul_hi_u32 s2, s12, s14
	s_mul_i32 s11, s13, s14
	s_add_nc_u64 s[16:17], s[2:3], s[16:17]
	s_mul_hi_u32 s7, s13, s14
	s_mul_hi_u32 s18, s13, s15
	s_add_co_u32 s2, s16, s11
	s_add_co_ci_u32 s2, s17, s7
	s_mul_i32 s14, s13, s15
	s_add_co_ci_u32 s15, s18, 0
	s_delay_alu instid0(SALU_CYCLE_1) | instskip(NEXT) | instid1(SALU_CYCLE_1)
	s_add_nc_u64 s[14:15], s[2:3], s[14:15]
	s_add_co_u32 s12, s12, s14
	s_cselect_b32 s2, -1, 0
	v_mul_hi_u32 v14, v0, s12
	s_cmp_lg_u32 s2, 0
	s_add_co_ci_u32 s2, s13, s15
	s_mov_b64 s[14:15], 0xffffffff
	v_mul_u64_e32 v[10:11], s[2:3], v[0:1]
	s_and_b64 s[14:15], s[12:13], s[14:15]
	v_mul_u64_e32 v[12:13], s[2:3], v[8:9]
	v_mul_u64_e32 v[6:7], s[14:15], v[8:9]
	s_delay_alu instid0(VALU_DEP_3) | instskip(NEXT) | instid1(VALU_DEP_1)
	v_add_nc_u64_e32 v[10:11], v[14:15], v[10:11]
	v_add_co_u32 v1, vcc_lo, v10, v6
	s_delay_alu instid0(VALU_DEP_2) | instskip(SKIP_1) | instid1(VALU_DEP_1)
	v_add_co_ci_u32_e32 v14, vcc_lo, v11, v7, vcc_lo
	v_add_co_ci_u32_e32 v13, vcc_lo, 0, v13, vcc_lo
	v_add_nc_u64_e32 v[6:7], v[14:15], v[12:13]
	s_delay_alu instid0(VALU_DEP_1) | instskip(NEXT) | instid1(VALU_DEP_1)
	v_mul_u64_e32 v[10:11], s[8:9], v[6:7]
	v_sub_nc_u32_e32 v1, v8, v11
	s_delay_alu instid0(VALU_DEP_2) | instskip(NEXT) | instid1(VALU_DEP_1)
	v_sub_co_u32 v0, vcc_lo, v0, v10
	v_sub_co_ci_u32_e64 v10, null, v8, v11, vcc_lo
	s_delay_alu instid0(VALU_DEP_3) | instskip(NEXT) | instid1(VALU_DEP_3)
	v_subrev_co_ci_u32_e64 v1, null, s9, v1, vcc_lo
	v_sub_co_u32 v3, s2, v0, s8
	s_delay_alu instid0(VALU_DEP_1) | instskip(NEXT) | instid1(VALU_DEP_2)
	v_subrev_co_ci_u32_e64 v1, null, 0, v1, s2
	v_cmp_le_u32_e32 vcc_lo, s8, v3
	v_cndmask_b32_e64 v3, 0, -1, vcc_lo
	s_delay_alu instid0(VALU_DEP_3)
	v_cmp_le_u32_e32 vcc_lo, s9, v1
	v_cndmask_b32_e64 v8, 0, -1, vcc_lo
	v_cmp_le_u32_e32 vcc_lo, s8, v0
	v_cndmask_b32_e64 v11, 0, -1, vcc_lo
	;; [unrolled: 2-line block ×3, first 2 shown]
	v_cmp_eq_u32_e32 vcc_lo, s9, v1
	v_add_nc_u64_e32 v[0:1], 2, v[6:7]
	v_cndmask_b32_e32 v3, v8, v3, vcc_lo
	v_cmp_eq_u32_e32 vcc_lo, s9, v10
	v_add_nc_u64_e32 v[8:9], 1, v[6:7]
	v_cndmask_b32_e32 v10, v12, v11, vcc_lo
	s_delay_alu instid0(VALU_DEP_4) | instskip(NEXT) | instid1(VALU_DEP_3)
	v_cmp_ne_u32_e32 vcc_lo, 0, v3
	v_dual_cndmask_b32 v1, v9, v1, vcc_lo :: v_dual_cndmask_b32 v3, v8, v0, vcc_lo
	v_xor_b32_e32 v0, s6, v2
	s_delay_alu instid0(VALU_DEP_4) | instskip(NEXT) | instid1(VALU_DEP_1)
	v_cmp_ne_u32_e64 s2, 0, v10
	v_dual_cndmask_b32 v2, v7, v1, s2 :: v_dual_cndmask_b32 v6, v6, v3, s2
	s_delay_alu instid0(VALU_DEP_1) | instskip(NEXT) | instid1(VALU_DEP_2)
	v_dual_mov_b32 v1, v0 :: v_dual_bitop2_b32 v3, v2, v0 bitop3:0x14
	v_xor_b32_e32 v2, v6, v0
	s_delay_alu instid0(VALU_DEP_1)
	v_sub_nc_u64_e32 v[2:3], v[2:3], v[0:1]
.LBB113_2:
	s_or_saveexec_b32 s2, s10
	s_load_b64 s[20:21], s[20:21], 0x0
	s_xor_b32 exec_lo, exec_lo, s2
	s_cbranch_execz .LBB113_4
; %bb.3:
	v_cvt_f32_u32_e32 v0, s4
	s_sub_co_i32 s3, 0, s4
	s_delay_alu instid0(VALU_DEP_1) | instskip(SKIP_1) | instid1(TRANS32_DEP_1)
	v_rcp_iflag_f32_e32 v0, v0
	v_nop
	v_mul_f32_e32 v0, 0x4f7ffffe, v0
	s_delay_alu instid0(VALU_DEP_1) | instskip(NEXT) | instid1(VALU_DEP_1)
	v_cvt_u32_f32_e32 v0, v0
	v_mul_lo_u32 v1, s3, v0
	s_delay_alu instid0(VALU_DEP_1) | instskip(NEXT) | instid1(VALU_DEP_1)
	v_mul_hi_u32 v1, v0, v1
	v_add_nc_u32_e32 v0, v0, v1
	s_delay_alu instid0(VALU_DEP_1) | instskip(NEXT) | instid1(VALU_DEP_1)
	v_mul_hi_u32 v0, v4, v0
	v_mul_lo_u32 v1, v0, s4
	s_delay_alu instid0(VALU_DEP_1) | instskip(NEXT) | instid1(VALU_DEP_1)
	v_dual_add_nc_u32 v2, 1, v0 :: v_dual_sub_nc_u32 v1, v4, v1
	v_subrev_nc_u32_e32 v3, s4, v1
	v_cmp_le_u32_e32 vcc_lo, s4, v1
	s_delay_alu instid0(VALU_DEP_2) | instskip(NEXT) | instid1(VALU_DEP_4)
	v_dual_cndmask_b32 v1, v1, v3, vcc_lo :: v_dual_mov_b32 v3, 0
	v_cndmask_b32_e32 v0, v0, v2, vcc_lo
	s_delay_alu instid0(VALU_DEP_2) | instskip(NEXT) | instid1(VALU_DEP_2)
	v_cmp_le_u32_e32 vcc_lo, s4, v1
	v_add_nc_u32_e32 v2, 1, v0
	s_delay_alu instid0(VALU_DEP_1)
	v_cndmask_b32_e32 v2, v0, v2, vcc_lo
.LBB113_4:
	s_or_b32 exec_lo, exec_lo, s2
	s_delay_alu instid0(VALU_DEP_1) | instskip(SKIP_3) | instid1(VALU_DEP_2)
	v_mul_u64_e32 v[0:1], s[4:5], v[2:3]
	s_load_b128 s[24:27], s[0:1], 0x20
	s_wait_kmcnt 0x0
	v_cmp_gt_i64_e64 s2, s[20:21], v[2:3]
	v_sub_nc_u64_e32 v[0:1], v[4:5], v[0:1]
	s_delay_alu instid0(VALU_DEP_1) | instskip(SKIP_1) | instid1(SALU_CYCLE_1)
	v_cmp_gt_i64_e32 vcc_lo, s[26:27], v[0:1]
	s_and_b32 s2, vcc_lo, s2
	s_and_saveexec_b32 s3, s2
	s_cbranch_execz .LBB113_18
; %bb.5:
	s_clause 0x1
	s_load_b256 s[4:11], s[0:1], 0x38
	s_load_b256 s[12:19], s[0:1], 0x0
	s_add_nc_u64 s[2:3], s[20:21], -1
	v_mov_b64_e32 v[6:7], s[24:25]
	v_cmp_ne_u64_e32 vcc_lo, s[2:3], v[2:3]
	s_wait_kmcnt 0x0
	v_lshl_add_u64 v[8:9], v[2:3], 3, s[10:11]
	global_load_b64 v[4:5], v[8:9], off
	s_wait_xcnt 0x0
	s_and_saveexec_b32 s2, vcc_lo
	s_cbranch_execz .LBB113_7
; %bb.6:
	global_load_b64 v[6:7], v[8:9], off offset:8
.LBB113_7:
	s_wait_xcnt 0x0
	s_or_b32 exec_lo, exec_lo, s2
	s_wait_loadcnt 0x0
	v_mov_b32_e32 v5, 0
	s_mov_b32 s2, exec_lo
	v_cmpx_lt_i32_e64 v4, v6
	s_cbranch_execz .LBB113_17
; %bb.8:
	s_load_b32 s0, s[0:1], 0x30
	v_dual_mov_b32 v10, 0 :: v_dual_ashrrev_i32 v5, 31, v4
	s_cmp_lg_u64 s[18:19], 0
	v_lshl_add_u64 v[8:9], v[0:1], 1, s[14:15]
	s_cselect_b32 s3, -1, 0
	s_delay_alu instid0(VALU_DEP_2)
	v_lshlrev_b64_e32 v[14:15], 3, v[4:5]
	s_cmp_lg_u64 s[6:7], 0
	v_mov_b32_e32 v5, 0
	s_cselect_b32 s10, -1, 0
	s_wait_xcnt 0x0
	s_mov_b32 s1, s26
	s_delay_alu instid0(VALU_DEP_2)
	v_add_nc_u64_e32 v[12:13], s[12:13], v[14:15]
	v_add_nc_u64_e32 v[14:15], s[18:19], v[14:15]
	s_wait_kmcnt 0x0
	s_cmp_lg_u32 s0, 0
	s_mov_b32 s0, 0
	s_cselect_b32 s11, -1, 0
	s_mov_b32 s12, s0
	s_branch .LBB113_10
.LBB113_9:                              ;   in Loop: Header=BB113_10 Depth=1
	s_delay_alu instid0(VALU_DEP_1) | instskip(SKIP_2) | instid1(VALU_DEP_3)
	v_dual_fmac_f32 v5, v7, v17 :: v_dual_add_nc_u32 v4, 1, v4
	v_add_nc_u64_e32 v[12:13], 8, v[12:13]
	v_add_nc_u64_e32 v[14:15], 8, v[14:15]
	v_cmp_ge_i32_e32 vcc_lo, v4, v6
	s_or_b32 s12, vcc_lo, s12
	s_delay_alu instid0(SALU_CYCLE_1)
	s_and_not1_b32 exec_lo, exec_lo, s12
	s_cbranch_execz .LBB113_16
.LBB113_10:                             ; =>This Inner Loop Header: Depth=1
	global_load_b64 v[18:19], v[12:13], off
	s_and_not1_b32 vcc_lo, exec_lo, s3
	s_wait_loadcnt 0x0
	v_mov_b32_e32 v11, v18
	s_delay_alu instid0(VALU_DEP_1) | instskip(NEXT) | instid1(VALU_DEP_1)
	v_ashrrev_i64 v[16:17], 29, v[10:11]
	v_add_nc_u64_e32 v[16:17], s[16:17], v[16:17]
	global_load_b64 v[16:17], v[16:17], off
	s_cbranch_vccnz .LBB113_15
; %bb.11:                               ;   in Loop: Header=BB113_10 Depth=1
	global_load_b64 v[20:21], v[14:15], off
	s_wait_loadcnt 0x0
	v_cvt_f64_i32_e32 v[22:23], v21
	v_cvt_f64_u32_e32 v[20:21], v20
	s_delay_alu instid0(VALU_DEP_2) | instskip(NEXT) | instid1(VALU_DEP_1)
	v_ldexp_f64 v[22:23], v[22:23], 32
	v_add_f64_e32 v[20:21], v[22:23], v[20:21]
	s_delay_alu instid0(VALU_DEP_1) | instskip(NEXT) | instid1(VALU_DEP_1)
	v_div_scale_f64 v[22:23], null, v[20:21], v[20:21], 1.0
	v_rcp_f64_e32 v[24:25], v[22:23]
	v_nop
	s_delay_alu instid0(TRANS32_DEP_1) | instskip(NEXT) | instid1(VALU_DEP_1)
	v_fma_f64 v[26:27], -v[22:23], v[24:25], 1.0
	v_fmac_f64_e32 v[24:25], v[24:25], v[26:27]
	s_delay_alu instid0(VALU_DEP_1) | instskip(NEXT) | instid1(VALU_DEP_1)
	v_fma_f64 v[26:27], -v[22:23], v[24:25], 1.0
	v_fmac_f64_e32 v[24:25], v[24:25], v[26:27]
	v_div_scale_f64 v[26:27], vcc_lo, 1.0, v[20:21], 1.0
	s_delay_alu instid0(VALU_DEP_1) | instskip(NEXT) | instid1(VALU_DEP_1)
	v_mul_f64_e32 v[28:29], v[26:27], v[24:25]
	v_fma_f64 v[22:23], -v[22:23], v[28:29], v[26:27]
	s_delay_alu instid0(VALU_DEP_1) | instskip(NEXT) | instid1(VALU_DEP_1)
	v_div_fmas_f64 v[22:23], v[22:23], v[24:25], v[28:29]
	v_div_fixup_f64 v[20:21], v[22:23], v[20:21], 1.0
	s_delay_alu instid0(VALU_DEP_1)
	v_cvt_f32_f64_e32 v7, v[20:21]
	s_and_not1_b32 vcc_lo, exec_lo, s10
	s_cbranch_vccnz .LBB113_13
.LBB113_12:                             ;   in Loop: Header=BB113_10 Depth=1
	v_ashrrev_i32_e32 v19, 31, v18
	s_delay_alu instid0(VALU_DEP_1) | instskip(NEXT) | instid1(VALU_DEP_1)
	v_mul_u64_e32 v[18:19], s[8:9], v[18:19]
	v_lshl_add_u64 v[18:19], v[18:19], 1, s[6:7]
	global_load_u16 v11, v[18:19], off
	s_wait_loadcnt 0x0
	v_lshlrev_b32_e32 v11, 16, v11
	s_delay_alu instid0(VALU_DEP_1)
	v_mul_f32_e32 v7, v7, v11
.LBB113_13:                             ;   in Loop: Header=BB113_10 Depth=1
	s_wait_loadcnt 0x0
	v_mul_u64_e32 v[18:19], s[0:1], v[16:17]
	s_and_not1_b32 vcc_lo, exec_lo, s11
	s_delay_alu instid0(VALU_DEP_1) | instskip(NEXT) | instid1(VALU_DEP_1)
	v_ashrrev_i64 v[18:19], 31, v[18:19]
	v_add_nc_u64_e32 v[18:19], v[8:9], v[18:19]
	global_load_u16 v11, v[18:19], off
	s_wait_loadcnt 0x0
	v_lshlrev_b32_e32 v17, 16, v11
	s_cbranch_vccnz .LBB113_9
; %bb.14:                               ;   in Loop: Header=BB113_10 Depth=1
	v_mov_b32_e32 v11, v16
	s_delay_alu instid0(VALU_DEP_1) | instskip(NEXT) | instid1(VALU_DEP_1)
	v_ashrrev_i64 v[18:19], 29, v[10:11]
	v_add_nc_u64_e32 v[18:19], s[4:5], v[18:19]
	global_load_b64 v[18:19], v[18:19], off
	s_wait_loadcnt 0x0
	v_xor_b32_e32 v11, v18, v19
	v_cls_i32_e32 v16, v19
	s_delay_alu instid0(VALU_DEP_2) | instskip(NEXT) | instid1(VALU_DEP_1)
	v_ashrrev_i32_e32 v11, 31, v11
	v_add_nc_u32_e32 v11, 32, v11
	s_delay_alu instid0(VALU_DEP_1) | instskip(NEXT) | instid1(VALU_DEP_1)
	v_add_min_u32_e64 v11, v16, -1, v11
	v_lshlrev_b64_e32 v[18:19], v11, v[18:19]
	v_sub_nc_u32_e32 v11, 32, v11
	s_delay_alu instid0(VALU_DEP_2) | instskip(NEXT) | instid1(VALU_DEP_1)
	v_min_u32_e32 v16, 1, v18
	v_or_b32_e32 v16, v19, v16
	s_delay_alu instid0(VALU_DEP_1) | instskip(NEXT) | instid1(VALU_DEP_1)
	v_cvt_f32_i32_e32 v16, v16
	v_ldexp_f32 v11, v16, v11
	s_delay_alu instid0(VALU_DEP_1) | instskip(NEXT) | instid1(VALU_DEP_1)
	v_div_scale_f32 v16, null, v11, v11, v17
	v_rcp_f32_e32 v18, v16
	v_nop
	s_delay_alu instid0(TRANS32_DEP_1) | instskip(NEXT) | instid1(VALU_DEP_1)
	v_fma_f32 v19, -v16, v18, 1.0
	v_fmac_f32_e32 v18, v19, v18
	v_div_scale_f32 v19, vcc_lo, v17, v11, v17
	s_delay_alu instid0(VALU_DEP_1) | instskip(NEXT) | instid1(VALU_DEP_1)
	v_mul_f32_e32 v20, v19, v18
	v_fma_f32 v21, -v16, v20, v19
	s_delay_alu instid0(VALU_DEP_1) | instskip(NEXT) | instid1(VALU_DEP_1)
	v_fmac_f32_e32 v20, v21, v18
	v_fma_f32 v16, -v16, v20, v19
	s_delay_alu instid0(VALU_DEP_1) | instskip(NEXT) | instid1(VALU_DEP_1)
	v_div_fmas_f32 v16, v16, v18, v20
	v_div_fixup_f32 v17, v16, v11, v17
	s_branch .LBB113_9
.LBB113_15:                             ;   in Loop: Header=BB113_10 Depth=1
	v_mov_b32_e32 v7, 1.0
	s_and_not1_b32 vcc_lo, exec_lo, s10
	s_cbranch_vccz .LBB113_12
	s_branch .LBB113_13
.LBB113_16:
	s_or_b32 exec_lo, exec_lo, s12
.LBB113_17:
	s_delay_alu instid0(SALU_CYCLE_1) | instskip(SKIP_1) | instid1(VALU_DEP_1)
	s_or_b32 exec_lo, exec_lo, s2
	v_mul_u64_e32 v[2:3], s[26:27], v[2:3]
	v_lshl_add_u64 v[2:3], v[2:3], 2, s[22:23]
	s_delay_alu instid0(VALU_DEP_1)
	v_lshl_add_u64 v[0:1], v[0:1], 2, v[2:3]
	global_store_b32 v[0:1], v5, off
.LBB113_18:
	s_endpgm
	.section	.rodata,"a",@progbits
	.p2align	6, 0x0
	.amdhsa_kernel _ZN2at6native12_GLOBAL__N_124compute_grad_weight_bagsIN3c108BFloat16ElEEvPKT0_PKT_S7_S7_lliS7_SA_lS7_PKlPNS_14AccumulateTypeIS8_Lb1EE4typeEl
		.amdhsa_group_segment_fixed_size 0
		.amdhsa_private_segment_fixed_size 0
		.amdhsa_kernarg_size 368
		.amdhsa_user_sgpr_count 2
		.amdhsa_user_sgpr_dispatch_ptr 0
		.amdhsa_user_sgpr_queue_ptr 0
		.amdhsa_user_sgpr_kernarg_segment_ptr 1
		.amdhsa_user_sgpr_dispatch_id 0
		.amdhsa_user_sgpr_kernarg_preload_length 0
		.amdhsa_user_sgpr_kernarg_preload_offset 0
		.amdhsa_user_sgpr_private_segment_size 0
		.amdhsa_wavefront_size32 1
		.amdhsa_uses_dynamic_stack 0
		.amdhsa_enable_private_segment 0
		.amdhsa_system_sgpr_workgroup_id_x 1
		.amdhsa_system_sgpr_workgroup_id_y 0
		.amdhsa_system_sgpr_workgroup_id_z 0
		.amdhsa_system_sgpr_workgroup_info 0
		.amdhsa_system_vgpr_workitem_id 0
		.amdhsa_next_free_vgpr 30
		.amdhsa_next_free_sgpr 28
		.amdhsa_named_barrier_count 0
		.amdhsa_reserve_vcc 1
		.amdhsa_float_round_mode_32 0
		.amdhsa_float_round_mode_16_64 0
		.amdhsa_float_denorm_mode_32 3
		.amdhsa_float_denorm_mode_16_64 3
		.amdhsa_fp16_overflow 0
		.amdhsa_memory_ordered 1
		.amdhsa_forward_progress 1
		.amdhsa_inst_pref_size 14
		.amdhsa_round_robin_scheduling 0
		.amdhsa_exception_fp_ieee_invalid_op 0
		.amdhsa_exception_fp_denorm_src 0
		.amdhsa_exception_fp_ieee_div_zero 0
		.amdhsa_exception_fp_ieee_overflow 0
		.amdhsa_exception_fp_ieee_underflow 0
		.amdhsa_exception_fp_ieee_inexact 0
		.amdhsa_exception_int_div_zero 0
	.end_amdhsa_kernel
	.section	.text._ZN2at6native12_GLOBAL__N_124compute_grad_weight_bagsIN3c108BFloat16ElEEvPKT0_PKT_S7_S7_lliS7_SA_lS7_PKlPNS_14AccumulateTypeIS8_Lb1EE4typeEl,"axG",@progbits,_ZN2at6native12_GLOBAL__N_124compute_grad_weight_bagsIN3c108BFloat16ElEEvPKT0_PKT_S7_S7_lliS7_SA_lS7_PKlPNS_14AccumulateTypeIS8_Lb1EE4typeEl,comdat
.Lfunc_end113:
	.size	_ZN2at6native12_GLOBAL__N_124compute_grad_weight_bagsIN3c108BFloat16ElEEvPKT0_PKT_S7_S7_lliS7_SA_lS7_PKlPNS_14AccumulateTypeIS8_Lb1EE4typeEl, .Lfunc_end113-_ZN2at6native12_GLOBAL__N_124compute_grad_weight_bagsIN3c108BFloat16ElEEvPKT0_PKT_S7_S7_lliS7_SA_lS7_PKlPNS_14AccumulateTypeIS8_Lb1EE4typeEl
                                        ; -- End function
	.set _ZN2at6native12_GLOBAL__N_124compute_grad_weight_bagsIN3c108BFloat16ElEEvPKT0_PKT_S7_S7_lliS7_SA_lS7_PKlPNS_14AccumulateTypeIS8_Lb1EE4typeEl.num_vgpr, 30
	.set _ZN2at6native12_GLOBAL__N_124compute_grad_weight_bagsIN3c108BFloat16ElEEvPKT0_PKT_S7_S7_lliS7_SA_lS7_PKlPNS_14AccumulateTypeIS8_Lb1EE4typeEl.num_agpr, 0
	.set _ZN2at6native12_GLOBAL__N_124compute_grad_weight_bagsIN3c108BFloat16ElEEvPKT0_PKT_S7_S7_lliS7_SA_lS7_PKlPNS_14AccumulateTypeIS8_Lb1EE4typeEl.numbered_sgpr, 28
	.set _ZN2at6native12_GLOBAL__N_124compute_grad_weight_bagsIN3c108BFloat16ElEEvPKT0_PKT_S7_S7_lliS7_SA_lS7_PKlPNS_14AccumulateTypeIS8_Lb1EE4typeEl.num_named_barrier, 0
	.set _ZN2at6native12_GLOBAL__N_124compute_grad_weight_bagsIN3c108BFloat16ElEEvPKT0_PKT_S7_S7_lliS7_SA_lS7_PKlPNS_14AccumulateTypeIS8_Lb1EE4typeEl.private_seg_size, 0
	.set _ZN2at6native12_GLOBAL__N_124compute_grad_weight_bagsIN3c108BFloat16ElEEvPKT0_PKT_S7_S7_lliS7_SA_lS7_PKlPNS_14AccumulateTypeIS8_Lb1EE4typeEl.uses_vcc, 1
	.set _ZN2at6native12_GLOBAL__N_124compute_grad_weight_bagsIN3c108BFloat16ElEEvPKT0_PKT_S7_S7_lliS7_SA_lS7_PKlPNS_14AccumulateTypeIS8_Lb1EE4typeEl.uses_flat_scratch, 0
	.set _ZN2at6native12_GLOBAL__N_124compute_grad_weight_bagsIN3c108BFloat16ElEEvPKT0_PKT_S7_S7_lliS7_SA_lS7_PKlPNS_14AccumulateTypeIS8_Lb1EE4typeEl.has_dyn_sized_stack, 0
	.set _ZN2at6native12_GLOBAL__N_124compute_grad_weight_bagsIN3c108BFloat16ElEEvPKT0_PKT_S7_S7_lliS7_SA_lS7_PKlPNS_14AccumulateTypeIS8_Lb1EE4typeEl.has_recursion, 0
	.set _ZN2at6native12_GLOBAL__N_124compute_grad_weight_bagsIN3c108BFloat16ElEEvPKT0_PKT_S7_S7_lliS7_SA_lS7_PKlPNS_14AccumulateTypeIS8_Lb1EE4typeEl.has_indirect_call, 0
	.section	.AMDGPU.csdata,"",@progbits
; Kernel info:
; codeLenInByte = 1744
; TotalNumSgprs: 30
; NumVgprs: 30
; ScratchSize: 0
; MemoryBound: 0
; FloatMode: 240
; IeeeMode: 1
; LDSByteSize: 0 bytes/workgroup (compile time only)
; SGPRBlocks: 0
; VGPRBlocks: 1
; NumSGPRsForWavesPerEU: 30
; NumVGPRsForWavesPerEU: 30
; NamedBarCnt: 0
; Occupancy: 16
; WaveLimiterHint : 1
; COMPUTE_PGM_RSRC2:SCRATCH_EN: 0
; COMPUTE_PGM_RSRC2:USER_SGPR: 2
; COMPUTE_PGM_RSRC2:TRAP_HANDLER: 0
; COMPUTE_PGM_RSRC2:TGID_X_EN: 1
; COMPUTE_PGM_RSRC2:TGID_Y_EN: 0
; COMPUTE_PGM_RSRC2:TGID_Z_EN: 0
; COMPUTE_PGM_RSRC2:TIDIG_COMP_CNT: 0
	.section	.text._ZN2at6native12_GLOBAL__N_119compute_grad_weightIN3c108BFloat16ElEEvPKT0_PKT_S7_llS7_PKlPNS_14AccumulateTypeIS8_Lb1EE4typeEl,"axG",@progbits,_ZN2at6native12_GLOBAL__N_119compute_grad_weightIN3c108BFloat16ElEEvPKT0_PKT_S7_llS7_PKlPNS_14AccumulateTypeIS8_Lb1EE4typeEl,comdat
	.globl	_ZN2at6native12_GLOBAL__N_119compute_grad_weightIN3c108BFloat16ElEEvPKT0_PKT_S7_llS7_PKlPNS_14AccumulateTypeIS8_Lb1EE4typeEl ; -- Begin function _ZN2at6native12_GLOBAL__N_119compute_grad_weightIN3c108BFloat16ElEEvPKT0_PKT_S7_llS7_PKlPNS_14AccumulateTypeIS8_Lb1EE4typeEl
	.p2align	8
	.type	_ZN2at6native12_GLOBAL__N_119compute_grad_weightIN3c108BFloat16ElEEvPKT0_PKT_S7_llS7_PKlPNS_14AccumulateTypeIS8_Lb1EE4typeEl,@function
_ZN2at6native12_GLOBAL__N_119compute_grad_weightIN3c108BFloat16ElEEvPKT0_PKT_S7_llS7_PKlPNS_14AccumulateTypeIS8_Lb1EE4typeEl: ; @_ZN2at6native12_GLOBAL__N_119compute_grad_weightIN3c108BFloat16ElEEvPKT0_PKT_S7_llS7_PKlPNS_14AccumulateTypeIS8_Lb1EE4typeEl
; %bb.0:
	s_clause 0x1
	s_load_b32 s4, s[0:1], 0x54
	s_load_b64 s[2:3], s[0:1], 0x40
	s_bfe_u32 s5, ttmp6, 0x4000c
	s_and_b32 s6, ttmp6, 15
	s_add_co_i32 s5, s5, 1
	s_getreg_b32 s7, hwreg(HW_REG_IB_STS2, 6, 4)
	s_mul_i32 s5, ttmp9, s5
	v_mov_b32_e32 v1, 0
	s_add_co_i32 s6, s6, s5
	s_wait_kmcnt 0x0
	s_and_b32 s4, s4, 0xffff
	s_cmp_eq_u32 s7, 0
	s_cselect_b32 s5, ttmp9, s6
	s_delay_alu instid0(SALU_CYCLE_1) | instskip(SKIP_3) | instid1(VALU_DEP_1)
	v_mad_nc_u64_u32 v[2:3], s4, s5, v[0:1]
	s_load_b512 s[4:19], s[0:1], 0x0
	s_wait_xcnt 0x0
	s_mov_b32 s1, 0
	v_dual_mov_b32 v4, v1 :: v_dual_bitop2_b32 v5, s3, v3 bitop3:0x54
	s_delay_alu instid0(VALU_DEP_1) | instskip(SKIP_1) | instid1(SALU_CYCLE_1)
	v_cmp_ne_u64_e32 vcc_lo, 0, v[4:5]
                                        ; implicit-def: $vgpr4_vgpr5
	s_and_saveexec_b32 s0, vcc_lo
	s_xor_b32 s24, exec_lo, s0
	s_cbranch_execz .LBB114_2
; %bb.1:
	s_ashr_i32 s20, s3, 31
	v_dual_mov_b32 v9, v1 :: v_dual_ashrrev_i32 v4, 31, v3
	s_mov_b32 s21, s20
	v_mov_b32_e32 v15, v1
	s_add_nc_u64 s[22:23], s[2:3], s[20:21]
	s_delay_alu instid0(VALU_DEP_2) | instskip(SKIP_1) | instid1(SALU_CYCLE_1)
	v_mov_b32_e32 v5, v4
	s_xor_b64 s[22:23], s[22:23], s[20:21]
	s_cvt_f32_u32 s0, s22
	s_cvt_f32_u32 s21, s23
	s_sub_nc_u64 s[28:29], 0, s[22:23]
	v_add_nc_u64_e32 v[6:7], v[2:3], v[4:5]
	s_delay_alu instid0(SALU_CYCLE_1) | instskip(NEXT) | instid1(SALU_CYCLE_3)
	s_fmamk_f32 s0, s21, 0x4f800000, s0
	v_s_rcp_f32 s0, s0
	s_delay_alu instid0(VALU_DEP_1) | instskip(NEXT) | instid1(VALU_DEP_2)
	v_xor_b32_e32 v0, v6, v4
	v_xor_b32_e32 v8, v7, v4
	s_delay_alu instid0(TRANS32_DEP_1) | instskip(NEXT) | instid1(SALU_CYCLE_3)
	s_mul_f32 s0, s0, 0x5f7ffffc
	s_mul_f32 s21, s0, 0x2f800000
	s_delay_alu instid0(SALU_CYCLE_3) | instskip(NEXT) | instid1(SALU_CYCLE_3)
	s_trunc_f32 s21, s21
	s_fmamk_f32 s0, s21, 0xcf800000, s0
	s_cvt_u32_f32 s27, s21
	s_delay_alu instid0(SALU_CYCLE_2) | instskip(NEXT) | instid1(SALU_CYCLE_3)
	s_cvt_u32_f32 s26, s0
	s_mul_u64 s[30:31], s[28:29], s[26:27]
	s_delay_alu instid0(SALU_CYCLE_1)
	s_mul_hi_u32 s35, s26, s31
	s_mul_i32 s34, s26, s31
	s_mul_hi_u32 s0, s26, s30
	s_mul_i32 s25, s27, s30
	s_add_nc_u64 s[34:35], s[0:1], s[34:35]
	s_mul_hi_u32 s21, s27, s30
	s_mul_hi_u32 s33, s27, s31
	s_add_co_u32 s0, s34, s25
	s_add_co_ci_u32 s0, s35, s21
	s_mul_i32 s30, s27, s31
	s_add_co_ci_u32 s31, s33, 0
	s_delay_alu instid0(SALU_CYCLE_1) | instskip(NEXT) | instid1(SALU_CYCLE_1)
	s_add_nc_u64 s[30:31], s[0:1], s[30:31]
	s_add_co_u32 s26, s26, s30
	s_cselect_b32 s0, -1, 0
	s_delay_alu instid0(SALU_CYCLE_1) | instskip(SKIP_1) | instid1(SALU_CYCLE_1)
	s_cmp_lg_u32 s0, 0
	s_add_co_ci_u32 s27, s27, s31
	s_mul_u64 s[28:29], s[28:29], s[26:27]
	s_delay_alu instid0(SALU_CYCLE_1)
	s_mul_hi_u32 s31, s26, s29
	s_mul_i32 s30, s26, s29
	s_mul_hi_u32 s0, s26, s28
	s_mul_i32 s25, s27, s28
	s_add_nc_u64 s[30:31], s[0:1], s[30:31]
	s_mul_hi_u32 s21, s27, s28
	s_mul_hi_u32 s33, s27, s29
	s_add_co_u32 s0, s30, s25
	s_add_co_ci_u32 s0, s31, s21
	s_mul_i32 s28, s27, s29
	s_add_co_ci_u32 s29, s33, 0
	s_delay_alu instid0(SALU_CYCLE_1) | instskip(NEXT) | instid1(SALU_CYCLE_1)
	s_add_nc_u64 s[28:29], s[0:1], s[28:29]
	s_add_co_u32 s26, s26, s28
	s_cselect_b32 s0, -1, 0
	v_mul_hi_u32 v14, v0, s26
	s_cmp_lg_u32 s0, 0
	s_add_co_ci_u32 s0, s27, s29
	s_mov_b64 s[28:29], 0xffffffff
	v_mul_u64_e32 v[10:11], s[0:1], v[0:1]
	s_and_b64 s[28:29], s[26:27], s[28:29]
	v_mul_u64_e32 v[12:13], s[0:1], v[8:9]
	v_mul_u64_e32 v[6:7], s[28:29], v[8:9]
	s_delay_alu instid0(VALU_DEP_3) | instskip(NEXT) | instid1(VALU_DEP_1)
	v_add_nc_u64_e32 v[10:11], v[14:15], v[10:11]
	v_add_co_u32 v1, vcc_lo, v10, v6
	s_delay_alu instid0(VALU_DEP_2) | instskip(SKIP_1) | instid1(VALU_DEP_1)
	v_add_co_ci_u32_e32 v14, vcc_lo, v11, v7, vcc_lo
	v_add_co_ci_u32_e32 v13, vcc_lo, 0, v13, vcc_lo
	v_add_nc_u64_e32 v[6:7], v[14:15], v[12:13]
	s_delay_alu instid0(VALU_DEP_1) | instskip(NEXT) | instid1(VALU_DEP_1)
	v_mul_u64_e32 v[10:11], s[22:23], v[6:7]
	v_sub_nc_u32_e32 v1, v8, v11
	s_delay_alu instid0(VALU_DEP_2) | instskip(NEXT) | instid1(VALU_DEP_1)
	v_sub_co_u32 v0, vcc_lo, v0, v10
	v_sub_co_ci_u32_e64 v10, null, v8, v11, vcc_lo
	s_delay_alu instid0(VALU_DEP_3) | instskip(NEXT) | instid1(VALU_DEP_3)
	v_subrev_co_ci_u32_e64 v1, null, s23, v1, vcc_lo
	v_sub_co_u32 v5, s0, v0, s22
	s_delay_alu instid0(VALU_DEP_1) | instskip(NEXT) | instid1(VALU_DEP_2)
	v_subrev_co_ci_u32_e64 v1, null, 0, v1, s0
	v_cmp_le_u32_e32 vcc_lo, s22, v5
	v_cndmask_b32_e64 v5, 0, -1, vcc_lo
	s_delay_alu instid0(VALU_DEP_3)
	v_cmp_le_u32_e32 vcc_lo, s23, v1
	v_cndmask_b32_e64 v8, 0, -1, vcc_lo
	v_cmp_le_u32_e32 vcc_lo, s22, v0
	v_cndmask_b32_e64 v11, 0, -1, vcc_lo
	;; [unrolled: 2-line block ×3, first 2 shown]
	v_cmp_eq_u32_e32 vcc_lo, s23, v1
	v_add_nc_u64_e32 v[0:1], 2, v[6:7]
	v_cndmask_b32_e32 v5, v8, v5, vcc_lo
	v_cmp_eq_u32_e32 vcc_lo, s23, v10
	v_add_nc_u64_e32 v[8:9], 1, v[6:7]
	v_cndmask_b32_e32 v10, v12, v11, vcc_lo
	s_delay_alu instid0(VALU_DEP_4) | instskip(NEXT) | instid1(VALU_DEP_3)
	v_cmp_ne_u32_e32 vcc_lo, 0, v5
	v_cndmask_b32_e32 v1, v9, v1, vcc_lo
	s_delay_alu instid0(VALU_DEP_3) | instskip(SKIP_1) | instid1(VALU_DEP_2)
	v_cmp_ne_u32_e64 s0, 0, v10
	v_cndmask_b32_e32 v5, v8, v0, vcc_lo
	v_dual_cndmask_b32 v4, v7, v1, s0 :: v_dual_bitop2_b32 v0, s20, v4 bitop3:0x14
	s_delay_alu instid0(VALU_DEP_1) | instskip(NEXT) | instid1(VALU_DEP_2)
	v_dual_cndmask_b32 v6, v6, v5, s0 :: v_dual_mov_b32 v1, v0
	v_xor_b32_e32 v5, v4, v0
	s_delay_alu instid0(VALU_DEP_2) | instskip(NEXT) | instid1(VALU_DEP_1)
	v_xor_b32_e32 v4, v6, v0
	v_sub_nc_u64_e32 v[4:5], v[4:5], v[0:1]
.LBB114_2:
	s_or_saveexec_b32 s0, s24
	s_wait_kmcnt 0x0
	s_load_b64 s[16:17], s[16:17], 0x0
	s_xor_b32 exec_lo, exec_lo, s0
	s_cbranch_execz .LBB114_4
; %bb.3:
	v_cvt_f32_u32_e32 v0, s2
	s_sub_co_i32 s1, 0, s2
	s_delay_alu instid0(VALU_DEP_1) | instskip(SKIP_1) | instid1(TRANS32_DEP_1)
	v_rcp_iflag_f32_e32 v0, v0
	v_nop
	v_mul_f32_e32 v0, 0x4f7ffffe, v0
	s_delay_alu instid0(VALU_DEP_1) | instskip(NEXT) | instid1(VALU_DEP_1)
	v_cvt_u32_f32_e32 v0, v0
	v_mul_lo_u32 v1, s1, v0
	s_delay_alu instid0(VALU_DEP_1) | instskip(NEXT) | instid1(VALU_DEP_1)
	v_mul_hi_u32 v1, v0, v1
	v_add_nc_u32_e32 v0, v0, v1
	s_delay_alu instid0(VALU_DEP_1) | instskip(NEXT) | instid1(VALU_DEP_1)
	v_mul_hi_u32 v0, v2, v0
	v_mul_lo_u32 v1, v0, s2
	s_delay_alu instid0(VALU_DEP_1) | instskip(NEXT) | instid1(VALU_DEP_1)
	v_sub_nc_u32_e32 v1, v2, v1
	v_subrev_nc_u32_e32 v5, s2, v1
	v_cmp_le_u32_e32 vcc_lo, s2, v1
	s_delay_alu instid0(VALU_DEP_2) | instskip(NEXT) | instid1(VALU_DEP_1)
	v_dual_cndmask_b32 v1, v1, v5 :: v_dual_add_nc_u32 v4, 1, v0
	v_dual_cndmask_b32 v0, v0, v4 :: v_dual_mov_b32 v5, 0
	s_delay_alu instid0(VALU_DEP_2) | instskip(NEXT) | instid1(VALU_DEP_2)
	v_cmp_le_u32_e32 vcc_lo, s2, v1
	v_add_nc_u32_e32 v4, 1, v0
	s_delay_alu instid0(VALU_DEP_1)
	v_cndmask_b32_e32 v4, v0, v4, vcc_lo
.LBB114_4:
	s_or_b32 exec_lo, exec_lo, s0
	s_delay_alu instid0(VALU_DEP_1) | instskip(SKIP_2) | instid1(VALU_DEP_2)
	v_mul_u64_e32 v[0:1], s[2:3], v[4:5]
	s_wait_kmcnt 0x0
	v_cmp_gt_i64_e64 s0, s[16:17], v[4:5]
	v_sub_nc_u64_e32 v[0:1], v[2:3], v[0:1]
	s_delay_alu instid0(VALU_DEP_1) | instskip(SKIP_1) | instid1(SALU_CYCLE_1)
	v_cmp_gt_i64_e32 vcc_lo, s[12:13], v[0:1]
	s_and_b32 s0, vcc_lo, s0
	s_and_saveexec_b32 s1, s0
	s_cbranch_execz .LBB114_15
; %bb.5:
	v_lshl_add_u64 v[8:9], v[4:5], 3, s[14:15]
	s_add_nc_u64 s[0:1], s[16:17], -1
	v_mov_b64_e32 v[6:7], s[10:11]
	v_cmp_ne_u64_e32 vcc_lo, s[0:1], v[4:5]
	global_load_b64 v[2:3], v[8:9], off
	s_wait_xcnt 0x0
	s_and_saveexec_b32 s0, vcc_lo
	s_cbranch_execz .LBB114_7
; %bb.6:
	global_load_b64 v[6:7], v[8:9], off offset:8
.LBB114_7:
	s_wait_xcnt 0x0
	s_or_b32 exec_lo, exec_lo, s0
	s_wait_loadcnt 0x0
	v_mov_b32_e32 v3, 0
	s_mov_b32 s0, exec_lo
	v_cmpx_lt_i32_e64 v2, v6
	s_cbranch_execz .LBB114_14
; %bb.8:
	v_ashrrev_i32_e32 v3, 31, v2
	v_lshl_add_u64 v[8:9], v[0:1], 1, s[6:7]
	s_cmp_lg_u64 s[8:9], 0
	s_mov_b32 s2, 0
	s_cselect_b32 s1, -1, 0
	v_lshlrev_b64_e32 v[12:13], 3, v[2:3]
	v_mov_b32_e32 v3, 0
	s_delay_alu instid0(VALU_DEP_2)
	v_add_nc_u64_e32 v[10:11], s[4:5], v[12:13]
	v_add_nc_u64_e32 v[12:13], s[8:9], v[12:13]
	s_branch .LBB114_11
.LBB114_9:                              ;   in Loop: Header=BB114_11 Depth=1
	global_load_b64 v[16:17], v[12:13], off
	s_wait_loadcnt 0x0
	v_xor_b32_e32 v7, v16, v17
	v_cls_i32_e32 v18, v17
	s_delay_alu instid0(VALU_DEP_2) | instskip(NEXT) | instid1(VALU_DEP_1)
	v_ashrrev_i32_e32 v7, 31, v7
	v_add_nc_u32_e32 v7, 32, v7
	s_delay_alu instid0(VALU_DEP_1) | instskip(NEXT) | instid1(VALU_DEP_1)
	v_add_min_u32_e64 v7, v18, -1, v7
	v_lshlrev_b64_e32 v[16:17], v7, v[16:17]
	v_sub_nc_u32_e32 v7, 32, v7
	s_delay_alu instid0(VALU_DEP_2) | instskip(NEXT) | instid1(VALU_DEP_1)
	v_min_u32_e32 v16, 1, v16
	v_or_b32_e32 v16, v17, v16
	s_delay_alu instid0(VALU_DEP_1) | instskip(NEXT) | instid1(VALU_DEP_1)
	v_cvt_f32_i32_e32 v16, v16
	v_ldexp_f32 v7, v16, v7
	s_delay_alu instid0(VALU_DEP_1) | instskip(NEXT) | instid1(VALU_DEP_1)
	v_div_scale_f32 v16, null, v7, v7, 1.0
	v_rcp_f32_e32 v17, v16
	v_nop
	s_delay_alu instid0(TRANS32_DEP_1) | instskip(NEXT) | instid1(VALU_DEP_1)
	v_fma_f32 v18, -v16, v17, 1.0
	v_fmac_f32_e32 v17, v18, v17
	v_div_scale_f32 v18, vcc_lo, 1.0, v7, 1.0
	s_delay_alu instid0(VALU_DEP_1) | instskip(NEXT) | instid1(VALU_DEP_1)
	v_mul_f32_e32 v19, v18, v17
	v_fma_f32 v20, -v16, v19, v18
	s_delay_alu instid0(VALU_DEP_1) | instskip(NEXT) | instid1(VALU_DEP_1)
	v_fmac_f32_e32 v19, v20, v17
	v_fma_f32 v16, -v16, v19, v18
	s_delay_alu instid0(VALU_DEP_1) | instskip(NEXT) | instid1(VALU_DEP_1)
	v_div_fmas_f32 v16, v16, v17, v19
	v_div_fixup_f32 v7, v16, v7, 1.0
.LBB114_10:                             ;   in Loop: Header=BB114_11 Depth=1
	s_wait_loadcnt 0x0
	v_mul_u64_e32 v[14:15], s[12:13], v[14:15]
	v_add_nc_u32_e32 v2, 1, v2
	v_add_nc_u64_e32 v[10:11], 8, v[10:11]
	v_add_nc_u64_e32 v[12:13], 8, v[12:13]
	s_delay_alu instid0(VALU_DEP_3)
	v_cmp_ge_i32_e32 vcc_lo, v2, v6
	s_or_b32 s2, vcc_lo, s2
	v_lshl_add_u64 v[14:15], v[14:15], 1, v[8:9]
	global_load_u16 v14, v[14:15], off
	s_wait_loadcnt 0x0
	v_fma_mix_f32_bf16 v3, v7, v14, v3 op_sel_hi:[0,1,0]
	s_and_not1_b32 exec_lo, exec_lo, s2
	s_cbranch_execz .LBB114_13
.LBB114_11:                             ; =>This Inner Loop Header: Depth=1
	global_load_b64 v[14:15], v[10:11], off
	s_and_not1_b32 vcc_lo, exec_lo, s1
	s_cbranch_vccz .LBB114_9
; %bb.12:                               ;   in Loop: Header=BB114_11 Depth=1
	v_mov_b32_e32 v7, 1.0
	s_branch .LBB114_10
.LBB114_13:
	s_or_b32 exec_lo, exec_lo, s2
.LBB114_14:
	s_delay_alu instid0(SALU_CYCLE_1) | instskip(SKIP_1) | instid1(VALU_DEP_1)
	s_or_b32 exec_lo, exec_lo, s0
	v_mul_u64_e32 v[4:5], s[12:13], v[4:5]
	v_lshl_add_u64 v[4:5], v[4:5], 2, s[18:19]
	s_delay_alu instid0(VALU_DEP_1)
	v_lshl_add_u64 v[0:1], v[0:1], 2, v[4:5]
	global_store_b32 v[0:1], v3, off
.LBB114_15:
	s_endpgm
	.section	.rodata,"a",@progbits
	.p2align	6, 0x0
	.amdhsa_kernel _ZN2at6native12_GLOBAL__N_119compute_grad_weightIN3c108BFloat16ElEEvPKT0_PKT_S7_llS7_PKlPNS_14AccumulateTypeIS8_Lb1EE4typeEl
		.amdhsa_group_segment_fixed_size 0
		.amdhsa_private_segment_fixed_size 0
		.amdhsa_kernarg_size 328
		.amdhsa_user_sgpr_count 2
		.amdhsa_user_sgpr_dispatch_ptr 0
		.amdhsa_user_sgpr_queue_ptr 0
		.amdhsa_user_sgpr_kernarg_segment_ptr 1
		.amdhsa_user_sgpr_dispatch_id 0
		.amdhsa_user_sgpr_kernarg_preload_length 0
		.amdhsa_user_sgpr_kernarg_preload_offset 0
		.amdhsa_user_sgpr_private_segment_size 0
		.amdhsa_wavefront_size32 1
		.amdhsa_uses_dynamic_stack 0
		.amdhsa_enable_private_segment 0
		.amdhsa_system_sgpr_workgroup_id_x 1
		.amdhsa_system_sgpr_workgroup_id_y 0
		.amdhsa_system_sgpr_workgroup_id_z 0
		.amdhsa_system_sgpr_workgroup_info 0
		.amdhsa_system_vgpr_workitem_id 0
		.amdhsa_next_free_vgpr 21
		.amdhsa_next_free_sgpr 36
		.amdhsa_named_barrier_count 0
		.amdhsa_reserve_vcc 1
		.amdhsa_float_round_mode_32 0
		.amdhsa_float_round_mode_16_64 0
		.amdhsa_float_denorm_mode_32 3
		.amdhsa_float_denorm_mode_16_64 3
		.amdhsa_fp16_overflow 0
		.amdhsa_memory_ordered 1
		.amdhsa_forward_progress 1
		.amdhsa_inst_pref_size 11
		.amdhsa_round_robin_scheduling 0
		.amdhsa_exception_fp_ieee_invalid_op 0
		.amdhsa_exception_fp_denorm_src 0
		.amdhsa_exception_fp_ieee_div_zero 0
		.amdhsa_exception_fp_ieee_overflow 0
		.amdhsa_exception_fp_ieee_underflow 0
		.amdhsa_exception_fp_ieee_inexact 0
		.amdhsa_exception_int_div_zero 0
	.end_amdhsa_kernel
	.section	.text._ZN2at6native12_GLOBAL__N_119compute_grad_weightIN3c108BFloat16ElEEvPKT0_PKT_S7_llS7_PKlPNS_14AccumulateTypeIS8_Lb1EE4typeEl,"axG",@progbits,_ZN2at6native12_GLOBAL__N_119compute_grad_weightIN3c108BFloat16ElEEvPKT0_PKT_S7_llS7_PKlPNS_14AccumulateTypeIS8_Lb1EE4typeEl,comdat
.Lfunc_end114:
	.size	_ZN2at6native12_GLOBAL__N_119compute_grad_weightIN3c108BFloat16ElEEvPKT0_PKT_S7_llS7_PKlPNS_14AccumulateTypeIS8_Lb1EE4typeEl, .Lfunc_end114-_ZN2at6native12_GLOBAL__N_119compute_grad_weightIN3c108BFloat16ElEEvPKT0_PKT_S7_llS7_PKlPNS_14AccumulateTypeIS8_Lb1EE4typeEl
                                        ; -- End function
	.set _ZN2at6native12_GLOBAL__N_119compute_grad_weightIN3c108BFloat16ElEEvPKT0_PKT_S7_llS7_PKlPNS_14AccumulateTypeIS8_Lb1EE4typeEl.num_vgpr, 21
	.set _ZN2at6native12_GLOBAL__N_119compute_grad_weightIN3c108BFloat16ElEEvPKT0_PKT_S7_llS7_PKlPNS_14AccumulateTypeIS8_Lb1EE4typeEl.num_agpr, 0
	.set _ZN2at6native12_GLOBAL__N_119compute_grad_weightIN3c108BFloat16ElEEvPKT0_PKT_S7_llS7_PKlPNS_14AccumulateTypeIS8_Lb1EE4typeEl.numbered_sgpr, 36
	.set _ZN2at6native12_GLOBAL__N_119compute_grad_weightIN3c108BFloat16ElEEvPKT0_PKT_S7_llS7_PKlPNS_14AccumulateTypeIS8_Lb1EE4typeEl.num_named_barrier, 0
	.set _ZN2at6native12_GLOBAL__N_119compute_grad_weightIN3c108BFloat16ElEEvPKT0_PKT_S7_llS7_PKlPNS_14AccumulateTypeIS8_Lb1EE4typeEl.private_seg_size, 0
	.set _ZN2at6native12_GLOBAL__N_119compute_grad_weightIN3c108BFloat16ElEEvPKT0_PKT_S7_llS7_PKlPNS_14AccumulateTypeIS8_Lb1EE4typeEl.uses_vcc, 1
	.set _ZN2at6native12_GLOBAL__N_119compute_grad_weightIN3c108BFloat16ElEEvPKT0_PKT_S7_llS7_PKlPNS_14AccumulateTypeIS8_Lb1EE4typeEl.uses_flat_scratch, 0
	.set _ZN2at6native12_GLOBAL__N_119compute_grad_weightIN3c108BFloat16ElEEvPKT0_PKT_S7_llS7_PKlPNS_14AccumulateTypeIS8_Lb1EE4typeEl.has_dyn_sized_stack, 0
	.set _ZN2at6native12_GLOBAL__N_119compute_grad_weightIN3c108BFloat16ElEEvPKT0_PKT_S7_llS7_PKlPNS_14AccumulateTypeIS8_Lb1EE4typeEl.has_recursion, 0
	.set _ZN2at6native12_GLOBAL__N_119compute_grad_weightIN3c108BFloat16ElEEvPKT0_PKT_S7_llS7_PKlPNS_14AccumulateTypeIS8_Lb1EE4typeEl.has_indirect_call, 0
	.section	.AMDGPU.csdata,"",@progbits
; Kernel info:
; codeLenInByte = 1372
; TotalNumSgprs: 38
; NumVgprs: 21
; ScratchSize: 0
; MemoryBound: 0
; FloatMode: 240
; IeeeMode: 1
; LDSByteSize: 0 bytes/workgroup (compile time only)
; SGPRBlocks: 0
; VGPRBlocks: 1
; NumSGPRsForWavesPerEU: 38
; NumVGPRsForWavesPerEU: 21
; NamedBarCnt: 0
; Occupancy: 16
; WaveLimiterHint : 1
; COMPUTE_PGM_RSRC2:SCRATCH_EN: 0
; COMPUTE_PGM_RSRC2:USER_SGPR: 2
; COMPUTE_PGM_RSRC2:TRAP_HANDLER: 0
; COMPUTE_PGM_RSRC2:TGID_X_EN: 1
; COMPUTE_PGM_RSRC2:TGID_Y_EN: 0
; COMPUTE_PGM_RSRC2:TGID_Z_EN: 0
; COMPUTE_PGM_RSRC2:TIDIG_COMP_CNT: 0
	.section	.text._ZN2at6native12_GLOBAL__N_115sum_and_scatterIN3c108BFloat16ElEEvPKT0_PT_lS7_PKlPKNS_14AccumulateTypeIS8_Lb1EE4typeES7_SB_ll,"axG",@progbits,_ZN2at6native12_GLOBAL__N_115sum_and_scatterIN3c108BFloat16ElEEvPKT0_PT_lS7_PKlPKNS_14AccumulateTypeIS8_Lb1EE4typeES7_SB_ll,comdat
	.globl	_ZN2at6native12_GLOBAL__N_115sum_and_scatterIN3c108BFloat16ElEEvPKT0_PT_lS7_PKlPKNS_14AccumulateTypeIS8_Lb1EE4typeES7_SB_ll ; -- Begin function _ZN2at6native12_GLOBAL__N_115sum_and_scatterIN3c108BFloat16ElEEvPKT0_PT_lS7_PKlPKNS_14AccumulateTypeIS8_Lb1EE4typeES7_SB_ll
	.p2align	8
	.type	_ZN2at6native12_GLOBAL__N_115sum_and_scatterIN3c108BFloat16ElEEvPKT0_PT_lS7_PKlPKNS_14AccumulateTypeIS8_Lb1EE4typeES7_SB_ll,@function
_ZN2at6native12_GLOBAL__N_115sum_and_scatterIN3c108BFloat16ElEEvPKT0_PT_lS7_PKlPKNS_14AccumulateTypeIS8_Lb1EE4typeES7_SB_ll: ; @_ZN2at6native12_GLOBAL__N_115sum_and_scatterIN3c108BFloat16ElEEvPKT0_PT_lS7_PKlPKNS_14AccumulateTypeIS8_Lb1EE4typeES7_SB_ll
; %bb.0:
	s_clause 0x1
	s_load_b32 s2, s[0:1], 0x5c
	s_load_b128 s[20:23], s[0:1], 0x40
	s_bfe_u32 s3, ttmp6, 0x4000c
	s_and_b32 s4, ttmp6, 15
	s_add_co_i32 s3, s3, 1
	s_getreg_b32 s5, hwreg(HW_REG_IB_STS2, 6, 4)
	s_mul_i32 s3, ttmp9, s3
	v_mov_b32_e32 v1, 0
	s_add_co_i32 s4, s4, s3
	s_wait_kmcnt 0x0
	s_and_b32 s2, s2, 0xffff
	s_cmp_eq_u32 s5, 0
	s_cselect_b32 s3, ttmp9, s4
	s_load_b512 s[4:19], s[0:1], 0x0
	v_mad_nc_u64_u32 v[2:3], s2, s3, v[0:1]
	s_wait_xcnt 0x0
	s_mov_b32 s1, 0
	s_delay_alu instid0(VALU_DEP_1) | instskip(NEXT) | instid1(VALU_DEP_1)
	v_dual_mov_b32 v4, v1 :: v_dual_bitop2_b32 v5, s23, v3 bitop3:0x54
	v_cmp_ne_u64_e32 vcc_lo, 0, v[4:5]
                                        ; implicit-def: $vgpr4_vgpr5
	s_and_saveexec_b32 s0, vcc_lo
	s_delay_alu instid0(SALU_CYCLE_1)
	s_xor_b32 s26, exec_lo, s0
	s_cbranch_execz .LBB115_2
; %bb.1:
	s_ashr_i32 s2, s23, 31
	v_dual_mov_b32 v9, v1 :: v_dual_ashrrev_i32 v4, 31, v3
	s_mov_b32 s3, s2
	v_mov_b32_e32 v15, v1
	s_add_nc_u64 s[24:25], s[22:23], s[2:3]
	s_delay_alu instid0(VALU_DEP_2) | instskip(SKIP_1) | instid1(SALU_CYCLE_1)
	v_mov_b32_e32 v5, v4
	s_xor_b64 s[24:25], s[24:25], s[2:3]
	s_cvt_f32_u32 s0, s24
	s_cvt_f32_u32 s3, s25
	s_sub_nc_u64 s[30:31], 0, s[24:25]
	v_add_nc_u64_e32 v[6:7], v[2:3], v[4:5]
	s_delay_alu instid0(SALU_CYCLE_1) | instskip(NEXT) | instid1(SALU_CYCLE_3)
	s_fmamk_f32 s0, s3, 0x4f800000, s0
	v_s_rcp_f32 s0, s0
	s_delay_alu instid0(VALU_DEP_1) | instskip(NEXT) | instid1(VALU_DEP_2)
	v_xor_b32_e32 v0, v6, v4
	v_xor_b32_e32 v8, v7, v4
	s_delay_alu instid0(TRANS32_DEP_1) | instskip(NEXT) | instid1(SALU_CYCLE_3)
	s_mul_f32 s0, s0, 0x5f7ffffc
	s_mul_f32 s3, s0, 0x2f800000
	s_delay_alu instid0(SALU_CYCLE_3) | instskip(NEXT) | instid1(SALU_CYCLE_3)
	s_trunc_f32 s3, s3
	s_fmamk_f32 s0, s3, 0xcf800000, s0
	s_cvt_u32_f32 s29, s3
	s_delay_alu instid0(SALU_CYCLE_2) | instskip(NEXT) | instid1(SALU_CYCLE_3)
	s_cvt_u32_f32 s28, s0
	s_mul_u64 s[34:35], s[30:31], s[28:29]
	s_delay_alu instid0(SALU_CYCLE_1)
	s_mul_hi_u32 s37, s28, s35
	s_mul_i32 s36, s28, s35
	s_mul_hi_u32 s0, s28, s34
	s_mul_i32 s27, s29, s34
	s_add_nc_u64 s[36:37], s[0:1], s[36:37]
	s_mul_hi_u32 s3, s29, s34
	s_mul_hi_u32 s33, s29, s35
	s_add_co_u32 s0, s36, s27
	s_add_co_ci_u32 s0, s37, s3
	s_mul_i32 s34, s29, s35
	s_add_co_ci_u32 s35, s33, 0
	s_delay_alu instid0(SALU_CYCLE_1) | instskip(NEXT) | instid1(SALU_CYCLE_1)
	s_add_nc_u64 s[34:35], s[0:1], s[34:35]
	s_add_co_u32 s28, s28, s34
	s_cselect_b32 s0, -1, 0
	s_delay_alu instid0(SALU_CYCLE_1) | instskip(SKIP_1) | instid1(SALU_CYCLE_1)
	s_cmp_lg_u32 s0, 0
	s_add_co_ci_u32 s29, s29, s35
	s_mul_u64 s[30:31], s[30:31], s[28:29]
	s_delay_alu instid0(SALU_CYCLE_1)
	s_mul_hi_u32 s35, s28, s31
	s_mul_i32 s34, s28, s31
	s_mul_hi_u32 s0, s28, s30
	s_mul_i32 s27, s29, s30
	s_add_nc_u64 s[34:35], s[0:1], s[34:35]
	s_mul_hi_u32 s3, s29, s30
	s_mul_hi_u32 s33, s29, s31
	s_add_co_u32 s0, s34, s27
	s_add_co_ci_u32 s0, s35, s3
	s_mul_i32 s30, s29, s31
	s_add_co_ci_u32 s31, s33, 0
	s_delay_alu instid0(SALU_CYCLE_1) | instskip(NEXT) | instid1(SALU_CYCLE_1)
	s_add_nc_u64 s[30:31], s[0:1], s[30:31]
	s_add_co_u32 s28, s28, s30
	s_cselect_b32 s0, -1, 0
	v_mul_hi_u32 v14, v0, s28
	s_cmp_lg_u32 s0, 0
	s_add_co_ci_u32 s0, s29, s31
	s_mov_b64 s[30:31], 0xffffffff
	v_mul_u64_e32 v[10:11], s[0:1], v[0:1]
	s_and_b64 s[30:31], s[28:29], s[30:31]
	v_mul_u64_e32 v[12:13], s[0:1], v[8:9]
	v_mul_u64_e32 v[6:7], s[30:31], v[8:9]
	s_delay_alu instid0(VALU_DEP_3) | instskip(NEXT) | instid1(VALU_DEP_1)
	v_add_nc_u64_e32 v[10:11], v[14:15], v[10:11]
	v_add_co_u32 v1, vcc_lo, v10, v6
	s_delay_alu instid0(VALU_DEP_2) | instskip(SKIP_1) | instid1(VALU_DEP_1)
	v_add_co_ci_u32_e32 v14, vcc_lo, v11, v7, vcc_lo
	v_add_co_ci_u32_e32 v13, vcc_lo, 0, v13, vcc_lo
	v_add_nc_u64_e32 v[6:7], v[14:15], v[12:13]
	s_delay_alu instid0(VALU_DEP_1) | instskip(NEXT) | instid1(VALU_DEP_1)
	v_mul_u64_e32 v[10:11], s[24:25], v[6:7]
	v_sub_nc_u32_e32 v1, v8, v11
	s_delay_alu instid0(VALU_DEP_2) | instskip(NEXT) | instid1(VALU_DEP_1)
	v_sub_co_u32 v0, vcc_lo, v0, v10
	v_sub_co_ci_u32_e64 v10, null, v8, v11, vcc_lo
	s_delay_alu instid0(VALU_DEP_3) | instskip(NEXT) | instid1(VALU_DEP_3)
	v_subrev_co_ci_u32_e64 v1, null, s25, v1, vcc_lo
	v_sub_co_u32 v5, s0, v0, s24
	s_delay_alu instid0(VALU_DEP_1) | instskip(NEXT) | instid1(VALU_DEP_2)
	v_subrev_co_ci_u32_e64 v1, null, 0, v1, s0
	v_cmp_le_u32_e32 vcc_lo, s24, v5
	v_cndmask_b32_e64 v5, 0, -1, vcc_lo
	s_delay_alu instid0(VALU_DEP_3)
	v_cmp_le_u32_e32 vcc_lo, s25, v1
	v_cndmask_b32_e64 v8, 0, -1, vcc_lo
	v_cmp_le_u32_e32 vcc_lo, s24, v0
	v_cndmask_b32_e64 v11, 0, -1, vcc_lo
	;; [unrolled: 2-line block ×3, first 2 shown]
	v_cmp_eq_u32_e32 vcc_lo, s25, v1
	v_add_nc_u64_e32 v[0:1], 2, v[6:7]
	v_cndmask_b32_e32 v5, v8, v5, vcc_lo
	v_cmp_eq_u32_e32 vcc_lo, s25, v10
	v_add_nc_u64_e32 v[8:9], 1, v[6:7]
	v_cndmask_b32_e32 v10, v12, v11, vcc_lo
	s_delay_alu instid0(VALU_DEP_4) | instskip(NEXT) | instid1(VALU_DEP_3)
	v_cmp_ne_u32_e32 vcc_lo, 0, v5
	v_cndmask_b32_e32 v1, v9, v1, vcc_lo
	s_delay_alu instid0(VALU_DEP_3) | instskip(SKIP_1) | instid1(VALU_DEP_2)
	v_cmp_ne_u32_e64 s0, 0, v10
	v_cndmask_b32_e32 v5, v8, v0, vcc_lo
	v_dual_cndmask_b32 v4, v7, v1, s0 :: v_dual_bitop2_b32 v0, s2, v4 bitop3:0x14
	s_delay_alu instid0(VALU_DEP_1) | instskip(NEXT) | instid1(VALU_DEP_2)
	v_dual_cndmask_b32 v6, v6, v5, s0 :: v_dual_mov_b32 v1, v0
	v_xor_b32_e32 v5, v4, v0
	s_delay_alu instid0(VALU_DEP_2) | instskip(NEXT) | instid1(VALU_DEP_1)
	v_xor_b32_e32 v4, v6, v0
	v_sub_nc_u64_e32 v[4:5], v[4:5], v[0:1]
.LBB115_2:
	s_or_saveexec_b32 s0, s26
	s_wait_kmcnt 0x0
	s_load_b64 s[2:3], s[12:13], 0x0
	s_xor_b32 exec_lo, exec_lo, s0
	s_cbranch_execz .LBB115_4
; %bb.3:
	v_cvt_f32_u32_e32 v0, s22
	s_sub_co_i32 s1, 0, s22
	s_delay_alu instid0(VALU_DEP_1) | instskip(SKIP_1) | instid1(TRANS32_DEP_1)
	v_rcp_iflag_f32_e32 v0, v0
	v_nop
	v_mul_f32_e32 v0, 0x4f7ffffe, v0
	s_delay_alu instid0(VALU_DEP_1) | instskip(NEXT) | instid1(VALU_DEP_1)
	v_cvt_u32_f32_e32 v0, v0
	v_mul_lo_u32 v1, s1, v0
	s_delay_alu instid0(VALU_DEP_1) | instskip(NEXT) | instid1(VALU_DEP_1)
	v_mul_hi_u32 v1, v0, v1
	v_add_nc_u32_e32 v0, v0, v1
	s_delay_alu instid0(VALU_DEP_1) | instskip(NEXT) | instid1(VALU_DEP_1)
	v_mul_hi_u32 v0, v2, v0
	v_mul_lo_u32 v1, v0, s22
	s_delay_alu instid0(VALU_DEP_1) | instskip(NEXT) | instid1(VALU_DEP_1)
	v_sub_nc_u32_e32 v1, v2, v1
	v_subrev_nc_u32_e32 v5, s22, v1
	v_cmp_le_u32_e32 vcc_lo, s22, v1
	s_delay_alu instid0(VALU_DEP_2) | instskip(NEXT) | instid1(VALU_DEP_1)
	v_dual_cndmask_b32 v1, v1, v5 :: v_dual_add_nc_u32 v4, 1, v0
	v_dual_cndmask_b32 v0, v0, v4 :: v_dual_mov_b32 v5, 0
	s_delay_alu instid0(VALU_DEP_2) | instskip(NEXT) | instid1(VALU_DEP_2)
	v_cmp_le_u32_e32 vcc_lo, s22, v1
	v_add_nc_u32_e32 v4, 1, v0
	s_delay_alu instid0(VALU_DEP_1)
	v_cndmask_b32_e32 v4, v0, v4, vcc_lo
.LBB115_4:
	s_or_b32 exec_lo, exec_lo, s0
	s_delay_alu instid0(VALU_DEP_1) | instskip(SKIP_2) | instid1(VALU_DEP_2)
	v_mul_u64_e32 v[8:9], s[22:23], v[4:5]
	s_wait_kmcnt 0x0
	v_cmp_gt_i64_e64 s0, s[2:3], v[4:5]
	v_sub_nc_u64_e32 v[0:1], v[2:3], v[8:9]
	s_delay_alu instid0(VALU_DEP_1) | instskip(SKIP_1) | instid1(SALU_CYCLE_1)
	v_cmp_gt_i64_e32 vcc_lo, s[8:9], v[0:1]
	s_and_b32 s0, vcc_lo, s0
	s_and_saveexec_b32 s1, s0
	s_cbranch_execz .LBB115_11
; %bb.5:
	v_lshl_add_u64 v[12:13], v[4:5], 3, s[16:17]
	s_add_nc_u64 s[0:1], s[2:3], -1
	s_mov_b32 s2, exec_lo
	v_cmp_eq_u64_e32 vcc_lo, s[0:1], v[4:5]
	s_delay_alu instid0(VALU_DEP_2) | instskip(NEXT) | instid1(VALU_DEP_1)
	v_add_nc_u64_e32 v[6:7], 8, v[12:13]
	v_cndmask_b32_e64 v15, v7, s19, vcc_lo
	s_delay_alu instid0(VALU_DEP_2)
	v_cndmask_b32_e64 v14, v6, s18, vcc_lo
	v_mov_b32_e32 v7, 0
	global_load_b32 v6, v[12:13], off
	global_load_b32 v10, v[14:15], off
	s_wait_loadcnt 0x0
	v_cmpx_lt_i32_e64 v6, v10
	s_cbranch_execz .LBB115_9
; %bb.6:
	v_ashrrev_i32_e32 v7, 31, v6
	v_lshlrev_b64_e32 v[2:3], 2, v[2:3]
	v_lshlrev_b64_e32 v[8:9], 2, v[8:9]
	s_lshl_b64 s[0:1], s[8:9], 2
	s_mov_b32 s3, 0
	v_mul_u64_e32 v[12:13], s[8:9], v[6:7]
	v_mov_b32_e32 v7, 0
	s_delay_alu instid0(VALU_DEP_2) | instskip(NEXT) | instid1(VALU_DEP_1)
	v_lshl_add_u64 v[2:3], v[12:13], 2, v[2:3]
	v_sub_nc_u64_e32 v[2:3], v[2:3], v[8:9]
	s_delay_alu instid0(VALU_DEP_1)
	v_add_nc_u64_e32 v[2:3], s[14:15], v[2:3]
.LBB115_7:                              ; =>This Inner Loop Header: Depth=1
	global_load_b32 v8, v[2:3], off
	v_add_nc_u32_e32 v6, 1, v6
	s_wait_xcnt 0x0
	v_add_nc_u64_e32 v[2:3], s[0:1], v[2:3]
	s_wait_loadcnt 0x0
	v_add_f32_e32 v7, v7, v8
	v_cmp_ge_i32_e32 vcc_lo, v6, v10
	s_or_b32 s3, vcc_lo, s3
	s_delay_alu instid0(SALU_CYCLE_1)
	s_and_not1_b32 exec_lo, exec_lo, s3
	s_cbranch_execnz .LBB115_7
; %bb.8:
	s_or_b32 exec_lo, exec_lo, s3
.LBB115_9:
	s_delay_alu instid0(SALU_CYCLE_1)
	s_or_b32 exec_lo, exec_lo, s2
	v_lshl_add_u64 v[2:3], v[4:5], 3, s[10:11]
	global_load_b64 v[2:3], v[2:3], off
	s_wait_loadcnt 0x0
	v_lshl_add_u64 v[2:3], v[2:3], 3, s[4:5]
	global_load_b64 v[2:3], v[2:3], off
	s_wait_loadcnt 0x0
	v_cmp_ne_u64_e32 vcc_lo, s[20:21], v[2:3]
	s_and_b32 exec_lo, exec_lo, vcc_lo
	s_cbranch_execz .LBB115_11
; %bb.10:
	v_mul_u64_e32 v[2:3], s[8:9], v[2:3]
	v_bfe_u32 v4, v7, 16, 1
	v_cmp_o_f32_e32 vcc_lo, v7, v7
	s_delay_alu instid0(VALU_DEP_2) | instskip(NEXT) | instid1(VALU_DEP_1)
	v_add3_u32 v4, v7, v4, 0x7fff
	v_lshrrev_b32_e32 v4, 16, v4
	s_delay_alu instid0(VALU_DEP_1) | instskip(SKIP_1) | instid1(VALU_DEP_1)
	v_cndmask_b32_e32 v4, 0x7fc0, v4, vcc_lo
	v_lshl_add_u64 v[2:3], v[2:3], 1, s[6:7]
	v_lshl_add_u64 v[0:1], v[0:1], 1, v[2:3]
	global_store_b16 v[0:1], v4, off
.LBB115_11:
	s_endpgm
	.section	.rodata,"a",@progbits
	.p2align	6, 0x0
	.amdhsa_kernel _ZN2at6native12_GLOBAL__N_115sum_and_scatterIN3c108BFloat16ElEEvPKT0_PT_lS7_PKlPKNS_14AccumulateTypeIS8_Lb1EE4typeES7_SB_ll
		.amdhsa_group_segment_fixed_size 0
		.amdhsa_private_segment_fixed_size 0
		.amdhsa_kernarg_size 336
		.amdhsa_user_sgpr_count 2
		.amdhsa_user_sgpr_dispatch_ptr 0
		.amdhsa_user_sgpr_queue_ptr 0
		.amdhsa_user_sgpr_kernarg_segment_ptr 1
		.amdhsa_user_sgpr_dispatch_id 0
		.amdhsa_user_sgpr_kernarg_preload_length 0
		.amdhsa_user_sgpr_kernarg_preload_offset 0
		.amdhsa_user_sgpr_private_segment_size 0
		.amdhsa_wavefront_size32 1
		.amdhsa_uses_dynamic_stack 0
		.amdhsa_enable_private_segment 0
		.amdhsa_system_sgpr_workgroup_id_x 1
		.amdhsa_system_sgpr_workgroup_id_y 0
		.amdhsa_system_sgpr_workgroup_id_z 0
		.amdhsa_system_sgpr_workgroup_info 0
		.amdhsa_system_vgpr_workitem_id 0
		.amdhsa_next_free_vgpr 16
		.amdhsa_next_free_sgpr 38
		.amdhsa_named_barrier_count 0
		.amdhsa_reserve_vcc 1
		.amdhsa_float_round_mode_32 0
		.amdhsa_float_round_mode_16_64 0
		.amdhsa_float_denorm_mode_32 3
		.amdhsa_float_denorm_mode_16_64 3
		.amdhsa_fp16_overflow 0
		.amdhsa_memory_ordered 1
		.amdhsa_forward_progress 1
		.amdhsa_inst_pref_size 10
		.amdhsa_round_robin_scheduling 0
		.amdhsa_exception_fp_ieee_invalid_op 0
		.amdhsa_exception_fp_denorm_src 0
		.amdhsa_exception_fp_ieee_div_zero 0
		.amdhsa_exception_fp_ieee_overflow 0
		.amdhsa_exception_fp_ieee_underflow 0
		.amdhsa_exception_fp_ieee_inexact 0
		.amdhsa_exception_int_div_zero 0
	.end_amdhsa_kernel
	.section	.text._ZN2at6native12_GLOBAL__N_115sum_and_scatterIN3c108BFloat16ElEEvPKT0_PT_lS7_PKlPKNS_14AccumulateTypeIS8_Lb1EE4typeES7_SB_ll,"axG",@progbits,_ZN2at6native12_GLOBAL__N_115sum_and_scatterIN3c108BFloat16ElEEvPKT0_PT_lS7_PKlPKNS_14AccumulateTypeIS8_Lb1EE4typeES7_SB_ll,comdat
.Lfunc_end115:
	.size	_ZN2at6native12_GLOBAL__N_115sum_and_scatterIN3c108BFloat16ElEEvPKT0_PT_lS7_PKlPKNS_14AccumulateTypeIS8_Lb1EE4typeES7_SB_ll, .Lfunc_end115-_ZN2at6native12_GLOBAL__N_115sum_and_scatterIN3c108BFloat16ElEEvPKT0_PT_lS7_PKlPKNS_14AccumulateTypeIS8_Lb1EE4typeES7_SB_ll
                                        ; -- End function
	.set _ZN2at6native12_GLOBAL__N_115sum_and_scatterIN3c108BFloat16ElEEvPKT0_PT_lS7_PKlPKNS_14AccumulateTypeIS8_Lb1EE4typeES7_SB_ll.num_vgpr, 16
	.set _ZN2at6native12_GLOBAL__N_115sum_and_scatterIN3c108BFloat16ElEEvPKT0_PT_lS7_PKlPKNS_14AccumulateTypeIS8_Lb1EE4typeES7_SB_ll.num_agpr, 0
	.set _ZN2at6native12_GLOBAL__N_115sum_and_scatterIN3c108BFloat16ElEEvPKT0_PT_lS7_PKlPKNS_14AccumulateTypeIS8_Lb1EE4typeES7_SB_ll.numbered_sgpr, 38
	.set _ZN2at6native12_GLOBAL__N_115sum_and_scatterIN3c108BFloat16ElEEvPKT0_PT_lS7_PKlPKNS_14AccumulateTypeIS8_Lb1EE4typeES7_SB_ll.num_named_barrier, 0
	.set _ZN2at6native12_GLOBAL__N_115sum_and_scatterIN3c108BFloat16ElEEvPKT0_PT_lS7_PKlPKNS_14AccumulateTypeIS8_Lb1EE4typeES7_SB_ll.private_seg_size, 0
	.set _ZN2at6native12_GLOBAL__N_115sum_and_scatterIN3c108BFloat16ElEEvPKT0_PT_lS7_PKlPKNS_14AccumulateTypeIS8_Lb1EE4typeES7_SB_ll.uses_vcc, 1
	.set _ZN2at6native12_GLOBAL__N_115sum_and_scatterIN3c108BFloat16ElEEvPKT0_PT_lS7_PKlPKNS_14AccumulateTypeIS8_Lb1EE4typeES7_SB_ll.uses_flat_scratch, 0
	.set _ZN2at6native12_GLOBAL__N_115sum_and_scatterIN3c108BFloat16ElEEvPKT0_PT_lS7_PKlPKNS_14AccumulateTypeIS8_Lb1EE4typeES7_SB_ll.has_dyn_sized_stack, 0
	.set _ZN2at6native12_GLOBAL__N_115sum_and_scatterIN3c108BFloat16ElEEvPKT0_PT_lS7_PKlPKNS_14AccumulateTypeIS8_Lb1EE4typeES7_SB_ll.has_recursion, 0
	.set _ZN2at6native12_GLOBAL__N_115sum_and_scatterIN3c108BFloat16ElEEvPKT0_PT_lS7_PKlPKNS_14AccumulateTypeIS8_Lb1EE4typeES7_SB_ll.has_indirect_call, 0
	.section	.AMDGPU.csdata,"",@progbits
; Kernel info:
; codeLenInByte = 1252
; TotalNumSgprs: 40
; NumVgprs: 16
; ScratchSize: 0
; MemoryBound: 0
; FloatMode: 240
; IeeeMode: 1
; LDSByteSize: 0 bytes/workgroup (compile time only)
; SGPRBlocks: 0
; VGPRBlocks: 0
; NumSGPRsForWavesPerEU: 40
; NumVGPRsForWavesPerEU: 16
; NamedBarCnt: 0
; Occupancy: 16
; WaveLimiterHint : 1
; COMPUTE_PGM_RSRC2:SCRATCH_EN: 0
; COMPUTE_PGM_RSRC2:USER_SGPR: 2
; COMPUTE_PGM_RSRC2:TRAP_HANDLER: 0
; COMPUTE_PGM_RSRC2:TGID_X_EN: 1
; COMPUTE_PGM_RSRC2:TGID_Y_EN: 0
; COMPUTE_PGM_RSRC2:TGID_Z_EN: 0
; COMPUTE_PGM_RSRC2:TIDIG_COMP_CNT: 0
	.section	.AMDGPU.gpr_maximums,"",@progbits
	.set amdgpu.max_num_vgpr, 0
	.set amdgpu.max_num_agpr, 0
	.set amdgpu.max_num_sgpr, 0
	.section	.AMDGPU.csdata,"",@progbits
	.type	__hip_cuid_e6f3618431ad97ad,@object ; @__hip_cuid_e6f3618431ad97ad
	.section	.bss,"aw",@nobits
	.globl	__hip_cuid_e6f3618431ad97ad
__hip_cuid_e6f3618431ad97ad:
	.byte	0                               ; 0x0
	.size	__hip_cuid_e6f3618431ad97ad, 1

	.ident	"AMD clang version 22.0.0git (https://github.com/RadeonOpenCompute/llvm-project roc-7.2.4 26084 f58b06dce1f9c15707c5f808fd002e18c2accf7e)"
	.section	".note.GNU-stack","",@progbits
	.addrsig
	.addrsig_sym __hip_cuid_e6f3618431ad97ad
	.amdgpu_metadata
---
amdhsa.kernels:
  - .args:
      - .address_space:  global
        .offset:         0
        .size:           8
        .value_kind:     global_buffer
      - .offset:         8
        .size:           4
        .value_kind:     by_value
      - .offset:         12
        .size:           1
        .value_kind:     by_value
      - .offset:         16
        .size:           4
        .value_kind:     by_value
      - .address_space:  global
        .offset:         24
        .size:           8
        .value_kind:     global_buffer
      - .offset:         32
        .size:           4
        .value_kind:     hidden_block_count_x
      - .offset:         36
        .size:           4
        .value_kind:     hidden_block_count_y
      - .offset:         40
        .size:           4
        .value_kind:     hidden_block_count_z
      - .offset:         44
        .size:           2
        .value_kind:     hidden_group_size_x
      - .offset:         46
        .size:           2
        .value_kind:     hidden_group_size_y
      - .offset:         48
        .size:           2
        .value_kind:     hidden_group_size_z
      - .offset:         50
        .size:           2
        .value_kind:     hidden_remainder_x
      - .offset:         52
        .size:           2
        .value_kind:     hidden_remainder_y
      - .offset:         54
        .size:           2
        .value_kind:     hidden_remainder_z
      - .offset:         72
        .size:           8
        .value_kind:     hidden_global_offset_x
      - .offset:         80
        .size:           8
        .value_kind:     hidden_global_offset_y
      - .offset:         88
        .size:           8
        .value_kind:     hidden_global_offset_z
      - .offset:         96
        .size:           2
        .value_kind:     hidden_grid_dims
    .group_segment_fixed_size: 0
    .kernarg_segment_align: 8
    .kernarg_segment_size: 288
    .language:       OpenCL C
    .language_version:
      - 2
      - 0
    .max_flat_workgroup_size: 256
    .name:           _ZN7rocprim17ROCPRIM_400000_NS6detail31init_lookback_scan_state_kernelINS1_19lookback_scan_stateIjLb0ELb1EEENS1_16block_id_wrapperIjLb0EEEEEvT_jT0_jPNS7_10value_typeE
    .private_segment_fixed_size: 0
    .sgpr_count:     13
    .sgpr_spill_count: 0
    .symbol:         _ZN7rocprim17ROCPRIM_400000_NS6detail31init_lookback_scan_state_kernelINS1_19lookback_scan_stateIjLb0ELb1EEENS1_16block_id_wrapperIjLb0EEEEEvT_jT0_jPNS7_10value_typeE.kd
    .uniform_work_group_size: 1
    .uses_dynamic_stack: false
    .vgpr_count:     5
    .vgpr_spill_count: 0
    .wavefront_size: 32
  - .args:
      - .offset:         0
        .size:           112
        .value_kind:     by_value
    .group_segment_fixed_size: 13320
    .kernarg_segment_align: 8
    .kernarg_segment_size: 112
    .language:       OpenCL C
    .language_version:
      - 2
      - 0
    .max_flat_workgroup_size: 256
    .name:           _ZN7rocprim17ROCPRIM_400000_NS6detail17trampoline_kernelINS0_14default_configENS1_25partition_config_selectorILNS1_17partition_subalgoE9EiibEEZZNS1_14partition_implILS5_9ELb0ES3_jPKiN6thrust23THRUST_200600_302600_NS17counting_iteratorIiNSB_11use_defaultESD_SD_EEPNS0_10empty_typeENS0_5tupleIJPiSF_EEENSH_IJSI_SG_EEENS0_18inequality_wrapperIN6hipcub16HIPCUB_304000_NS8EqualityEEEPlJSF_EEE10hipError_tPvRmT3_T4_T5_T6_T7_T9_mT8_P12ihipStream_tbDpT10_ENKUlT_T0_E_clISt17integral_constantIbLb0EES1A_EEDaS15_S16_EUlS15_E_NS1_11comp_targetILNS1_3genE0ELNS1_11target_archE4294967295ELNS1_3gpuE0ELNS1_3repE0EEENS1_30default_config_static_selectorELNS0_4arch9wavefront6targetE0EEEvT1_
    .private_segment_fixed_size: 0
    .sgpr_count:     34
    .sgpr_spill_count: 0
    .symbol:         _ZN7rocprim17ROCPRIM_400000_NS6detail17trampoline_kernelINS0_14default_configENS1_25partition_config_selectorILNS1_17partition_subalgoE9EiibEEZZNS1_14partition_implILS5_9ELb0ES3_jPKiN6thrust23THRUST_200600_302600_NS17counting_iteratorIiNSB_11use_defaultESD_SD_EEPNS0_10empty_typeENS0_5tupleIJPiSF_EEENSH_IJSI_SG_EEENS0_18inequality_wrapperIN6hipcub16HIPCUB_304000_NS8EqualityEEEPlJSF_EEE10hipError_tPvRmT3_T4_T5_T6_T7_T9_mT8_P12ihipStream_tbDpT10_ENKUlT_T0_E_clISt17integral_constantIbLb0EES1A_EEDaS15_S16_EUlS15_E_NS1_11comp_targetILNS1_3genE0ELNS1_11target_archE4294967295ELNS1_3gpuE0ELNS1_3repE0EEENS1_30default_config_static_selectorELNS0_4arch9wavefront6targetE0EEEvT1_.kd
    .uniform_work_group_size: 1
    .uses_dynamic_stack: false
    .vgpr_count:     98
    .vgpr_spill_count: 0
    .wavefront_size: 32
  - .args:
      - .offset:         0
        .size:           112
        .value_kind:     by_value
    .group_segment_fixed_size: 0
    .kernarg_segment_align: 8
    .kernarg_segment_size: 112
    .language:       OpenCL C
    .language_version:
      - 2
      - 0
    .max_flat_workgroup_size: 512
    .name:           _ZN7rocprim17ROCPRIM_400000_NS6detail17trampoline_kernelINS0_14default_configENS1_25partition_config_selectorILNS1_17partition_subalgoE9EiibEEZZNS1_14partition_implILS5_9ELb0ES3_jPKiN6thrust23THRUST_200600_302600_NS17counting_iteratorIiNSB_11use_defaultESD_SD_EEPNS0_10empty_typeENS0_5tupleIJPiSF_EEENSH_IJSI_SG_EEENS0_18inequality_wrapperIN6hipcub16HIPCUB_304000_NS8EqualityEEEPlJSF_EEE10hipError_tPvRmT3_T4_T5_T6_T7_T9_mT8_P12ihipStream_tbDpT10_ENKUlT_T0_E_clISt17integral_constantIbLb0EES1A_EEDaS15_S16_EUlS15_E_NS1_11comp_targetILNS1_3genE5ELNS1_11target_archE942ELNS1_3gpuE9ELNS1_3repE0EEENS1_30default_config_static_selectorELNS0_4arch9wavefront6targetE0EEEvT1_
    .private_segment_fixed_size: 0
    .sgpr_count:     0
    .sgpr_spill_count: 0
    .symbol:         _ZN7rocprim17ROCPRIM_400000_NS6detail17trampoline_kernelINS0_14default_configENS1_25partition_config_selectorILNS1_17partition_subalgoE9EiibEEZZNS1_14partition_implILS5_9ELb0ES3_jPKiN6thrust23THRUST_200600_302600_NS17counting_iteratorIiNSB_11use_defaultESD_SD_EEPNS0_10empty_typeENS0_5tupleIJPiSF_EEENSH_IJSI_SG_EEENS0_18inequality_wrapperIN6hipcub16HIPCUB_304000_NS8EqualityEEEPlJSF_EEE10hipError_tPvRmT3_T4_T5_T6_T7_T9_mT8_P12ihipStream_tbDpT10_ENKUlT_T0_E_clISt17integral_constantIbLb0EES1A_EEDaS15_S16_EUlS15_E_NS1_11comp_targetILNS1_3genE5ELNS1_11target_archE942ELNS1_3gpuE9ELNS1_3repE0EEENS1_30default_config_static_selectorELNS0_4arch9wavefront6targetE0EEEvT1_.kd
    .uniform_work_group_size: 1
    .uses_dynamic_stack: false
    .vgpr_count:     0
    .vgpr_spill_count: 0
    .wavefront_size: 32
  - .args:
      - .offset:         0
        .size:           112
        .value_kind:     by_value
    .group_segment_fixed_size: 0
    .kernarg_segment_align: 8
    .kernarg_segment_size: 112
    .language:       OpenCL C
    .language_version:
      - 2
      - 0
    .max_flat_workgroup_size: 192
    .name:           _ZN7rocprim17ROCPRIM_400000_NS6detail17trampoline_kernelINS0_14default_configENS1_25partition_config_selectorILNS1_17partition_subalgoE9EiibEEZZNS1_14partition_implILS5_9ELb0ES3_jPKiN6thrust23THRUST_200600_302600_NS17counting_iteratorIiNSB_11use_defaultESD_SD_EEPNS0_10empty_typeENS0_5tupleIJPiSF_EEENSH_IJSI_SG_EEENS0_18inequality_wrapperIN6hipcub16HIPCUB_304000_NS8EqualityEEEPlJSF_EEE10hipError_tPvRmT3_T4_T5_T6_T7_T9_mT8_P12ihipStream_tbDpT10_ENKUlT_T0_E_clISt17integral_constantIbLb0EES1A_EEDaS15_S16_EUlS15_E_NS1_11comp_targetILNS1_3genE4ELNS1_11target_archE910ELNS1_3gpuE8ELNS1_3repE0EEENS1_30default_config_static_selectorELNS0_4arch9wavefront6targetE0EEEvT1_
    .private_segment_fixed_size: 0
    .sgpr_count:     0
    .sgpr_spill_count: 0
    .symbol:         _ZN7rocprim17ROCPRIM_400000_NS6detail17trampoline_kernelINS0_14default_configENS1_25partition_config_selectorILNS1_17partition_subalgoE9EiibEEZZNS1_14partition_implILS5_9ELb0ES3_jPKiN6thrust23THRUST_200600_302600_NS17counting_iteratorIiNSB_11use_defaultESD_SD_EEPNS0_10empty_typeENS0_5tupleIJPiSF_EEENSH_IJSI_SG_EEENS0_18inequality_wrapperIN6hipcub16HIPCUB_304000_NS8EqualityEEEPlJSF_EEE10hipError_tPvRmT3_T4_T5_T6_T7_T9_mT8_P12ihipStream_tbDpT10_ENKUlT_T0_E_clISt17integral_constantIbLb0EES1A_EEDaS15_S16_EUlS15_E_NS1_11comp_targetILNS1_3genE4ELNS1_11target_archE910ELNS1_3gpuE8ELNS1_3repE0EEENS1_30default_config_static_selectorELNS0_4arch9wavefront6targetE0EEEvT1_.kd
    .uniform_work_group_size: 1
    .uses_dynamic_stack: false
    .vgpr_count:     0
    .vgpr_spill_count: 0
    .wavefront_size: 32
  - .args:
      - .offset:         0
        .size:           112
        .value_kind:     by_value
    .group_segment_fixed_size: 0
    .kernarg_segment_align: 8
    .kernarg_segment_size: 112
    .language:       OpenCL C
    .language_version:
      - 2
      - 0
    .max_flat_workgroup_size: 256
    .name:           _ZN7rocprim17ROCPRIM_400000_NS6detail17trampoline_kernelINS0_14default_configENS1_25partition_config_selectorILNS1_17partition_subalgoE9EiibEEZZNS1_14partition_implILS5_9ELb0ES3_jPKiN6thrust23THRUST_200600_302600_NS17counting_iteratorIiNSB_11use_defaultESD_SD_EEPNS0_10empty_typeENS0_5tupleIJPiSF_EEENSH_IJSI_SG_EEENS0_18inequality_wrapperIN6hipcub16HIPCUB_304000_NS8EqualityEEEPlJSF_EEE10hipError_tPvRmT3_T4_T5_T6_T7_T9_mT8_P12ihipStream_tbDpT10_ENKUlT_T0_E_clISt17integral_constantIbLb0EES1A_EEDaS15_S16_EUlS15_E_NS1_11comp_targetILNS1_3genE3ELNS1_11target_archE908ELNS1_3gpuE7ELNS1_3repE0EEENS1_30default_config_static_selectorELNS0_4arch9wavefront6targetE0EEEvT1_
    .private_segment_fixed_size: 0
    .sgpr_count:     0
    .sgpr_spill_count: 0
    .symbol:         _ZN7rocprim17ROCPRIM_400000_NS6detail17trampoline_kernelINS0_14default_configENS1_25partition_config_selectorILNS1_17partition_subalgoE9EiibEEZZNS1_14partition_implILS5_9ELb0ES3_jPKiN6thrust23THRUST_200600_302600_NS17counting_iteratorIiNSB_11use_defaultESD_SD_EEPNS0_10empty_typeENS0_5tupleIJPiSF_EEENSH_IJSI_SG_EEENS0_18inequality_wrapperIN6hipcub16HIPCUB_304000_NS8EqualityEEEPlJSF_EEE10hipError_tPvRmT3_T4_T5_T6_T7_T9_mT8_P12ihipStream_tbDpT10_ENKUlT_T0_E_clISt17integral_constantIbLb0EES1A_EEDaS15_S16_EUlS15_E_NS1_11comp_targetILNS1_3genE3ELNS1_11target_archE908ELNS1_3gpuE7ELNS1_3repE0EEENS1_30default_config_static_selectorELNS0_4arch9wavefront6targetE0EEEvT1_.kd
    .uniform_work_group_size: 1
    .uses_dynamic_stack: false
    .vgpr_count:     0
    .vgpr_spill_count: 0
    .wavefront_size: 32
  - .args:
      - .offset:         0
        .size:           112
        .value_kind:     by_value
    .group_segment_fixed_size: 0
    .kernarg_segment_align: 8
    .kernarg_segment_size: 112
    .language:       OpenCL C
    .language_version:
      - 2
      - 0
    .max_flat_workgroup_size: 256
    .name:           _ZN7rocprim17ROCPRIM_400000_NS6detail17trampoline_kernelINS0_14default_configENS1_25partition_config_selectorILNS1_17partition_subalgoE9EiibEEZZNS1_14partition_implILS5_9ELb0ES3_jPKiN6thrust23THRUST_200600_302600_NS17counting_iteratorIiNSB_11use_defaultESD_SD_EEPNS0_10empty_typeENS0_5tupleIJPiSF_EEENSH_IJSI_SG_EEENS0_18inequality_wrapperIN6hipcub16HIPCUB_304000_NS8EqualityEEEPlJSF_EEE10hipError_tPvRmT3_T4_T5_T6_T7_T9_mT8_P12ihipStream_tbDpT10_ENKUlT_T0_E_clISt17integral_constantIbLb0EES1A_EEDaS15_S16_EUlS15_E_NS1_11comp_targetILNS1_3genE2ELNS1_11target_archE906ELNS1_3gpuE6ELNS1_3repE0EEENS1_30default_config_static_selectorELNS0_4arch9wavefront6targetE0EEEvT1_
    .private_segment_fixed_size: 0
    .sgpr_count:     0
    .sgpr_spill_count: 0
    .symbol:         _ZN7rocprim17ROCPRIM_400000_NS6detail17trampoline_kernelINS0_14default_configENS1_25partition_config_selectorILNS1_17partition_subalgoE9EiibEEZZNS1_14partition_implILS5_9ELb0ES3_jPKiN6thrust23THRUST_200600_302600_NS17counting_iteratorIiNSB_11use_defaultESD_SD_EEPNS0_10empty_typeENS0_5tupleIJPiSF_EEENSH_IJSI_SG_EEENS0_18inequality_wrapperIN6hipcub16HIPCUB_304000_NS8EqualityEEEPlJSF_EEE10hipError_tPvRmT3_T4_T5_T6_T7_T9_mT8_P12ihipStream_tbDpT10_ENKUlT_T0_E_clISt17integral_constantIbLb0EES1A_EEDaS15_S16_EUlS15_E_NS1_11comp_targetILNS1_3genE2ELNS1_11target_archE906ELNS1_3gpuE6ELNS1_3repE0EEENS1_30default_config_static_selectorELNS0_4arch9wavefront6targetE0EEEvT1_.kd
    .uniform_work_group_size: 1
    .uses_dynamic_stack: false
    .vgpr_count:     0
    .vgpr_spill_count: 0
    .wavefront_size: 32
  - .args:
      - .offset:         0
        .size:           112
        .value_kind:     by_value
    .group_segment_fixed_size: 0
    .kernarg_segment_align: 8
    .kernarg_segment_size: 112
    .language:       OpenCL C
    .language_version:
      - 2
      - 0
    .max_flat_workgroup_size: 384
    .name:           _ZN7rocprim17ROCPRIM_400000_NS6detail17trampoline_kernelINS0_14default_configENS1_25partition_config_selectorILNS1_17partition_subalgoE9EiibEEZZNS1_14partition_implILS5_9ELb0ES3_jPKiN6thrust23THRUST_200600_302600_NS17counting_iteratorIiNSB_11use_defaultESD_SD_EEPNS0_10empty_typeENS0_5tupleIJPiSF_EEENSH_IJSI_SG_EEENS0_18inequality_wrapperIN6hipcub16HIPCUB_304000_NS8EqualityEEEPlJSF_EEE10hipError_tPvRmT3_T4_T5_T6_T7_T9_mT8_P12ihipStream_tbDpT10_ENKUlT_T0_E_clISt17integral_constantIbLb0EES1A_EEDaS15_S16_EUlS15_E_NS1_11comp_targetILNS1_3genE10ELNS1_11target_archE1200ELNS1_3gpuE4ELNS1_3repE0EEENS1_30default_config_static_selectorELNS0_4arch9wavefront6targetE0EEEvT1_
    .private_segment_fixed_size: 0
    .sgpr_count:     0
    .sgpr_spill_count: 0
    .symbol:         _ZN7rocprim17ROCPRIM_400000_NS6detail17trampoline_kernelINS0_14default_configENS1_25partition_config_selectorILNS1_17partition_subalgoE9EiibEEZZNS1_14partition_implILS5_9ELb0ES3_jPKiN6thrust23THRUST_200600_302600_NS17counting_iteratorIiNSB_11use_defaultESD_SD_EEPNS0_10empty_typeENS0_5tupleIJPiSF_EEENSH_IJSI_SG_EEENS0_18inequality_wrapperIN6hipcub16HIPCUB_304000_NS8EqualityEEEPlJSF_EEE10hipError_tPvRmT3_T4_T5_T6_T7_T9_mT8_P12ihipStream_tbDpT10_ENKUlT_T0_E_clISt17integral_constantIbLb0EES1A_EEDaS15_S16_EUlS15_E_NS1_11comp_targetILNS1_3genE10ELNS1_11target_archE1200ELNS1_3gpuE4ELNS1_3repE0EEENS1_30default_config_static_selectorELNS0_4arch9wavefront6targetE0EEEvT1_.kd
    .uniform_work_group_size: 1
    .uses_dynamic_stack: false
    .vgpr_count:     0
    .vgpr_spill_count: 0
    .wavefront_size: 32
  - .args:
      - .offset:         0
        .size:           112
        .value_kind:     by_value
    .group_segment_fixed_size: 0
    .kernarg_segment_align: 8
    .kernarg_segment_size: 112
    .language:       OpenCL C
    .language_version:
      - 2
      - 0
    .max_flat_workgroup_size: 384
    .name:           _ZN7rocprim17ROCPRIM_400000_NS6detail17trampoline_kernelINS0_14default_configENS1_25partition_config_selectorILNS1_17partition_subalgoE9EiibEEZZNS1_14partition_implILS5_9ELb0ES3_jPKiN6thrust23THRUST_200600_302600_NS17counting_iteratorIiNSB_11use_defaultESD_SD_EEPNS0_10empty_typeENS0_5tupleIJPiSF_EEENSH_IJSI_SG_EEENS0_18inequality_wrapperIN6hipcub16HIPCUB_304000_NS8EqualityEEEPlJSF_EEE10hipError_tPvRmT3_T4_T5_T6_T7_T9_mT8_P12ihipStream_tbDpT10_ENKUlT_T0_E_clISt17integral_constantIbLb0EES1A_EEDaS15_S16_EUlS15_E_NS1_11comp_targetILNS1_3genE9ELNS1_11target_archE1100ELNS1_3gpuE3ELNS1_3repE0EEENS1_30default_config_static_selectorELNS0_4arch9wavefront6targetE0EEEvT1_
    .private_segment_fixed_size: 0
    .sgpr_count:     0
    .sgpr_spill_count: 0
    .symbol:         _ZN7rocprim17ROCPRIM_400000_NS6detail17trampoline_kernelINS0_14default_configENS1_25partition_config_selectorILNS1_17partition_subalgoE9EiibEEZZNS1_14partition_implILS5_9ELb0ES3_jPKiN6thrust23THRUST_200600_302600_NS17counting_iteratorIiNSB_11use_defaultESD_SD_EEPNS0_10empty_typeENS0_5tupleIJPiSF_EEENSH_IJSI_SG_EEENS0_18inequality_wrapperIN6hipcub16HIPCUB_304000_NS8EqualityEEEPlJSF_EEE10hipError_tPvRmT3_T4_T5_T6_T7_T9_mT8_P12ihipStream_tbDpT10_ENKUlT_T0_E_clISt17integral_constantIbLb0EES1A_EEDaS15_S16_EUlS15_E_NS1_11comp_targetILNS1_3genE9ELNS1_11target_archE1100ELNS1_3gpuE3ELNS1_3repE0EEENS1_30default_config_static_selectorELNS0_4arch9wavefront6targetE0EEEvT1_.kd
    .uniform_work_group_size: 1
    .uses_dynamic_stack: false
    .vgpr_count:     0
    .vgpr_spill_count: 0
    .wavefront_size: 32
  - .args:
      - .offset:         0
        .size:           112
        .value_kind:     by_value
    .group_segment_fixed_size: 0
    .kernarg_segment_align: 8
    .kernarg_segment_size: 112
    .language:       OpenCL C
    .language_version:
      - 2
      - 0
    .max_flat_workgroup_size: 512
    .name:           _ZN7rocprim17ROCPRIM_400000_NS6detail17trampoline_kernelINS0_14default_configENS1_25partition_config_selectorILNS1_17partition_subalgoE9EiibEEZZNS1_14partition_implILS5_9ELb0ES3_jPKiN6thrust23THRUST_200600_302600_NS17counting_iteratorIiNSB_11use_defaultESD_SD_EEPNS0_10empty_typeENS0_5tupleIJPiSF_EEENSH_IJSI_SG_EEENS0_18inequality_wrapperIN6hipcub16HIPCUB_304000_NS8EqualityEEEPlJSF_EEE10hipError_tPvRmT3_T4_T5_T6_T7_T9_mT8_P12ihipStream_tbDpT10_ENKUlT_T0_E_clISt17integral_constantIbLb0EES1A_EEDaS15_S16_EUlS15_E_NS1_11comp_targetILNS1_3genE8ELNS1_11target_archE1030ELNS1_3gpuE2ELNS1_3repE0EEENS1_30default_config_static_selectorELNS0_4arch9wavefront6targetE0EEEvT1_
    .private_segment_fixed_size: 0
    .sgpr_count:     0
    .sgpr_spill_count: 0
    .symbol:         _ZN7rocprim17ROCPRIM_400000_NS6detail17trampoline_kernelINS0_14default_configENS1_25partition_config_selectorILNS1_17partition_subalgoE9EiibEEZZNS1_14partition_implILS5_9ELb0ES3_jPKiN6thrust23THRUST_200600_302600_NS17counting_iteratorIiNSB_11use_defaultESD_SD_EEPNS0_10empty_typeENS0_5tupleIJPiSF_EEENSH_IJSI_SG_EEENS0_18inequality_wrapperIN6hipcub16HIPCUB_304000_NS8EqualityEEEPlJSF_EEE10hipError_tPvRmT3_T4_T5_T6_T7_T9_mT8_P12ihipStream_tbDpT10_ENKUlT_T0_E_clISt17integral_constantIbLb0EES1A_EEDaS15_S16_EUlS15_E_NS1_11comp_targetILNS1_3genE8ELNS1_11target_archE1030ELNS1_3gpuE2ELNS1_3repE0EEENS1_30default_config_static_selectorELNS0_4arch9wavefront6targetE0EEEvT1_.kd
    .uniform_work_group_size: 1
    .uses_dynamic_stack: false
    .vgpr_count:     0
    .vgpr_spill_count: 0
    .wavefront_size: 32
  - .args:
      - .offset:         0
        .size:           40
        .value_kind:     by_value
      - .offset:         40
        .size:           4
        .value_kind:     hidden_block_count_x
      - .offset:         44
        .size:           4
        .value_kind:     hidden_block_count_y
      - .offset:         48
        .size:           4
        .value_kind:     hidden_block_count_z
      - .offset:         52
        .size:           2
        .value_kind:     hidden_group_size_x
      - .offset:         54
        .size:           2
        .value_kind:     hidden_group_size_y
      - .offset:         56
        .size:           2
        .value_kind:     hidden_group_size_z
      - .offset:         58
        .size:           2
        .value_kind:     hidden_remainder_x
      - .offset:         60
        .size:           2
        .value_kind:     hidden_remainder_y
      - .offset:         62
        .size:           2
        .value_kind:     hidden_remainder_z
      - .offset:         80
        .size:           8
        .value_kind:     hidden_global_offset_x
      - .offset:         88
        .size:           8
        .value_kind:     hidden_global_offset_y
      - .offset:         96
        .size:           8
        .value_kind:     hidden_global_offset_z
      - .offset:         104
        .size:           2
        .value_kind:     hidden_grid_dims
    .group_segment_fixed_size: 0
    .kernarg_segment_align: 8
    .kernarg_segment_size: 296
    .language:       OpenCL C
    .language_version:
      - 2
      - 0
    .max_flat_workgroup_size: 128
    .name:           _ZN7rocprim17ROCPRIM_400000_NS6detail17trampoline_kernelINS0_14default_configENS1_25transform_config_selectorImLb1EEEZNS1_14transform_implILb1ES3_S5_PmPlNS0_8identityIvEEEE10hipError_tT2_T3_mT4_P12ihipStream_tbEUlT_E_NS1_11comp_targetILNS1_3genE0ELNS1_11target_archE4294967295ELNS1_3gpuE0ELNS1_3repE0EEENS1_30default_config_static_selectorELNS0_4arch9wavefront6targetE0EEEvT1_
    .private_segment_fixed_size: 0
    .sgpr_count:     12
    .sgpr_spill_count: 0
    .symbol:         _ZN7rocprim17ROCPRIM_400000_NS6detail17trampoline_kernelINS0_14default_configENS1_25transform_config_selectorImLb1EEEZNS1_14transform_implILb1ES3_S5_PmPlNS0_8identityIvEEEE10hipError_tT2_T3_mT4_P12ihipStream_tbEUlT_E_NS1_11comp_targetILNS1_3genE0ELNS1_11target_archE4294967295ELNS1_3gpuE0ELNS1_3repE0EEENS1_30default_config_static_selectorELNS0_4arch9wavefront6targetE0EEEvT1_.kd
    .uniform_work_group_size: 1
    .uses_dynamic_stack: false
    .vgpr_count:     4
    .vgpr_spill_count: 0
    .wavefront_size: 32
  - .args:
      - .offset:         0
        .size:           40
        .value_kind:     by_value
    .group_segment_fixed_size: 0
    .kernarg_segment_align: 8
    .kernarg_segment_size: 40
    .language:       OpenCL C
    .language_version:
      - 2
      - 0
    .max_flat_workgroup_size: 1024
    .name:           _ZN7rocprim17ROCPRIM_400000_NS6detail17trampoline_kernelINS0_14default_configENS1_25transform_config_selectorImLb1EEEZNS1_14transform_implILb1ES3_S5_PmPlNS0_8identityIvEEEE10hipError_tT2_T3_mT4_P12ihipStream_tbEUlT_E_NS1_11comp_targetILNS1_3genE10ELNS1_11target_archE1201ELNS1_3gpuE5ELNS1_3repE0EEENS1_30default_config_static_selectorELNS0_4arch9wavefront6targetE0EEEvT1_
    .private_segment_fixed_size: 0
    .sgpr_count:     0
    .sgpr_spill_count: 0
    .symbol:         _ZN7rocprim17ROCPRIM_400000_NS6detail17trampoline_kernelINS0_14default_configENS1_25transform_config_selectorImLb1EEEZNS1_14transform_implILb1ES3_S5_PmPlNS0_8identityIvEEEE10hipError_tT2_T3_mT4_P12ihipStream_tbEUlT_E_NS1_11comp_targetILNS1_3genE10ELNS1_11target_archE1201ELNS1_3gpuE5ELNS1_3repE0EEENS1_30default_config_static_selectorELNS0_4arch9wavefront6targetE0EEEvT1_.kd
    .uniform_work_group_size: 1
    .uses_dynamic_stack: false
    .vgpr_count:     0
    .vgpr_spill_count: 0
    .wavefront_size: 32
  - .args:
      - .offset:         0
        .size:           40
        .value_kind:     by_value
    .group_segment_fixed_size: 0
    .kernarg_segment_align: 8
    .kernarg_segment_size: 40
    .language:       OpenCL C
    .language_version:
      - 2
      - 0
    .max_flat_workgroup_size: 512
    .name:           _ZN7rocprim17ROCPRIM_400000_NS6detail17trampoline_kernelINS0_14default_configENS1_25transform_config_selectorImLb1EEEZNS1_14transform_implILb1ES3_S5_PmPlNS0_8identityIvEEEE10hipError_tT2_T3_mT4_P12ihipStream_tbEUlT_E_NS1_11comp_targetILNS1_3genE5ELNS1_11target_archE942ELNS1_3gpuE9ELNS1_3repE0EEENS1_30default_config_static_selectorELNS0_4arch9wavefront6targetE0EEEvT1_
    .private_segment_fixed_size: 0
    .sgpr_count:     0
    .sgpr_spill_count: 0
    .symbol:         _ZN7rocprim17ROCPRIM_400000_NS6detail17trampoline_kernelINS0_14default_configENS1_25transform_config_selectorImLb1EEEZNS1_14transform_implILb1ES3_S5_PmPlNS0_8identityIvEEEE10hipError_tT2_T3_mT4_P12ihipStream_tbEUlT_E_NS1_11comp_targetILNS1_3genE5ELNS1_11target_archE942ELNS1_3gpuE9ELNS1_3repE0EEENS1_30default_config_static_selectorELNS0_4arch9wavefront6targetE0EEEvT1_.kd
    .uniform_work_group_size: 1
    .uses_dynamic_stack: false
    .vgpr_count:     0
    .vgpr_spill_count: 0
    .wavefront_size: 32
  - .args:
      - .offset:         0
        .size:           40
        .value_kind:     by_value
    .group_segment_fixed_size: 0
    .kernarg_segment_align: 8
    .kernarg_segment_size: 40
    .language:       OpenCL C
    .language_version:
      - 2
      - 0
    .max_flat_workgroup_size: 1024
    .name:           _ZN7rocprim17ROCPRIM_400000_NS6detail17trampoline_kernelINS0_14default_configENS1_25transform_config_selectorImLb1EEEZNS1_14transform_implILb1ES3_S5_PmPlNS0_8identityIvEEEE10hipError_tT2_T3_mT4_P12ihipStream_tbEUlT_E_NS1_11comp_targetILNS1_3genE4ELNS1_11target_archE910ELNS1_3gpuE8ELNS1_3repE0EEENS1_30default_config_static_selectorELNS0_4arch9wavefront6targetE0EEEvT1_
    .private_segment_fixed_size: 0
    .sgpr_count:     0
    .sgpr_spill_count: 0
    .symbol:         _ZN7rocprim17ROCPRIM_400000_NS6detail17trampoline_kernelINS0_14default_configENS1_25transform_config_selectorImLb1EEEZNS1_14transform_implILb1ES3_S5_PmPlNS0_8identityIvEEEE10hipError_tT2_T3_mT4_P12ihipStream_tbEUlT_E_NS1_11comp_targetILNS1_3genE4ELNS1_11target_archE910ELNS1_3gpuE8ELNS1_3repE0EEENS1_30default_config_static_selectorELNS0_4arch9wavefront6targetE0EEEvT1_.kd
    .uniform_work_group_size: 1
    .uses_dynamic_stack: false
    .vgpr_count:     0
    .vgpr_spill_count: 0
    .wavefront_size: 32
  - .args:
      - .offset:         0
        .size:           40
        .value_kind:     by_value
    .group_segment_fixed_size: 0
    .kernarg_segment_align: 8
    .kernarg_segment_size: 40
    .language:       OpenCL C
    .language_version:
      - 2
      - 0
    .max_flat_workgroup_size: 128
    .name:           _ZN7rocprim17ROCPRIM_400000_NS6detail17trampoline_kernelINS0_14default_configENS1_25transform_config_selectorImLb1EEEZNS1_14transform_implILb1ES3_S5_PmPlNS0_8identityIvEEEE10hipError_tT2_T3_mT4_P12ihipStream_tbEUlT_E_NS1_11comp_targetILNS1_3genE3ELNS1_11target_archE908ELNS1_3gpuE7ELNS1_3repE0EEENS1_30default_config_static_selectorELNS0_4arch9wavefront6targetE0EEEvT1_
    .private_segment_fixed_size: 0
    .sgpr_count:     0
    .sgpr_spill_count: 0
    .symbol:         _ZN7rocprim17ROCPRIM_400000_NS6detail17trampoline_kernelINS0_14default_configENS1_25transform_config_selectorImLb1EEEZNS1_14transform_implILb1ES3_S5_PmPlNS0_8identityIvEEEE10hipError_tT2_T3_mT4_P12ihipStream_tbEUlT_E_NS1_11comp_targetILNS1_3genE3ELNS1_11target_archE908ELNS1_3gpuE7ELNS1_3repE0EEENS1_30default_config_static_selectorELNS0_4arch9wavefront6targetE0EEEvT1_.kd
    .uniform_work_group_size: 1
    .uses_dynamic_stack: false
    .vgpr_count:     0
    .vgpr_spill_count: 0
    .wavefront_size: 32
  - .args:
      - .offset:         0
        .size:           40
        .value_kind:     by_value
    .group_segment_fixed_size: 0
    .kernarg_segment_align: 8
    .kernarg_segment_size: 40
    .language:       OpenCL C
    .language_version:
      - 2
      - 0
    .max_flat_workgroup_size: 512
    .name:           _ZN7rocprim17ROCPRIM_400000_NS6detail17trampoline_kernelINS0_14default_configENS1_25transform_config_selectorImLb1EEEZNS1_14transform_implILb1ES3_S5_PmPlNS0_8identityIvEEEE10hipError_tT2_T3_mT4_P12ihipStream_tbEUlT_E_NS1_11comp_targetILNS1_3genE2ELNS1_11target_archE906ELNS1_3gpuE6ELNS1_3repE0EEENS1_30default_config_static_selectorELNS0_4arch9wavefront6targetE0EEEvT1_
    .private_segment_fixed_size: 0
    .sgpr_count:     0
    .sgpr_spill_count: 0
    .symbol:         _ZN7rocprim17ROCPRIM_400000_NS6detail17trampoline_kernelINS0_14default_configENS1_25transform_config_selectorImLb1EEEZNS1_14transform_implILb1ES3_S5_PmPlNS0_8identityIvEEEE10hipError_tT2_T3_mT4_P12ihipStream_tbEUlT_E_NS1_11comp_targetILNS1_3genE2ELNS1_11target_archE906ELNS1_3gpuE6ELNS1_3repE0EEENS1_30default_config_static_selectorELNS0_4arch9wavefront6targetE0EEEvT1_.kd
    .uniform_work_group_size: 1
    .uses_dynamic_stack: false
    .vgpr_count:     0
    .vgpr_spill_count: 0
    .wavefront_size: 32
  - .args:
      - .offset:         0
        .size:           40
        .value_kind:     by_value
    .group_segment_fixed_size: 0
    .kernarg_segment_align: 8
    .kernarg_segment_size: 40
    .language:       OpenCL C
    .language_version:
      - 2
      - 0
    .max_flat_workgroup_size: 1024
    .name:           _ZN7rocprim17ROCPRIM_400000_NS6detail17trampoline_kernelINS0_14default_configENS1_25transform_config_selectorImLb1EEEZNS1_14transform_implILb1ES3_S5_PmPlNS0_8identityIvEEEE10hipError_tT2_T3_mT4_P12ihipStream_tbEUlT_E_NS1_11comp_targetILNS1_3genE9ELNS1_11target_archE1100ELNS1_3gpuE3ELNS1_3repE0EEENS1_30default_config_static_selectorELNS0_4arch9wavefront6targetE0EEEvT1_
    .private_segment_fixed_size: 0
    .sgpr_count:     0
    .sgpr_spill_count: 0
    .symbol:         _ZN7rocprim17ROCPRIM_400000_NS6detail17trampoline_kernelINS0_14default_configENS1_25transform_config_selectorImLb1EEEZNS1_14transform_implILb1ES3_S5_PmPlNS0_8identityIvEEEE10hipError_tT2_T3_mT4_P12ihipStream_tbEUlT_E_NS1_11comp_targetILNS1_3genE9ELNS1_11target_archE1100ELNS1_3gpuE3ELNS1_3repE0EEENS1_30default_config_static_selectorELNS0_4arch9wavefront6targetE0EEEvT1_.kd
    .uniform_work_group_size: 1
    .uses_dynamic_stack: false
    .vgpr_count:     0
    .vgpr_spill_count: 0
    .wavefront_size: 32
  - .args:
      - .offset:         0
        .size:           40
        .value_kind:     by_value
    .group_segment_fixed_size: 0
    .kernarg_segment_align: 8
    .kernarg_segment_size: 40
    .language:       OpenCL C
    .language_version:
      - 2
      - 0
    .max_flat_workgroup_size: 1024
    .name:           _ZN7rocprim17ROCPRIM_400000_NS6detail17trampoline_kernelINS0_14default_configENS1_25transform_config_selectorImLb1EEEZNS1_14transform_implILb1ES3_S5_PmPlNS0_8identityIvEEEE10hipError_tT2_T3_mT4_P12ihipStream_tbEUlT_E_NS1_11comp_targetILNS1_3genE8ELNS1_11target_archE1030ELNS1_3gpuE2ELNS1_3repE0EEENS1_30default_config_static_selectorELNS0_4arch9wavefront6targetE0EEEvT1_
    .private_segment_fixed_size: 0
    .sgpr_count:     0
    .sgpr_spill_count: 0
    .symbol:         _ZN7rocprim17ROCPRIM_400000_NS6detail17trampoline_kernelINS0_14default_configENS1_25transform_config_selectorImLb1EEEZNS1_14transform_implILb1ES3_S5_PmPlNS0_8identityIvEEEE10hipError_tT2_T3_mT4_P12ihipStream_tbEUlT_E_NS1_11comp_targetILNS1_3genE8ELNS1_11target_archE1030ELNS1_3gpuE2ELNS1_3repE0EEENS1_30default_config_static_selectorELNS0_4arch9wavefront6targetE0EEEvT1_.kd
    .uniform_work_group_size: 1
    .uses_dynamic_stack: false
    .vgpr_count:     0
    .vgpr_spill_count: 0
    .wavefront_size: 32
  - .args:
      - .address_space:  global
        .offset:         0
        .size:           8
        .value_kind:     global_buffer
      - .offset:         8
        .size:           4
        .value_kind:     by_value
      - .address_space:  global
        .offset:         16
        .size:           8
        .value_kind:     global_buffer
      - .offset:         24
        .size:           4
        .value_kind:     by_value
      - .address_space:  global
        .offset:         32
        .size:           8
        .value_kind:     global_buffer
      - .offset:         40
        .size:           4
        .value_kind:     hidden_block_count_x
      - .offset:         44
        .size:           4
        .value_kind:     hidden_block_count_y
      - .offset:         48
        .size:           4
        .value_kind:     hidden_block_count_z
      - .offset:         52
        .size:           2
        .value_kind:     hidden_group_size_x
      - .offset:         54
        .size:           2
        .value_kind:     hidden_group_size_y
      - .offset:         56
        .size:           2
        .value_kind:     hidden_group_size_z
      - .offset:         58
        .size:           2
        .value_kind:     hidden_remainder_x
      - .offset:         60
        .size:           2
        .value_kind:     hidden_remainder_y
      - .offset:         62
        .size:           2
        .value_kind:     hidden_remainder_z
      - .offset:         80
        .size:           8
        .value_kind:     hidden_global_offset_x
      - .offset:         88
        .size:           8
        .value_kind:     hidden_global_offset_y
      - .offset:         96
        .size:           8
        .value_kind:     hidden_global_offset_z
      - .offset:         104
        .size:           2
        .value_kind:     hidden_grid_dims
    .group_segment_fixed_size: 0
    .kernarg_segment_align: 8
    .kernarg_segment_size: 296
    .language:       OpenCL C
    .language_version:
      - 2
      - 0
    .max_flat_workgroup_size: 256
    .name:           _ZN7rocprim17ROCPRIM_400000_NS6detail31init_lookback_scan_state_kernelINS1_19lookback_scan_stateIjLb1ELb1EEENS1_16block_id_wrapperIjLb1EEEEEvT_jT0_jPNS7_10value_typeE
    .private_segment_fixed_size: 0
    .sgpr_count:     14
    .sgpr_spill_count: 0
    .symbol:         _ZN7rocprim17ROCPRIM_400000_NS6detail31init_lookback_scan_state_kernelINS1_19lookback_scan_stateIjLb1ELb1EEENS1_16block_id_wrapperIjLb1EEEEEvT_jT0_jPNS7_10value_typeE.kd
    .uniform_work_group_size: 1
    .uses_dynamic_stack: false
    .vgpr_count:     5
    .vgpr_spill_count: 0
    .wavefront_size: 32
  - .args:
      - .offset:         0
        .size:           128
        .value_kind:     by_value
    .group_segment_fixed_size: 0
    .kernarg_segment_align: 8
    .kernarg_segment_size: 128
    .language:       OpenCL C
    .language_version:
      - 2
      - 0
    .max_flat_workgroup_size: 256
    .name:           _ZN7rocprim17ROCPRIM_400000_NS6detail17trampoline_kernelINS0_14default_configENS1_25partition_config_selectorILNS1_17partition_subalgoE9EiibEEZZNS1_14partition_implILS5_9ELb0ES3_jPKiN6thrust23THRUST_200600_302600_NS17counting_iteratorIiNSB_11use_defaultESD_SD_EEPNS0_10empty_typeENS0_5tupleIJPiSF_EEENSH_IJSI_SG_EEENS0_18inequality_wrapperIN6hipcub16HIPCUB_304000_NS8EqualityEEEPlJSF_EEE10hipError_tPvRmT3_T4_T5_T6_T7_T9_mT8_P12ihipStream_tbDpT10_ENKUlT_T0_E_clISt17integral_constantIbLb1EES1A_EEDaS15_S16_EUlS15_E_NS1_11comp_targetILNS1_3genE0ELNS1_11target_archE4294967295ELNS1_3gpuE0ELNS1_3repE0EEENS1_30default_config_static_selectorELNS0_4arch9wavefront6targetE0EEEvT1_
    .private_segment_fixed_size: 0
    .sgpr_count:     0
    .sgpr_spill_count: 0
    .symbol:         _ZN7rocprim17ROCPRIM_400000_NS6detail17trampoline_kernelINS0_14default_configENS1_25partition_config_selectorILNS1_17partition_subalgoE9EiibEEZZNS1_14partition_implILS5_9ELb0ES3_jPKiN6thrust23THRUST_200600_302600_NS17counting_iteratorIiNSB_11use_defaultESD_SD_EEPNS0_10empty_typeENS0_5tupleIJPiSF_EEENSH_IJSI_SG_EEENS0_18inequality_wrapperIN6hipcub16HIPCUB_304000_NS8EqualityEEEPlJSF_EEE10hipError_tPvRmT3_T4_T5_T6_T7_T9_mT8_P12ihipStream_tbDpT10_ENKUlT_T0_E_clISt17integral_constantIbLb1EES1A_EEDaS15_S16_EUlS15_E_NS1_11comp_targetILNS1_3genE0ELNS1_11target_archE4294967295ELNS1_3gpuE0ELNS1_3repE0EEENS1_30default_config_static_selectorELNS0_4arch9wavefront6targetE0EEEvT1_.kd
    .uniform_work_group_size: 1
    .uses_dynamic_stack: false
    .vgpr_count:     0
    .vgpr_spill_count: 0
    .wavefront_size: 32
  - .args:
      - .offset:         0
        .size:           128
        .value_kind:     by_value
    .group_segment_fixed_size: 0
    .kernarg_segment_align: 8
    .kernarg_segment_size: 128
    .language:       OpenCL C
    .language_version:
      - 2
      - 0
    .max_flat_workgroup_size: 512
    .name:           _ZN7rocprim17ROCPRIM_400000_NS6detail17trampoline_kernelINS0_14default_configENS1_25partition_config_selectorILNS1_17partition_subalgoE9EiibEEZZNS1_14partition_implILS5_9ELb0ES3_jPKiN6thrust23THRUST_200600_302600_NS17counting_iteratorIiNSB_11use_defaultESD_SD_EEPNS0_10empty_typeENS0_5tupleIJPiSF_EEENSH_IJSI_SG_EEENS0_18inequality_wrapperIN6hipcub16HIPCUB_304000_NS8EqualityEEEPlJSF_EEE10hipError_tPvRmT3_T4_T5_T6_T7_T9_mT8_P12ihipStream_tbDpT10_ENKUlT_T0_E_clISt17integral_constantIbLb1EES1A_EEDaS15_S16_EUlS15_E_NS1_11comp_targetILNS1_3genE5ELNS1_11target_archE942ELNS1_3gpuE9ELNS1_3repE0EEENS1_30default_config_static_selectorELNS0_4arch9wavefront6targetE0EEEvT1_
    .private_segment_fixed_size: 0
    .sgpr_count:     0
    .sgpr_spill_count: 0
    .symbol:         _ZN7rocprim17ROCPRIM_400000_NS6detail17trampoline_kernelINS0_14default_configENS1_25partition_config_selectorILNS1_17partition_subalgoE9EiibEEZZNS1_14partition_implILS5_9ELb0ES3_jPKiN6thrust23THRUST_200600_302600_NS17counting_iteratorIiNSB_11use_defaultESD_SD_EEPNS0_10empty_typeENS0_5tupleIJPiSF_EEENSH_IJSI_SG_EEENS0_18inequality_wrapperIN6hipcub16HIPCUB_304000_NS8EqualityEEEPlJSF_EEE10hipError_tPvRmT3_T4_T5_T6_T7_T9_mT8_P12ihipStream_tbDpT10_ENKUlT_T0_E_clISt17integral_constantIbLb1EES1A_EEDaS15_S16_EUlS15_E_NS1_11comp_targetILNS1_3genE5ELNS1_11target_archE942ELNS1_3gpuE9ELNS1_3repE0EEENS1_30default_config_static_selectorELNS0_4arch9wavefront6targetE0EEEvT1_.kd
    .uniform_work_group_size: 1
    .uses_dynamic_stack: false
    .vgpr_count:     0
    .vgpr_spill_count: 0
    .wavefront_size: 32
  - .args:
      - .offset:         0
        .size:           128
        .value_kind:     by_value
    .group_segment_fixed_size: 0
    .kernarg_segment_align: 8
    .kernarg_segment_size: 128
    .language:       OpenCL C
    .language_version:
      - 2
      - 0
    .max_flat_workgroup_size: 192
    .name:           _ZN7rocprim17ROCPRIM_400000_NS6detail17trampoline_kernelINS0_14default_configENS1_25partition_config_selectorILNS1_17partition_subalgoE9EiibEEZZNS1_14partition_implILS5_9ELb0ES3_jPKiN6thrust23THRUST_200600_302600_NS17counting_iteratorIiNSB_11use_defaultESD_SD_EEPNS0_10empty_typeENS0_5tupleIJPiSF_EEENSH_IJSI_SG_EEENS0_18inequality_wrapperIN6hipcub16HIPCUB_304000_NS8EqualityEEEPlJSF_EEE10hipError_tPvRmT3_T4_T5_T6_T7_T9_mT8_P12ihipStream_tbDpT10_ENKUlT_T0_E_clISt17integral_constantIbLb1EES1A_EEDaS15_S16_EUlS15_E_NS1_11comp_targetILNS1_3genE4ELNS1_11target_archE910ELNS1_3gpuE8ELNS1_3repE0EEENS1_30default_config_static_selectorELNS0_4arch9wavefront6targetE0EEEvT1_
    .private_segment_fixed_size: 0
    .sgpr_count:     0
    .sgpr_spill_count: 0
    .symbol:         _ZN7rocprim17ROCPRIM_400000_NS6detail17trampoline_kernelINS0_14default_configENS1_25partition_config_selectorILNS1_17partition_subalgoE9EiibEEZZNS1_14partition_implILS5_9ELb0ES3_jPKiN6thrust23THRUST_200600_302600_NS17counting_iteratorIiNSB_11use_defaultESD_SD_EEPNS0_10empty_typeENS0_5tupleIJPiSF_EEENSH_IJSI_SG_EEENS0_18inequality_wrapperIN6hipcub16HIPCUB_304000_NS8EqualityEEEPlJSF_EEE10hipError_tPvRmT3_T4_T5_T6_T7_T9_mT8_P12ihipStream_tbDpT10_ENKUlT_T0_E_clISt17integral_constantIbLb1EES1A_EEDaS15_S16_EUlS15_E_NS1_11comp_targetILNS1_3genE4ELNS1_11target_archE910ELNS1_3gpuE8ELNS1_3repE0EEENS1_30default_config_static_selectorELNS0_4arch9wavefront6targetE0EEEvT1_.kd
    .uniform_work_group_size: 1
    .uses_dynamic_stack: false
    .vgpr_count:     0
    .vgpr_spill_count: 0
    .wavefront_size: 32
  - .args:
      - .offset:         0
        .size:           128
        .value_kind:     by_value
    .group_segment_fixed_size: 0
    .kernarg_segment_align: 8
    .kernarg_segment_size: 128
    .language:       OpenCL C
    .language_version:
      - 2
      - 0
    .max_flat_workgroup_size: 256
    .name:           _ZN7rocprim17ROCPRIM_400000_NS6detail17trampoline_kernelINS0_14default_configENS1_25partition_config_selectorILNS1_17partition_subalgoE9EiibEEZZNS1_14partition_implILS5_9ELb0ES3_jPKiN6thrust23THRUST_200600_302600_NS17counting_iteratorIiNSB_11use_defaultESD_SD_EEPNS0_10empty_typeENS0_5tupleIJPiSF_EEENSH_IJSI_SG_EEENS0_18inequality_wrapperIN6hipcub16HIPCUB_304000_NS8EqualityEEEPlJSF_EEE10hipError_tPvRmT3_T4_T5_T6_T7_T9_mT8_P12ihipStream_tbDpT10_ENKUlT_T0_E_clISt17integral_constantIbLb1EES1A_EEDaS15_S16_EUlS15_E_NS1_11comp_targetILNS1_3genE3ELNS1_11target_archE908ELNS1_3gpuE7ELNS1_3repE0EEENS1_30default_config_static_selectorELNS0_4arch9wavefront6targetE0EEEvT1_
    .private_segment_fixed_size: 0
    .sgpr_count:     0
    .sgpr_spill_count: 0
    .symbol:         _ZN7rocprim17ROCPRIM_400000_NS6detail17trampoline_kernelINS0_14default_configENS1_25partition_config_selectorILNS1_17partition_subalgoE9EiibEEZZNS1_14partition_implILS5_9ELb0ES3_jPKiN6thrust23THRUST_200600_302600_NS17counting_iteratorIiNSB_11use_defaultESD_SD_EEPNS0_10empty_typeENS0_5tupleIJPiSF_EEENSH_IJSI_SG_EEENS0_18inequality_wrapperIN6hipcub16HIPCUB_304000_NS8EqualityEEEPlJSF_EEE10hipError_tPvRmT3_T4_T5_T6_T7_T9_mT8_P12ihipStream_tbDpT10_ENKUlT_T0_E_clISt17integral_constantIbLb1EES1A_EEDaS15_S16_EUlS15_E_NS1_11comp_targetILNS1_3genE3ELNS1_11target_archE908ELNS1_3gpuE7ELNS1_3repE0EEENS1_30default_config_static_selectorELNS0_4arch9wavefront6targetE0EEEvT1_.kd
    .uniform_work_group_size: 1
    .uses_dynamic_stack: false
    .vgpr_count:     0
    .vgpr_spill_count: 0
    .wavefront_size: 32
  - .args:
      - .offset:         0
        .size:           128
        .value_kind:     by_value
    .group_segment_fixed_size: 0
    .kernarg_segment_align: 8
    .kernarg_segment_size: 128
    .language:       OpenCL C
    .language_version:
      - 2
      - 0
    .max_flat_workgroup_size: 256
    .name:           _ZN7rocprim17ROCPRIM_400000_NS6detail17trampoline_kernelINS0_14default_configENS1_25partition_config_selectorILNS1_17partition_subalgoE9EiibEEZZNS1_14partition_implILS5_9ELb0ES3_jPKiN6thrust23THRUST_200600_302600_NS17counting_iteratorIiNSB_11use_defaultESD_SD_EEPNS0_10empty_typeENS0_5tupleIJPiSF_EEENSH_IJSI_SG_EEENS0_18inequality_wrapperIN6hipcub16HIPCUB_304000_NS8EqualityEEEPlJSF_EEE10hipError_tPvRmT3_T4_T5_T6_T7_T9_mT8_P12ihipStream_tbDpT10_ENKUlT_T0_E_clISt17integral_constantIbLb1EES1A_EEDaS15_S16_EUlS15_E_NS1_11comp_targetILNS1_3genE2ELNS1_11target_archE906ELNS1_3gpuE6ELNS1_3repE0EEENS1_30default_config_static_selectorELNS0_4arch9wavefront6targetE0EEEvT1_
    .private_segment_fixed_size: 0
    .sgpr_count:     0
    .sgpr_spill_count: 0
    .symbol:         _ZN7rocprim17ROCPRIM_400000_NS6detail17trampoline_kernelINS0_14default_configENS1_25partition_config_selectorILNS1_17partition_subalgoE9EiibEEZZNS1_14partition_implILS5_9ELb0ES3_jPKiN6thrust23THRUST_200600_302600_NS17counting_iteratorIiNSB_11use_defaultESD_SD_EEPNS0_10empty_typeENS0_5tupleIJPiSF_EEENSH_IJSI_SG_EEENS0_18inequality_wrapperIN6hipcub16HIPCUB_304000_NS8EqualityEEEPlJSF_EEE10hipError_tPvRmT3_T4_T5_T6_T7_T9_mT8_P12ihipStream_tbDpT10_ENKUlT_T0_E_clISt17integral_constantIbLb1EES1A_EEDaS15_S16_EUlS15_E_NS1_11comp_targetILNS1_3genE2ELNS1_11target_archE906ELNS1_3gpuE6ELNS1_3repE0EEENS1_30default_config_static_selectorELNS0_4arch9wavefront6targetE0EEEvT1_.kd
    .uniform_work_group_size: 1
    .uses_dynamic_stack: false
    .vgpr_count:     0
    .vgpr_spill_count: 0
    .wavefront_size: 32
  - .args:
      - .offset:         0
        .size:           128
        .value_kind:     by_value
    .group_segment_fixed_size: 0
    .kernarg_segment_align: 8
    .kernarg_segment_size: 128
    .language:       OpenCL C
    .language_version:
      - 2
      - 0
    .max_flat_workgroup_size: 384
    .name:           _ZN7rocprim17ROCPRIM_400000_NS6detail17trampoline_kernelINS0_14default_configENS1_25partition_config_selectorILNS1_17partition_subalgoE9EiibEEZZNS1_14partition_implILS5_9ELb0ES3_jPKiN6thrust23THRUST_200600_302600_NS17counting_iteratorIiNSB_11use_defaultESD_SD_EEPNS0_10empty_typeENS0_5tupleIJPiSF_EEENSH_IJSI_SG_EEENS0_18inequality_wrapperIN6hipcub16HIPCUB_304000_NS8EqualityEEEPlJSF_EEE10hipError_tPvRmT3_T4_T5_T6_T7_T9_mT8_P12ihipStream_tbDpT10_ENKUlT_T0_E_clISt17integral_constantIbLb1EES1A_EEDaS15_S16_EUlS15_E_NS1_11comp_targetILNS1_3genE10ELNS1_11target_archE1200ELNS1_3gpuE4ELNS1_3repE0EEENS1_30default_config_static_selectorELNS0_4arch9wavefront6targetE0EEEvT1_
    .private_segment_fixed_size: 0
    .sgpr_count:     0
    .sgpr_spill_count: 0
    .symbol:         _ZN7rocprim17ROCPRIM_400000_NS6detail17trampoline_kernelINS0_14default_configENS1_25partition_config_selectorILNS1_17partition_subalgoE9EiibEEZZNS1_14partition_implILS5_9ELb0ES3_jPKiN6thrust23THRUST_200600_302600_NS17counting_iteratorIiNSB_11use_defaultESD_SD_EEPNS0_10empty_typeENS0_5tupleIJPiSF_EEENSH_IJSI_SG_EEENS0_18inequality_wrapperIN6hipcub16HIPCUB_304000_NS8EqualityEEEPlJSF_EEE10hipError_tPvRmT3_T4_T5_T6_T7_T9_mT8_P12ihipStream_tbDpT10_ENKUlT_T0_E_clISt17integral_constantIbLb1EES1A_EEDaS15_S16_EUlS15_E_NS1_11comp_targetILNS1_3genE10ELNS1_11target_archE1200ELNS1_3gpuE4ELNS1_3repE0EEENS1_30default_config_static_selectorELNS0_4arch9wavefront6targetE0EEEvT1_.kd
    .uniform_work_group_size: 1
    .uses_dynamic_stack: false
    .vgpr_count:     0
    .vgpr_spill_count: 0
    .wavefront_size: 32
  - .args:
      - .offset:         0
        .size:           128
        .value_kind:     by_value
    .group_segment_fixed_size: 0
    .kernarg_segment_align: 8
    .kernarg_segment_size: 128
    .language:       OpenCL C
    .language_version:
      - 2
      - 0
    .max_flat_workgroup_size: 384
    .name:           _ZN7rocprim17ROCPRIM_400000_NS6detail17trampoline_kernelINS0_14default_configENS1_25partition_config_selectorILNS1_17partition_subalgoE9EiibEEZZNS1_14partition_implILS5_9ELb0ES3_jPKiN6thrust23THRUST_200600_302600_NS17counting_iteratorIiNSB_11use_defaultESD_SD_EEPNS0_10empty_typeENS0_5tupleIJPiSF_EEENSH_IJSI_SG_EEENS0_18inequality_wrapperIN6hipcub16HIPCUB_304000_NS8EqualityEEEPlJSF_EEE10hipError_tPvRmT3_T4_T5_T6_T7_T9_mT8_P12ihipStream_tbDpT10_ENKUlT_T0_E_clISt17integral_constantIbLb1EES1A_EEDaS15_S16_EUlS15_E_NS1_11comp_targetILNS1_3genE9ELNS1_11target_archE1100ELNS1_3gpuE3ELNS1_3repE0EEENS1_30default_config_static_selectorELNS0_4arch9wavefront6targetE0EEEvT1_
    .private_segment_fixed_size: 0
    .sgpr_count:     0
    .sgpr_spill_count: 0
    .symbol:         _ZN7rocprim17ROCPRIM_400000_NS6detail17trampoline_kernelINS0_14default_configENS1_25partition_config_selectorILNS1_17partition_subalgoE9EiibEEZZNS1_14partition_implILS5_9ELb0ES3_jPKiN6thrust23THRUST_200600_302600_NS17counting_iteratorIiNSB_11use_defaultESD_SD_EEPNS0_10empty_typeENS0_5tupleIJPiSF_EEENSH_IJSI_SG_EEENS0_18inequality_wrapperIN6hipcub16HIPCUB_304000_NS8EqualityEEEPlJSF_EEE10hipError_tPvRmT3_T4_T5_T6_T7_T9_mT8_P12ihipStream_tbDpT10_ENKUlT_T0_E_clISt17integral_constantIbLb1EES1A_EEDaS15_S16_EUlS15_E_NS1_11comp_targetILNS1_3genE9ELNS1_11target_archE1100ELNS1_3gpuE3ELNS1_3repE0EEENS1_30default_config_static_selectorELNS0_4arch9wavefront6targetE0EEEvT1_.kd
    .uniform_work_group_size: 1
    .uses_dynamic_stack: false
    .vgpr_count:     0
    .vgpr_spill_count: 0
    .wavefront_size: 32
  - .args:
      - .offset:         0
        .size:           128
        .value_kind:     by_value
    .group_segment_fixed_size: 0
    .kernarg_segment_align: 8
    .kernarg_segment_size: 128
    .language:       OpenCL C
    .language_version:
      - 2
      - 0
    .max_flat_workgroup_size: 512
    .name:           _ZN7rocprim17ROCPRIM_400000_NS6detail17trampoline_kernelINS0_14default_configENS1_25partition_config_selectorILNS1_17partition_subalgoE9EiibEEZZNS1_14partition_implILS5_9ELb0ES3_jPKiN6thrust23THRUST_200600_302600_NS17counting_iteratorIiNSB_11use_defaultESD_SD_EEPNS0_10empty_typeENS0_5tupleIJPiSF_EEENSH_IJSI_SG_EEENS0_18inequality_wrapperIN6hipcub16HIPCUB_304000_NS8EqualityEEEPlJSF_EEE10hipError_tPvRmT3_T4_T5_T6_T7_T9_mT8_P12ihipStream_tbDpT10_ENKUlT_T0_E_clISt17integral_constantIbLb1EES1A_EEDaS15_S16_EUlS15_E_NS1_11comp_targetILNS1_3genE8ELNS1_11target_archE1030ELNS1_3gpuE2ELNS1_3repE0EEENS1_30default_config_static_selectorELNS0_4arch9wavefront6targetE0EEEvT1_
    .private_segment_fixed_size: 0
    .sgpr_count:     0
    .sgpr_spill_count: 0
    .symbol:         _ZN7rocprim17ROCPRIM_400000_NS6detail17trampoline_kernelINS0_14default_configENS1_25partition_config_selectorILNS1_17partition_subalgoE9EiibEEZZNS1_14partition_implILS5_9ELb0ES3_jPKiN6thrust23THRUST_200600_302600_NS17counting_iteratorIiNSB_11use_defaultESD_SD_EEPNS0_10empty_typeENS0_5tupleIJPiSF_EEENSH_IJSI_SG_EEENS0_18inequality_wrapperIN6hipcub16HIPCUB_304000_NS8EqualityEEEPlJSF_EEE10hipError_tPvRmT3_T4_T5_T6_T7_T9_mT8_P12ihipStream_tbDpT10_ENKUlT_T0_E_clISt17integral_constantIbLb1EES1A_EEDaS15_S16_EUlS15_E_NS1_11comp_targetILNS1_3genE8ELNS1_11target_archE1030ELNS1_3gpuE2ELNS1_3repE0EEENS1_30default_config_static_selectorELNS0_4arch9wavefront6targetE0EEEvT1_.kd
    .uniform_work_group_size: 1
    .uses_dynamic_stack: false
    .vgpr_count:     0
    .vgpr_spill_count: 0
    .wavefront_size: 32
  - .args:
      - .address_space:  global
        .offset:         0
        .size:           8
        .value_kind:     global_buffer
      - .offset:         8
        .size:           4
        .value_kind:     by_value
      - .offset:         12
        .size:           1
        .value_kind:     by_value
      - .offset:         16
        .size:           4
        .value_kind:     by_value
      - .address_space:  global
        .offset:         24
        .size:           8
        .value_kind:     global_buffer
      - .offset:         32
        .size:           4
        .value_kind:     hidden_block_count_x
      - .offset:         36
        .size:           4
        .value_kind:     hidden_block_count_y
      - .offset:         40
        .size:           4
        .value_kind:     hidden_block_count_z
      - .offset:         44
        .size:           2
        .value_kind:     hidden_group_size_x
      - .offset:         46
        .size:           2
        .value_kind:     hidden_group_size_y
      - .offset:         48
        .size:           2
        .value_kind:     hidden_group_size_z
      - .offset:         50
        .size:           2
        .value_kind:     hidden_remainder_x
      - .offset:         52
        .size:           2
        .value_kind:     hidden_remainder_y
      - .offset:         54
        .size:           2
        .value_kind:     hidden_remainder_z
      - .offset:         72
        .size:           8
        .value_kind:     hidden_global_offset_x
      - .offset:         80
        .size:           8
        .value_kind:     hidden_global_offset_y
      - .offset:         88
        .size:           8
        .value_kind:     hidden_global_offset_z
      - .offset:         96
        .size:           2
        .value_kind:     hidden_grid_dims
    .group_segment_fixed_size: 0
    .kernarg_segment_align: 8
    .kernarg_segment_size: 288
    .language:       OpenCL C
    .language_version:
      - 2
      - 0
    .max_flat_workgroup_size: 256
    .name:           _ZN7rocprim17ROCPRIM_400000_NS6detail31init_lookback_scan_state_kernelINS1_19lookback_scan_stateIjLb1ELb1EEENS1_16block_id_wrapperIjLb0EEEEEvT_jT0_jPNS7_10value_typeE
    .private_segment_fixed_size: 0
    .sgpr_count:     13
    .sgpr_spill_count: 0
    .symbol:         _ZN7rocprim17ROCPRIM_400000_NS6detail31init_lookback_scan_state_kernelINS1_19lookback_scan_stateIjLb1ELb1EEENS1_16block_id_wrapperIjLb0EEEEEvT_jT0_jPNS7_10value_typeE.kd
    .uniform_work_group_size: 1
    .uses_dynamic_stack: false
    .vgpr_count:     5
    .vgpr_spill_count: 0
    .wavefront_size: 32
  - .args:
      - .offset:         0
        .size:           112
        .value_kind:     by_value
    .group_segment_fixed_size: 0
    .kernarg_segment_align: 8
    .kernarg_segment_size: 112
    .language:       OpenCL C
    .language_version:
      - 2
      - 0
    .max_flat_workgroup_size: 256
    .name:           _ZN7rocprim17ROCPRIM_400000_NS6detail17trampoline_kernelINS0_14default_configENS1_25partition_config_selectorILNS1_17partition_subalgoE9EiibEEZZNS1_14partition_implILS5_9ELb0ES3_jPKiN6thrust23THRUST_200600_302600_NS17counting_iteratorIiNSB_11use_defaultESD_SD_EEPNS0_10empty_typeENS0_5tupleIJPiSF_EEENSH_IJSI_SG_EEENS0_18inequality_wrapperIN6hipcub16HIPCUB_304000_NS8EqualityEEEPlJSF_EEE10hipError_tPvRmT3_T4_T5_T6_T7_T9_mT8_P12ihipStream_tbDpT10_ENKUlT_T0_E_clISt17integral_constantIbLb1EES19_IbLb0EEEEDaS15_S16_EUlS15_E_NS1_11comp_targetILNS1_3genE0ELNS1_11target_archE4294967295ELNS1_3gpuE0ELNS1_3repE0EEENS1_30default_config_static_selectorELNS0_4arch9wavefront6targetE0EEEvT1_
    .private_segment_fixed_size: 0
    .sgpr_count:     0
    .sgpr_spill_count: 0
    .symbol:         _ZN7rocprim17ROCPRIM_400000_NS6detail17trampoline_kernelINS0_14default_configENS1_25partition_config_selectorILNS1_17partition_subalgoE9EiibEEZZNS1_14partition_implILS5_9ELb0ES3_jPKiN6thrust23THRUST_200600_302600_NS17counting_iteratorIiNSB_11use_defaultESD_SD_EEPNS0_10empty_typeENS0_5tupleIJPiSF_EEENSH_IJSI_SG_EEENS0_18inequality_wrapperIN6hipcub16HIPCUB_304000_NS8EqualityEEEPlJSF_EEE10hipError_tPvRmT3_T4_T5_T6_T7_T9_mT8_P12ihipStream_tbDpT10_ENKUlT_T0_E_clISt17integral_constantIbLb1EES19_IbLb0EEEEDaS15_S16_EUlS15_E_NS1_11comp_targetILNS1_3genE0ELNS1_11target_archE4294967295ELNS1_3gpuE0ELNS1_3repE0EEENS1_30default_config_static_selectorELNS0_4arch9wavefront6targetE0EEEvT1_.kd
    .uniform_work_group_size: 1
    .uses_dynamic_stack: false
    .vgpr_count:     0
    .vgpr_spill_count: 0
    .wavefront_size: 32
  - .args:
      - .offset:         0
        .size:           112
        .value_kind:     by_value
    .group_segment_fixed_size: 0
    .kernarg_segment_align: 8
    .kernarg_segment_size: 112
    .language:       OpenCL C
    .language_version:
      - 2
      - 0
    .max_flat_workgroup_size: 512
    .name:           _ZN7rocprim17ROCPRIM_400000_NS6detail17trampoline_kernelINS0_14default_configENS1_25partition_config_selectorILNS1_17partition_subalgoE9EiibEEZZNS1_14partition_implILS5_9ELb0ES3_jPKiN6thrust23THRUST_200600_302600_NS17counting_iteratorIiNSB_11use_defaultESD_SD_EEPNS0_10empty_typeENS0_5tupleIJPiSF_EEENSH_IJSI_SG_EEENS0_18inequality_wrapperIN6hipcub16HIPCUB_304000_NS8EqualityEEEPlJSF_EEE10hipError_tPvRmT3_T4_T5_T6_T7_T9_mT8_P12ihipStream_tbDpT10_ENKUlT_T0_E_clISt17integral_constantIbLb1EES19_IbLb0EEEEDaS15_S16_EUlS15_E_NS1_11comp_targetILNS1_3genE5ELNS1_11target_archE942ELNS1_3gpuE9ELNS1_3repE0EEENS1_30default_config_static_selectorELNS0_4arch9wavefront6targetE0EEEvT1_
    .private_segment_fixed_size: 0
    .sgpr_count:     0
    .sgpr_spill_count: 0
    .symbol:         _ZN7rocprim17ROCPRIM_400000_NS6detail17trampoline_kernelINS0_14default_configENS1_25partition_config_selectorILNS1_17partition_subalgoE9EiibEEZZNS1_14partition_implILS5_9ELb0ES3_jPKiN6thrust23THRUST_200600_302600_NS17counting_iteratorIiNSB_11use_defaultESD_SD_EEPNS0_10empty_typeENS0_5tupleIJPiSF_EEENSH_IJSI_SG_EEENS0_18inequality_wrapperIN6hipcub16HIPCUB_304000_NS8EqualityEEEPlJSF_EEE10hipError_tPvRmT3_T4_T5_T6_T7_T9_mT8_P12ihipStream_tbDpT10_ENKUlT_T0_E_clISt17integral_constantIbLb1EES19_IbLb0EEEEDaS15_S16_EUlS15_E_NS1_11comp_targetILNS1_3genE5ELNS1_11target_archE942ELNS1_3gpuE9ELNS1_3repE0EEENS1_30default_config_static_selectorELNS0_4arch9wavefront6targetE0EEEvT1_.kd
    .uniform_work_group_size: 1
    .uses_dynamic_stack: false
    .vgpr_count:     0
    .vgpr_spill_count: 0
    .wavefront_size: 32
  - .args:
      - .offset:         0
        .size:           112
        .value_kind:     by_value
    .group_segment_fixed_size: 0
    .kernarg_segment_align: 8
    .kernarg_segment_size: 112
    .language:       OpenCL C
    .language_version:
      - 2
      - 0
    .max_flat_workgroup_size: 192
    .name:           _ZN7rocprim17ROCPRIM_400000_NS6detail17trampoline_kernelINS0_14default_configENS1_25partition_config_selectorILNS1_17partition_subalgoE9EiibEEZZNS1_14partition_implILS5_9ELb0ES3_jPKiN6thrust23THRUST_200600_302600_NS17counting_iteratorIiNSB_11use_defaultESD_SD_EEPNS0_10empty_typeENS0_5tupleIJPiSF_EEENSH_IJSI_SG_EEENS0_18inequality_wrapperIN6hipcub16HIPCUB_304000_NS8EqualityEEEPlJSF_EEE10hipError_tPvRmT3_T4_T5_T6_T7_T9_mT8_P12ihipStream_tbDpT10_ENKUlT_T0_E_clISt17integral_constantIbLb1EES19_IbLb0EEEEDaS15_S16_EUlS15_E_NS1_11comp_targetILNS1_3genE4ELNS1_11target_archE910ELNS1_3gpuE8ELNS1_3repE0EEENS1_30default_config_static_selectorELNS0_4arch9wavefront6targetE0EEEvT1_
    .private_segment_fixed_size: 0
    .sgpr_count:     0
    .sgpr_spill_count: 0
    .symbol:         _ZN7rocprim17ROCPRIM_400000_NS6detail17trampoline_kernelINS0_14default_configENS1_25partition_config_selectorILNS1_17partition_subalgoE9EiibEEZZNS1_14partition_implILS5_9ELb0ES3_jPKiN6thrust23THRUST_200600_302600_NS17counting_iteratorIiNSB_11use_defaultESD_SD_EEPNS0_10empty_typeENS0_5tupleIJPiSF_EEENSH_IJSI_SG_EEENS0_18inequality_wrapperIN6hipcub16HIPCUB_304000_NS8EqualityEEEPlJSF_EEE10hipError_tPvRmT3_T4_T5_T6_T7_T9_mT8_P12ihipStream_tbDpT10_ENKUlT_T0_E_clISt17integral_constantIbLb1EES19_IbLb0EEEEDaS15_S16_EUlS15_E_NS1_11comp_targetILNS1_3genE4ELNS1_11target_archE910ELNS1_3gpuE8ELNS1_3repE0EEENS1_30default_config_static_selectorELNS0_4arch9wavefront6targetE0EEEvT1_.kd
    .uniform_work_group_size: 1
    .uses_dynamic_stack: false
    .vgpr_count:     0
    .vgpr_spill_count: 0
    .wavefront_size: 32
  - .args:
      - .offset:         0
        .size:           112
        .value_kind:     by_value
    .group_segment_fixed_size: 0
    .kernarg_segment_align: 8
    .kernarg_segment_size: 112
    .language:       OpenCL C
    .language_version:
      - 2
      - 0
    .max_flat_workgroup_size: 256
    .name:           _ZN7rocprim17ROCPRIM_400000_NS6detail17trampoline_kernelINS0_14default_configENS1_25partition_config_selectorILNS1_17partition_subalgoE9EiibEEZZNS1_14partition_implILS5_9ELb0ES3_jPKiN6thrust23THRUST_200600_302600_NS17counting_iteratorIiNSB_11use_defaultESD_SD_EEPNS0_10empty_typeENS0_5tupleIJPiSF_EEENSH_IJSI_SG_EEENS0_18inequality_wrapperIN6hipcub16HIPCUB_304000_NS8EqualityEEEPlJSF_EEE10hipError_tPvRmT3_T4_T5_T6_T7_T9_mT8_P12ihipStream_tbDpT10_ENKUlT_T0_E_clISt17integral_constantIbLb1EES19_IbLb0EEEEDaS15_S16_EUlS15_E_NS1_11comp_targetILNS1_3genE3ELNS1_11target_archE908ELNS1_3gpuE7ELNS1_3repE0EEENS1_30default_config_static_selectorELNS0_4arch9wavefront6targetE0EEEvT1_
    .private_segment_fixed_size: 0
    .sgpr_count:     0
    .sgpr_spill_count: 0
    .symbol:         _ZN7rocprim17ROCPRIM_400000_NS6detail17trampoline_kernelINS0_14default_configENS1_25partition_config_selectorILNS1_17partition_subalgoE9EiibEEZZNS1_14partition_implILS5_9ELb0ES3_jPKiN6thrust23THRUST_200600_302600_NS17counting_iteratorIiNSB_11use_defaultESD_SD_EEPNS0_10empty_typeENS0_5tupleIJPiSF_EEENSH_IJSI_SG_EEENS0_18inequality_wrapperIN6hipcub16HIPCUB_304000_NS8EqualityEEEPlJSF_EEE10hipError_tPvRmT3_T4_T5_T6_T7_T9_mT8_P12ihipStream_tbDpT10_ENKUlT_T0_E_clISt17integral_constantIbLb1EES19_IbLb0EEEEDaS15_S16_EUlS15_E_NS1_11comp_targetILNS1_3genE3ELNS1_11target_archE908ELNS1_3gpuE7ELNS1_3repE0EEENS1_30default_config_static_selectorELNS0_4arch9wavefront6targetE0EEEvT1_.kd
    .uniform_work_group_size: 1
    .uses_dynamic_stack: false
    .vgpr_count:     0
    .vgpr_spill_count: 0
    .wavefront_size: 32
  - .args:
      - .offset:         0
        .size:           112
        .value_kind:     by_value
    .group_segment_fixed_size: 0
    .kernarg_segment_align: 8
    .kernarg_segment_size: 112
    .language:       OpenCL C
    .language_version:
      - 2
      - 0
    .max_flat_workgroup_size: 256
    .name:           _ZN7rocprim17ROCPRIM_400000_NS6detail17trampoline_kernelINS0_14default_configENS1_25partition_config_selectorILNS1_17partition_subalgoE9EiibEEZZNS1_14partition_implILS5_9ELb0ES3_jPKiN6thrust23THRUST_200600_302600_NS17counting_iteratorIiNSB_11use_defaultESD_SD_EEPNS0_10empty_typeENS0_5tupleIJPiSF_EEENSH_IJSI_SG_EEENS0_18inequality_wrapperIN6hipcub16HIPCUB_304000_NS8EqualityEEEPlJSF_EEE10hipError_tPvRmT3_T4_T5_T6_T7_T9_mT8_P12ihipStream_tbDpT10_ENKUlT_T0_E_clISt17integral_constantIbLb1EES19_IbLb0EEEEDaS15_S16_EUlS15_E_NS1_11comp_targetILNS1_3genE2ELNS1_11target_archE906ELNS1_3gpuE6ELNS1_3repE0EEENS1_30default_config_static_selectorELNS0_4arch9wavefront6targetE0EEEvT1_
    .private_segment_fixed_size: 0
    .sgpr_count:     0
    .sgpr_spill_count: 0
    .symbol:         _ZN7rocprim17ROCPRIM_400000_NS6detail17trampoline_kernelINS0_14default_configENS1_25partition_config_selectorILNS1_17partition_subalgoE9EiibEEZZNS1_14partition_implILS5_9ELb0ES3_jPKiN6thrust23THRUST_200600_302600_NS17counting_iteratorIiNSB_11use_defaultESD_SD_EEPNS0_10empty_typeENS0_5tupleIJPiSF_EEENSH_IJSI_SG_EEENS0_18inequality_wrapperIN6hipcub16HIPCUB_304000_NS8EqualityEEEPlJSF_EEE10hipError_tPvRmT3_T4_T5_T6_T7_T9_mT8_P12ihipStream_tbDpT10_ENKUlT_T0_E_clISt17integral_constantIbLb1EES19_IbLb0EEEEDaS15_S16_EUlS15_E_NS1_11comp_targetILNS1_3genE2ELNS1_11target_archE906ELNS1_3gpuE6ELNS1_3repE0EEENS1_30default_config_static_selectorELNS0_4arch9wavefront6targetE0EEEvT1_.kd
    .uniform_work_group_size: 1
    .uses_dynamic_stack: false
    .vgpr_count:     0
    .vgpr_spill_count: 0
    .wavefront_size: 32
  - .args:
      - .offset:         0
        .size:           112
        .value_kind:     by_value
    .group_segment_fixed_size: 0
    .kernarg_segment_align: 8
    .kernarg_segment_size: 112
    .language:       OpenCL C
    .language_version:
      - 2
      - 0
    .max_flat_workgroup_size: 384
    .name:           _ZN7rocprim17ROCPRIM_400000_NS6detail17trampoline_kernelINS0_14default_configENS1_25partition_config_selectorILNS1_17partition_subalgoE9EiibEEZZNS1_14partition_implILS5_9ELb0ES3_jPKiN6thrust23THRUST_200600_302600_NS17counting_iteratorIiNSB_11use_defaultESD_SD_EEPNS0_10empty_typeENS0_5tupleIJPiSF_EEENSH_IJSI_SG_EEENS0_18inequality_wrapperIN6hipcub16HIPCUB_304000_NS8EqualityEEEPlJSF_EEE10hipError_tPvRmT3_T4_T5_T6_T7_T9_mT8_P12ihipStream_tbDpT10_ENKUlT_T0_E_clISt17integral_constantIbLb1EES19_IbLb0EEEEDaS15_S16_EUlS15_E_NS1_11comp_targetILNS1_3genE10ELNS1_11target_archE1200ELNS1_3gpuE4ELNS1_3repE0EEENS1_30default_config_static_selectorELNS0_4arch9wavefront6targetE0EEEvT1_
    .private_segment_fixed_size: 0
    .sgpr_count:     0
    .sgpr_spill_count: 0
    .symbol:         _ZN7rocprim17ROCPRIM_400000_NS6detail17trampoline_kernelINS0_14default_configENS1_25partition_config_selectorILNS1_17partition_subalgoE9EiibEEZZNS1_14partition_implILS5_9ELb0ES3_jPKiN6thrust23THRUST_200600_302600_NS17counting_iteratorIiNSB_11use_defaultESD_SD_EEPNS0_10empty_typeENS0_5tupleIJPiSF_EEENSH_IJSI_SG_EEENS0_18inequality_wrapperIN6hipcub16HIPCUB_304000_NS8EqualityEEEPlJSF_EEE10hipError_tPvRmT3_T4_T5_T6_T7_T9_mT8_P12ihipStream_tbDpT10_ENKUlT_T0_E_clISt17integral_constantIbLb1EES19_IbLb0EEEEDaS15_S16_EUlS15_E_NS1_11comp_targetILNS1_3genE10ELNS1_11target_archE1200ELNS1_3gpuE4ELNS1_3repE0EEENS1_30default_config_static_selectorELNS0_4arch9wavefront6targetE0EEEvT1_.kd
    .uniform_work_group_size: 1
    .uses_dynamic_stack: false
    .vgpr_count:     0
    .vgpr_spill_count: 0
    .wavefront_size: 32
  - .args:
      - .offset:         0
        .size:           112
        .value_kind:     by_value
    .group_segment_fixed_size: 0
    .kernarg_segment_align: 8
    .kernarg_segment_size: 112
    .language:       OpenCL C
    .language_version:
      - 2
      - 0
    .max_flat_workgroup_size: 384
    .name:           _ZN7rocprim17ROCPRIM_400000_NS6detail17trampoline_kernelINS0_14default_configENS1_25partition_config_selectorILNS1_17partition_subalgoE9EiibEEZZNS1_14partition_implILS5_9ELb0ES3_jPKiN6thrust23THRUST_200600_302600_NS17counting_iteratorIiNSB_11use_defaultESD_SD_EEPNS0_10empty_typeENS0_5tupleIJPiSF_EEENSH_IJSI_SG_EEENS0_18inequality_wrapperIN6hipcub16HIPCUB_304000_NS8EqualityEEEPlJSF_EEE10hipError_tPvRmT3_T4_T5_T6_T7_T9_mT8_P12ihipStream_tbDpT10_ENKUlT_T0_E_clISt17integral_constantIbLb1EES19_IbLb0EEEEDaS15_S16_EUlS15_E_NS1_11comp_targetILNS1_3genE9ELNS1_11target_archE1100ELNS1_3gpuE3ELNS1_3repE0EEENS1_30default_config_static_selectorELNS0_4arch9wavefront6targetE0EEEvT1_
    .private_segment_fixed_size: 0
    .sgpr_count:     0
    .sgpr_spill_count: 0
    .symbol:         _ZN7rocprim17ROCPRIM_400000_NS6detail17trampoline_kernelINS0_14default_configENS1_25partition_config_selectorILNS1_17partition_subalgoE9EiibEEZZNS1_14partition_implILS5_9ELb0ES3_jPKiN6thrust23THRUST_200600_302600_NS17counting_iteratorIiNSB_11use_defaultESD_SD_EEPNS0_10empty_typeENS0_5tupleIJPiSF_EEENSH_IJSI_SG_EEENS0_18inequality_wrapperIN6hipcub16HIPCUB_304000_NS8EqualityEEEPlJSF_EEE10hipError_tPvRmT3_T4_T5_T6_T7_T9_mT8_P12ihipStream_tbDpT10_ENKUlT_T0_E_clISt17integral_constantIbLb1EES19_IbLb0EEEEDaS15_S16_EUlS15_E_NS1_11comp_targetILNS1_3genE9ELNS1_11target_archE1100ELNS1_3gpuE3ELNS1_3repE0EEENS1_30default_config_static_selectorELNS0_4arch9wavefront6targetE0EEEvT1_.kd
    .uniform_work_group_size: 1
    .uses_dynamic_stack: false
    .vgpr_count:     0
    .vgpr_spill_count: 0
    .wavefront_size: 32
  - .args:
      - .offset:         0
        .size:           112
        .value_kind:     by_value
    .group_segment_fixed_size: 0
    .kernarg_segment_align: 8
    .kernarg_segment_size: 112
    .language:       OpenCL C
    .language_version:
      - 2
      - 0
    .max_flat_workgroup_size: 512
    .name:           _ZN7rocprim17ROCPRIM_400000_NS6detail17trampoline_kernelINS0_14default_configENS1_25partition_config_selectorILNS1_17partition_subalgoE9EiibEEZZNS1_14partition_implILS5_9ELb0ES3_jPKiN6thrust23THRUST_200600_302600_NS17counting_iteratorIiNSB_11use_defaultESD_SD_EEPNS0_10empty_typeENS0_5tupleIJPiSF_EEENSH_IJSI_SG_EEENS0_18inequality_wrapperIN6hipcub16HIPCUB_304000_NS8EqualityEEEPlJSF_EEE10hipError_tPvRmT3_T4_T5_T6_T7_T9_mT8_P12ihipStream_tbDpT10_ENKUlT_T0_E_clISt17integral_constantIbLb1EES19_IbLb0EEEEDaS15_S16_EUlS15_E_NS1_11comp_targetILNS1_3genE8ELNS1_11target_archE1030ELNS1_3gpuE2ELNS1_3repE0EEENS1_30default_config_static_selectorELNS0_4arch9wavefront6targetE0EEEvT1_
    .private_segment_fixed_size: 0
    .sgpr_count:     0
    .sgpr_spill_count: 0
    .symbol:         _ZN7rocprim17ROCPRIM_400000_NS6detail17trampoline_kernelINS0_14default_configENS1_25partition_config_selectorILNS1_17partition_subalgoE9EiibEEZZNS1_14partition_implILS5_9ELb0ES3_jPKiN6thrust23THRUST_200600_302600_NS17counting_iteratorIiNSB_11use_defaultESD_SD_EEPNS0_10empty_typeENS0_5tupleIJPiSF_EEENSH_IJSI_SG_EEENS0_18inequality_wrapperIN6hipcub16HIPCUB_304000_NS8EqualityEEEPlJSF_EEE10hipError_tPvRmT3_T4_T5_T6_T7_T9_mT8_P12ihipStream_tbDpT10_ENKUlT_T0_E_clISt17integral_constantIbLb1EES19_IbLb0EEEEDaS15_S16_EUlS15_E_NS1_11comp_targetILNS1_3genE8ELNS1_11target_archE1030ELNS1_3gpuE2ELNS1_3repE0EEENS1_30default_config_static_selectorELNS0_4arch9wavefront6targetE0EEEvT1_.kd
    .uniform_work_group_size: 1
    .uses_dynamic_stack: false
    .vgpr_count:     0
    .vgpr_spill_count: 0
    .wavefront_size: 32
  - .args:
      - .address_space:  global
        .offset:         0
        .size:           8
        .value_kind:     global_buffer
      - .offset:         8
        .size:           4
        .value_kind:     by_value
      - .address_space:  global
        .offset:         16
        .size:           8
        .value_kind:     global_buffer
      - .offset:         24
        .size:           4
        .value_kind:     by_value
      - .address_space:  global
        .offset:         32
        .size:           8
        .value_kind:     global_buffer
      - .offset:         40
        .size:           4
        .value_kind:     hidden_block_count_x
      - .offset:         44
        .size:           4
        .value_kind:     hidden_block_count_y
      - .offset:         48
        .size:           4
        .value_kind:     hidden_block_count_z
      - .offset:         52
        .size:           2
        .value_kind:     hidden_group_size_x
      - .offset:         54
        .size:           2
        .value_kind:     hidden_group_size_y
      - .offset:         56
        .size:           2
        .value_kind:     hidden_group_size_z
      - .offset:         58
        .size:           2
        .value_kind:     hidden_remainder_x
      - .offset:         60
        .size:           2
        .value_kind:     hidden_remainder_y
      - .offset:         62
        .size:           2
        .value_kind:     hidden_remainder_z
      - .offset:         80
        .size:           8
        .value_kind:     hidden_global_offset_x
      - .offset:         88
        .size:           8
        .value_kind:     hidden_global_offset_y
      - .offset:         96
        .size:           8
        .value_kind:     hidden_global_offset_z
      - .offset:         104
        .size:           2
        .value_kind:     hidden_grid_dims
    .group_segment_fixed_size: 0
    .kernarg_segment_align: 8
    .kernarg_segment_size: 296
    .language:       OpenCL C
    .language_version:
      - 2
      - 0
    .max_flat_workgroup_size: 256
    .name:           _ZN7rocprim17ROCPRIM_400000_NS6detail31init_lookback_scan_state_kernelINS1_19lookback_scan_stateIjLb0ELb1EEENS1_16block_id_wrapperIjLb1EEEEEvT_jT0_jPNS7_10value_typeE
    .private_segment_fixed_size: 0
    .sgpr_count:     13
    .sgpr_spill_count: 0
    .symbol:         _ZN7rocprim17ROCPRIM_400000_NS6detail31init_lookback_scan_state_kernelINS1_19lookback_scan_stateIjLb0ELb1EEENS1_16block_id_wrapperIjLb1EEEEEvT_jT0_jPNS7_10value_typeE.kd
    .uniform_work_group_size: 1
    .uses_dynamic_stack: false
    .vgpr_count:     5
    .vgpr_spill_count: 0
    .wavefront_size: 32
  - .args:
      - .offset:         0
        .size:           128
        .value_kind:     by_value
    .group_segment_fixed_size: 13320
    .kernarg_segment_align: 8
    .kernarg_segment_size: 128
    .language:       OpenCL C
    .language_version:
      - 2
      - 0
    .max_flat_workgroup_size: 256
    .name:           _ZN7rocprim17ROCPRIM_400000_NS6detail17trampoline_kernelINS0_14default_configENS1_25partition_config_selectorILNS1_17partition_subalgoE9EiibEEZZNS1_14partition_implILS5_9ELb0ES3_jPKiN6thrust23THRUST_200600_302600_NS17counting_iteratorIiNSB_11use_defaultESD_SD_EEPNS0_10empty_typeENS0_5tupleIJPiSF_EEENSH_IJSI_SG_EEENS0_18inequality_wrapperIN6hipcub16HIPCUB_304000_NS8EqualityEEEPlJSF_EEE10hipError_tPvRmT3_T4_T5_T6_T7_T9_mT8_P12ihipStream_tbDpT10_ENKUlT_T0_E_clISt17integral_constantIbLb0EES19_IbLb1EEEEDaS15_S16_EUlS15_E_NS1_11comp_targetILNS1_3genE0ELNS1_11target_archE4294967295ELNS1_3gpuE0ELNS1_3repE0EEENS1_30default_config_static_selectorELNS0_4arch9wavefront6targetE0EEEvT1_
    .private_segment_fixed_size: 0
    .sgpr_count:     39
    .sgpr_spill_count: 0
    .symbol:         _ZN7rocprim17ROCPRIM_400000_NS6detail17trampoline_kernelINS0_14default_configENS1_25partition_config_selectorILNS1_17partition_subalgoE9EiibEEZZNS1_14partition_implILS5_9ELb0ES3_jPKiN6thrust23THRUST_200600_302600_NS17counting_iteratorIiNSB_11use_defaultESD_SD_EEPNS0_10empty_typeENS0_5tupleIJPiSF_EEENSH_IJSI_SG_EEENS0_18inequality_wrapperIN6hipcub16HIPCUB_304000_NS8EqualityEEEPlJSF_EEE10hipError_tPvRmT3_T4_T5_T6_T7_T9_mT8_P12ihipStream_tbDpT10_ENKUlT_T0_E_clISt17integral_constantIbLb0EES19_IbLb1EEEEDaS15_S16_EUlS15_E_NS1_11comp_targetILNS1_3genE0ELNS1_11target_archE4294967295ELNS1_3gpuE0ELNS1_3repE0EEENS1_30default_config_static_selectorELNS0_4arch9wavefront6targetE0EEEvT1_.kd
    .uniform_work_group_size: 1
    .uses_dynamic_stack: false
    .vgpr_count:     100
    .vgpr_spill_count: 0
    .wavefront_size: 32
  - .args:
      - .offset:         0
        .size:           128
        .value_kind:     by_value
    .group_segment_fixed_size: 0
    .kernarg_segment_align: 8
    .kernarg_segment_size: 128
    .language:       OpenCL C
    .language_version:
      - 2
      - 0
    .max_flat_workgroup_size: 512
    .name:           _ZN7rocprim17ROCPRIM_400000_NS6detail17trampoline_kernelINS0_14default_configENS1_25partition_config_selectorILNS1_17partition_subalgoE9EiibEEZZNS1_14partition_implILS5_9ELb0ES3_jPKiN6thrust23THRUST_200600_302600_NS17counting_iteratorIiNSB_11use_defaultESD_SD_EEPNS0_10empty_typeENS0_5tupleIJPiSF_EEENSH_IJSI_SG_EEENS0_18inequality_wrapperIN6hipcub16HIPCUB_304000_NS8EqualityEEEPlJSF_EEE10hipError_tPvRmT3_T4_T5_T6_T7_T9_mT8_P12ihipStream_tbDpT10_ENKUlT_T0_E_clISt17integral_constantIbLb0EES19_IbLb1EEEEDaS15_S16_EUlS15_E_NS1_11comp_targetILNS1_3genE5ELNS1_11target_archE942ELNS1_3gpuE9ELNS1_3repE0EEENS1_30default_config_static_selectorELNS0_4arch9wavefront6targetE0EEEvT1_
    .private_segment_fixed_size: 0
    .sgpr_count:     0
    .sgpr_spill_count: 0
    .symbol:         _ZN7rocprim17ROCPRIM_400000_NS6detail17trampoline_kernelINS0_14default_configENS1_25partition_config_selectorILNS1_17partition_subalgoE9EiibEEZZNS1_14partition_implILS5_9ELb0ES3_jPKiN6thrust23THRUST_200600_302600_NS17counting_iteratorIiNSB_11use_defaultESD_SD_EEPNS0_10empty_typeENS0_5tupleIJPiSF_EEENSH_IJSI_SG_EEENS0_18inequality_wrapperIN6hipcub16HIPCUB_304000_NS8EqualityEEEPlJSF_EEE10hipError_tPvRmT3_T4_T5_T6_T7_T9_mT8_P12ihipStream_tbDpT10_ENKUlT_T0_E_clISt17integral_constantIbLb0EES19_IbLb1EEEEDaS15_S16_EUlS15_E_NS1_11comp_targetILNS1_3genE5ELNS1_11target_archE942ELNS1_3gpuE9ELNS1_3repE0EEENS1_30default_config_static_selectorELNS0_4arch9wavefront6targetE0EEEvT1_.kd
    .uniform_work_group_size: 1
    .uses_dynamic_stack: false
    .vgpr_count:     0
    .vgpr_spill_count: 0
    .wavefront_size: 32
  - .args:
      - .offset:         0
        .size:           128
        .value_kind:     by_value
    .group_segment_fixed_size: 0
    .kernarg_segment_align: 8
    .kernarg_segment_size: 128
    .language:       OpenCL C
    .language_version:
      - 2
      - 0
    .max_flat_workgroup_size: 192
    .name:           _ZN7rocprim17ROCPRIM_400000_NS6detail17trampoline_kernelINS0_14default_configENS1_25partition_config_selectorILNS1_17partition_subalgoE9EiibEEZZNS1_14partition_implILS5_9ELb0ES3_jPKiN6thrust23THRUST_200600_302600_NS17counting_iteratorIiNSB_11use_defaultESD_SD_EEPNS0_10empty_typeENS0_5tupleIJPiSF_EEENSH_IJSI_SG_EEENS0_18inequality_wrapperIN6hipcub16HIPCUB_304000_NS8EqualityEEEPlJSF_EEE10hipError_tPvRmT3_T4_T5_T6_T7_T9_mT8_P12ihipStream_tbDpT10_ENKUlT_T0_E_clISt17integral_constantIbLb0EES19_IbLb1EEEEDaS15_S16_EUlS15_E_NS1_11comp_targetILNS1_3genE4ELNS1_11target_archE910ELNS1_3gpuE8ELNS1_3repE0EEENS1_30default_config_static_selectorELNS0_4arch9wavefront6targetE0EEEvT1_
    .private_segment_fixed_size: 0
    .sgpr_count:     0
    .sgpr_spill_count: 0
    .symbol:         _ZN7rocprim17ROCPRIM_400000_NS6detail17trampoline_kernelINS0_14default_configENS1_25partition_config_selectorILNS1_17partition_subalgoE9EiibEEZZNS1_14partition_implILS5_9ELb0ES3_jPKiN6thrust23THRUST_200600_302600_NS17counting_iteratorIiNSB_11use_defaultESD_SD_EEPNS0_10empty_typeENS0_5tupleIJPiSF_EEENSH_IJSI_SG_EEENS0_18inequality_wrapperIN6hipcub16HIPCUB_304000_NS8EqualityEEEPlJSF_EEE10hipError_tPvRmT3_T4_T5_T6_T7_T9_mT8_P12ihipStream_tbDpT10_ENKUlT_T0_E_clISt17integral_constantIbLb0EES19_IbLb1EEEEDaS15_S16_EUlS15_E_NS1_11comp_targetILNS1_3genE4ELNS1_11target_archE910ELNS1_3gpuE8ELNS1_3repE0EEENS1_30default_config_static_selectorELNS0_4arch9wavefront6targetE0EEEvT1_.kd
    .uniform_work_group_size: 1
    .uses_dynamic_stack: false
    .vgpr_count:     0
    .vgpr_spill_count: 0
    .wavefront_size: 32
  - .args:
      - .offset:         0
        .size:           128
        .value_kind:     by_value
    .group_segment_fixed_size: 0
    .kernarg_segment_align: 8
    .kernarg_segment_size: 128
    .language:       OpenCL C
    .language_version:
      - 2
      - 0
    .max_flat_workgroup_size: 256
    .name:           _ZN7rocprim17ROCPRIM_400000_NS6detail17trampoline_kernelINS0_14default_configENS1_25partition_config_selectorILNS1_17partition_subalgoE9EiibEEZZNS1_14partition_implILS5_9ELb0ES3_jPKiN6thrust23THRUST_200600_302600_NS17counting_iteratorIiNSB_11use_defaultESD_SD_EEPNS0_10empty_typeENS0_5tupleIJPiSF_EEENSH_IJSI_SG_EEENS0_18inequality_wrapperIN6hipcub16HIPCUB_304000_NS8EqualityEEEPlJSF_EEE10hipError_tPvRmT3_T4_T5_T6_T7_T9_mT8_P12ihipStream_tbDpT10_ENKUlT_T0_E_clISt17integral_constantIbLb0EES19_IbLb1EEEEDaS15_S16_EUlS15_E_NS1_11comp_targetILNS1_3genE3ELNS1_11target_archE908ELNS1_3gpuE7ELNS1_3repE0EEENS1_30default_config_static_selectorELNS0_4arch9wavefront6targetE0EEEvT1_
    .private_segment_fixed_size: 0
    .sgpr_count:     0
    .sgpr_spill_count: 0
    .symbol:         _ZN7rocprim17ROCPRIM_400000_NS6detail17trampoline_kernelINS0_14default_configENS1_25partition_config_selectorILNS1_17partition_subalgoE9EiibEEZZNS1_14partition_implILS5_9ELb0ES3_jPKiN6thrust23THRUST_200600_302600_NS17counting_iteratorIiNSB_11use_defaultESD_SD_EEPNS0_10empty_typeENS0_5tupleIJPiSF_EEENSH_IJSI_SG_EEENS0_18inequality_wrapperIN6hipcub16HIPCUB_304000_NS8EqualityEEEPlJSF_EEE10hipError_tPvRmT3_T4_T5_T6_T7_T9_mT8_P12ihipStream_tbDpT10_ENKUlT_T0_E_clISt17integral_constantIbLb0EES19_IbLb1EEEEDaS15_S16_EUlS15_E_NS1_11comp_targetILNS1_3genE3ELNS1_11target_archE908ELNS1_3gpuE7ELNS1_3repE0EEENS1_30default_config_static_selectorELNS0_4arch9wavefront6targetE0EEEvT1_.kd
    .uniform_work_group_size: 1
    .uses_dynamic_stack: false
    .vgpr_count:     0
    .vgpr_spill_count: 0
    .wavefront_size: 32
  - .args:
      - .offset:         0
        .size:           128
        .value_kind:     by_value
    .group_segment_fixed_size: 0
    .kernarg_segment_align: 8
    .kernarg_segment_size: 128
    .language:       OpenCL C
    .language_version:
      - 2
      - 0
    .max_flat_workgroup_size: 256
    .name:           _ZN7rocprim17ROCPRIM_400000_NS6detail17trampoline_kernelINS0_14default_configENS1_25partition_config_selectorILNS1_17partition_subalgoE9EiibEEZZNS1_14partition_implILS5_9ELb0ES3_jPKiN6thrust23THRUST_200600_302600_NS17counting_iteratorIiNSB_11use_defaultESD_SD_EEPNS0_10empty_typeENS0_5tupleIJPiSF_EEENSH_IJSI_SG_EEENS0_18inequality_wrapperIN6hipcub16HIPCUB_304000_NS8EqualityEEEPlJSF_EEE10hipError_tPvRmT3_T4_T5_T6_T7_T9_mT8_P12ihipStream_tbDpT10_ENKUlT_T0_E_clISt17integral_constantIbLb0EES19_IbLb1EEEEDaS15_S16_EUlS15_E_NS1_11comp_targetILNS1_3genE2ELNS1_11target_archE906ELNS1_3gpuE6ELNS1_3repE0EEENS1_30default_config_static_selectorELNS0_4arch9wavefront6targetE0EEEvT1_
    .private_segment_fixed_size: 0
    .sgpr_count:     0
    .sgpr_spill_count: 0
    .symbol:         _ZN7rocprim17ROCPRIM_400000_NS6detail17trampoline_kernelINS0_14default_configENS1_25partition_config_selectorILNS1_17partition_subalgoE9EiibEEZZNS1_14partition_implILS5_9ELb0ES3_jPKiN6thrust23THRUST_200600_302600_NS17counting_iteratorIiNSB_11use_defaultESD_SD_EEPNS0_10empty_typeENS0_5tupleIJPiSF_EEENSH_IJSI_SG_EEENS0_18inequality_wrapperIN6hipcub16HIPCUB_304000_NS8EqualityEEEPlJSF_EEE10hipError_tPvRmT3_T4_T5_T6_T7_T9_mT8_P12ihipStream_tbDpT10_ENKUlT_T0_E_clISt17integral_constantIbLb0EES19_IbLb1EEEEDaS15_S16_EUlS15_E_NS1_11comp_targetILNS1_3genE2ELNS1_11target_archE906ELNS1_3gpuE6ELNS1_3repE0EEENS1_30default_config_static_selectorELNS0_4arch9wavefront6targetE0EEEvT1_.kd
    .uniform_work_group_size: 1
    .uses_dynamic_stack: false
    .vgpr_count:     0
    .vgpr_spill_count: 0
    .wavefront_size: 32
  - .args:
      - .offset:         0
        .size:           128
        .value_kind:     by_value
    .group_segment_fixed_size: 0
    .kernarg_segment_align: 8
    .kernarg_segment_size: 128
    .language:       OpenCL C
    .language_version:
      - 2
      - 0
    .max_flat_workgroup_size: 384
    .name:           _ZN7rocprim17ROCPRIM_400000_NS6detail17trampoline_kernelINS0_14default_configENS1_25partition_config_selectorILNS1_17partition_subalgoE9EiibEEZZNS1_14partition_implILS5_9ELb0ES3_jPKiN6thrust23THRUST_200600_302600_NS17counting_iteratorIiNSB_11use_defaultESD_SD_EEPNS0_10empty_typeENS0_5tupleIJPiSF_EEENSH_IJSI_SG_EEENS0_18inequality_wrapperIN6hipcub16HIPCUB_304000_NS8EqualityEEEPlJSF_EEE10hipError_tPvRmT3_T4_T5_T6_T7_T9_mT8_P12ihipStream_tbDpT10_ENKUlT_T0_E_clISt17integral_constantIbLb0EES19_IbLb1EEEEDaS15_S16_EUlS15_E_NS1_11comp_targetILNS1_3genE10ELNS1_11target_archE1200ELNS1_3gpuE4ELNS1_3repE0EEENS1_30default_config_static_selectorELNS0_4arch9wavefront6targetE0EEEvT1_
    .private_segment_fixed_size: 0
    .sgpr_count:     0
    .sgpr_spill_count: 0
    .symbol:         _ZN7rocprim17ROCPRIM_400000_NS6detail17trampoline_kernelINS0_14default_configENS1_25partition_config_selectorILNS1_17partition_subalgoE9EiibEEZZNS1_14partition_implILS5_9ELb0ES3_jPKiN6thrust23THRUST_200600_302600_NS17counting_iteratorIiNSB_11use_defaultESD_SD_EEPNS0_10empty_typeENS0_5tupleIJPiSF_EEENSH_IJSI_SG_EEENS0_18inequality_wrapperIN6hipcub16HIPCUB_304000_NS8EqualityEEEPlJSF_EEE10hipError_tPvRmT3_T4_T5_T6_T7_T9_mT8_P12ihipStream_tbDpT10_ENKUlT_T0_E_clISt17integral_constantIbLb0EES19_IbLb1EEEEDaS15_S16_EUlS15_E_NS1_11comp_targetILNS1_3genE10ELNS1_11target_archE1200ELNS1_3gpuE4ELNS1_3repE0EEENS1_30default_config_static_selectorELNS0_4arch9wavefront6targetE0EEEvT1_.kd
    .uniform_work_group_size: 1
    .uses_dynamic_stack: false
    .vgpr_count:     0
    .vgpr_spill_count: 0
    .wavefront_size: 32
  - .args:
      - .offset:         0
        .size:           128
        .value_kind:     by_value
    .group_segment_fixed_size: 0
    .kernarg_segment_align: 8
    .kernarg_segment_size: 128
    .language:       OpenCL C
    .language_version:
      - 2
      - 0
    .max_flat_workgroup_size: 384
    .name:           _ZN7rocprim17ROCPRIM_400000_NS6detail17trampoline_kernelINS0_14default_configENS1_25partition_config_selectorILNS1_17partition_subalgoE9EiibEEZZNS1_14partition_implILS5_9ELb0ES3_jPKiN6thrust23THRUST_200600_302600_NS17counting_iteratorIiNSB_11use_defaultESD_SD_EEPNS0_10empty_typeENS0_5tupleIJPiSF_EEENSH_IJSI_SG_EEENS0_18inequality_wrapperIN6hipcub16HIPCUB_304000_NS8EqualityEEEPlJSF_EEE10hipError_tPvRmT3_T4_T5_T6_T7_T9_mT8_P12ihipStream_tbDpT10_ENKUlT_T0_E_clISt17integral_constantIbLb0EES19_IbLb1EEEEDaS15_S16_EUlS15_E_NS1_11comp_targetILNS1_3genE9ELNS1_11target_archE1100ELNS1_3gpuE3ELNS1_3repE0EEENS1_30default_config_static_selectorELNS0_4arch9wavefront6targetE0EEEvT1_
    .private_segment_fixed_size: 0
    .sgpr_count:     0
    .sgpr_spill_count: 0
    .symbol:         _ZN7rocprim17ROCPRIM_400000_NS6detail17trampoline_kernelINS0_14default_configENS1_25partition_config_selectorILNS1_17partition_subalgoE9EiibEEZZNS1_14partition_implILS5_9ELb0ES3_jPKiN6thrust23THRUST_200600_302600_NS17counting_iteratorIiNSB_11use_defaultESD_SD_EEPNS0_10empty_typeENS0_5tupleIJPiSF_EEENSH_IJSI_SG_EEENS0_18inequality_wrapperIN6hipcub16HIPCUB_304000_NS8EqualityEEEPlJSF_EEE10hipError_tPvRmT3_T4_T5_T6_T7_T9_mT8_P12ihipStream_tbDpT10_ENKUlT_T0_E_clISt17integral_constantIbLb0EES19_IbLb1EEEEDaS15_S16_EUlS15_E_NS1_11comp_targetILNS1_3genE9ELNS1_11target_archE1100ELNS1_3gpuE3ELNS1_3repE0EEENS1_30default_config_static_selectorELNS0_4arch9wavefront6targetE0EEEvT1_.kd
    .uniform_work_group_size: 1
    .uses_dynamic_stack: false
    .vgpr_count:     0
    .vgpr_spill_count: 0
    .wavefront_size: 32
  - .args:
      - .offset:         0
        .size:           128
        .value_kind:     by_value
    .group_segment_fixed_size: 0
    .kernarg_segment_align: 8
    .kernarg_segment_size: 128
    .language:       OpenCL C
    .language_version:
      - 2
      - 0
    .max_flat_workgroup_size: 512
    .name:           _ZN7rocprim17ROCPRIM_400000_NS6detail17trampoline_kernelINS0_14default_configENS1_25partition_config_selectorILNS1_17partition_subalgoE9EiibEEZZNS1_14partition_implILS5_9ELb0ES3_jPKiN6thrust23THRUST_200600_302600_NS17counting_iteratorIiNSB_11use_defaultESD_SD_EEPNS0_10empty_typeENS0_5tupleIJPiSF_EEENSH_IJSI_SG_EEENS0_18inequality_wrapperIN6hipcub16HIPCUB_304000_NS8EqualityEEEPlJSF_EEE10hipError_tPvRmT3_T4_T5_T6_T7_T9_mT8_P12ihipStream_tbDpT10_ENKUlT_T0_E_clISt17integral_constantIbLb0EES19_IbLb1EEEEDaS15_S16_EUlS15_E_NS1_11comp_targetILNS1_3genE8ELNS1_11target_archE1030ELNS1_3gpuE2ELNS1_3repE0EEENS1_30default_config_static_selectorELNS0_4arch9wavefront6targetE0EEEvT1_
    .private_segment_fixed_size: 0
    .sgpr_count:     0
    .sgpr_spill_count: 0
    .symbol:         _ZN7rocprim17ROCPRIM_400000_NS6detail17trampoline_kernelINS0_14default_configENS1_25partition_config_selectorILNS1_17partition_subalgoE9EiibEEZZNS1_14partition_implILS5_9ELb0ES3_jPKiN6thrust23THRUST_200600_302600_NS17counting_iteratorIiNSB_11use_defaultESD_SD_EEPNS0_10empty_typeENS0_5tupleIJPiSF_EEENSH_IJSI_SG_EEENS0_18inequality_wrapperIN6hipcub16HIPCUB_304000_NS8EqualityEEEPlJSF_EEE10hipError_tPvRmT3_T4_T5_T6_T7_T9_mT8_P12ihipStream_tbDpT10_ENKUlT_T0_E_clISt17integral_constantIbLb0EES19_IbLb1EEEEDaS15_S16_EUlS15_E_NS1_11comp_targetILNS1_3genE8ELNS1_11target_archE1030ELNS1_3gpuE2ELNS1_3repE0EEENS1_30default_config_static_selectorELNS0_4arch9wavefront6targetE0EEEvT1_.kd
    .uniform_work_group_size: 1
    .uses_dynamic_stack: false
    .vgpr_count:     0
    .vgpr_spill_count: 0
    .wavefront_size: 32
  - .args:
      - .offset:         0
        .size:           112
        .value_kind:     by_value
    .group_segment_fixed_size: 5128
    .kernarg_segment_align: 8
    .kernarg_segment_size: 112
    .language:       OpenCL C
    .language_version:
      - 2
      - 0
    .max_flat_workgroup_size: 128
    .name:           _ZN7rocprim17ROCPRIM_400000_NS6detail17trampoline_kernelINS0_14default_configENS1_25partition_config_selectorILNS1_17partition_subalgoE9EllbEEZZNS1_14partition_implILS5_9ELb0ES3_jPKlN6thrust23THRUST_200600_302600_NS17counting_iteratorIlNSB_11use_defaultESD_SD_EEPNS0_10empty_typeENS0_5tupleIJPlSF_EEENSH_IJSI_SG_EEENS0_18inequality_wrapperIN6hipcub16HIPCUB_304000_NS8EqualityEEESI_JSF_EEE10hipError_tPvRmT3_T4_T5_T6_T7_T9_mT8_P12ihipStream_tbDpT10_ENKUlT_T0_E_clISt17integral_constantIbLb0EES19_EEDaS14_S15_EUlS14_E_NS1_11comp_targetILNS1_3genE0ELNS1_11target_archE4294967295ELNS1_3gpuE0ELNS1_3repE0EEENS1_30default_config_static_selectorELNS0_4arch9wavefront6targetE0EEEvT1_
    .private_segment_fixed_size: 0
    .sgpr_count:     26
    .sgpr_spill_count: 0
    .symbol:         _ZN7rocprim17ROCPRIM_400000_NS6detail17trampoline_kernelINS0_14default_configENS1_25partition_config_selectorILNS1_17partition_subalgoE9EllbEEZZNS1_14partition_implILS5_9ELb0ES3_jPKlN6thrust23THRUST_200600_302600_NS17counting_iteratorIlNSB_11use_defaultESD_SD_EEPNS0_10empty_typeENS0_5tupleIJPlSF_EEENSH_IJSI_SG_EEENS0_18inequality_wrapperIN6hipcub16HIPCUB_304000_NS8EqualityEEESI_JSF_EEE10hipError_tPvRmT3_T4_T5_T6_T7_T9_mT8_P12ihipStream_tbDpT10_ENKUlT_T0_E_clISt17integral_constantIbLb0EES19_EEDaS14_S15_EUlS14_E_NS1_11comp_targetILNS1_3genE0ELNS1_11target_archE4294967295ELNS1_3gpuE0ELNS1_3repE0EEENS1_30default_config_static_selectorELNS0_4arch9wavefront6targetE0EEEvT1_.kd
    .uniform_work_group_size: 1
    .uses_dynamic_stack: false
    .vgpr_count:     56
    .vgpr_spill_count: 0
    .wavefront_size: 32
  - .args:
      - .offset:         0
        .size:           112
        .value_kind:     by_value
    .group_segment_fixed_size: 0
    .kernarg_segment_align: 8
    .kernarg_segment_size: 112
    .language:       OpenCL C
    .language_version:
      - 2
      - 0
    .max_flat_workgroup_size: 512
    .name:           _ZN7rocprim17ROCPRIM_400000_NS6detail17trampoline_kernelINS0_14default_configENS1_25partition_config_selectorILNS1_17partition_subalgoE9EllbEEZZNS1_14partition_implILS5_9ELb0ES3_jPKlN6thrust23THRUST_200600_302600_NS17counting_iteratorIlNSB_11use_defaultESD_SD_EEPNS0_10empty_typeENS0_5tupleIJPlSF_EEENSH_IJSI_SG_EEENS0_18inequality_wrapperIN6hipcub16HIPCUB_304000_NS8EqualityEEESI_JSF_EEE10hipError_tPvRmT3_T4_T5_T6_T7_T9_mT8_P12ihipStream_tbDpT10_ENKUlT_T0_E_clISt17integral_constantIbLb0EES19_EEDaS14_S15_EUlS14_E_NS1_11comp_targetILNS1_3genE5ELNS1_11target_archE942ELNS1_3gpuE9ELNS1_3repE0EEENS1_30default_config_static_selectorELNS0_4arch9wavefront6targetE0EEEvT1_
    .private_segment_fixed_size: 0
    .sgpr_count:     0
    .sgpr_spill_count: 0
    .symbol:         _ZN7rocprim17ROCPRIM_400000_NS6detail17trampoline_kernelINS0_14default_configENS1_25partition_config_selectorILNS1_17partition_subalgoE9EllbEEZZNS1_14partition_implILS5_9ELb0ES3_jPKlN6thrust23THRUST_200600_302600_NS17counting_iteratorIlNSB_11use_defaultESD_SD_EEPNS0_10empty_typeENS0_5tupleIJPlSF_EEENSH_IJSI_SG_EEENS0_18inequality_wrapperIN6hipcub16HIPCUB_304000_NS8EqualityEEESI_JSF_EEE10hipError_tPvRmT3_T4_T5_T6_T7_T9_mT8_P12ihipStream_tbDpT10_ENKUlT_T0_E_clISt17integral_constantIbLb0EES19_EEDaS14_S15_EUlS14_E_NS1_11comp_targetILNS1_3genE5ELNS1_11target_archE942ELNS1_3gpuE9ELNS1_3repE0EEENS1_30default_config_static_selectorELNS0_4arch9wavefront6targetE0EEEvT1_.kd
    .uniform_work_group_size: 1
    .uses_dynamic_stack: false
    .vgpr_count:     0
    .vgpr_spill_count: 0
    .wavefront_size: 32
  - .args:
      - .offset:         0
        .size:           112
        .value_kind:     by_value
    .group_segment_fixed_size: 0
    .kernarg_segment_align: 8
    .kernarg_segment_size: 112
    .language:       OpenCL C
    .language_version:
      - 2
      - 0
    .max_flat_workgroup_size: 128
    .name:           _ZN7rocprim17ROCPRIM_400000_NS6detail17trampoline_kernelINS0_14default_configENS1_25partition_config_selectorILNS1_17partition_subalgoE9EllbEEZZNS1_14partition_implILS5_9ELb0ES3_jPKlN6thrust23THRUST_200600_302600_NS17counting_iteratorIlNSB_11use_defaultESD_SD_EEPNS0_10empty_typeENS0_5tupleIJPlSF_EEENSH_IJSI_SG_EEENS0_18inequality_wrapperIN6hipcub16HIPCUB_304000_NS8EqualityEEESI_JSF_EEE10hipError_tPvRmT3_T4_T5_T6_T7_T9_mT8_P12ihipStream_tbDpT10_ENKUlT_T0_E_clISt17integral_constantIbLb0EES19_EEDaS14_S15_EUlS14_E_NS1_11comp_targetILNS1_3genE4ELNS1_11target_archE910ELNS1_3gpuE8ELNS1_3repE0EEENS1_30default_config_static_selectorELNS0_4arch9wavefront6targetE0EEEvT1_
    .private_segment_fixed_size: 0
    .sgpr_count:     0
    .sgpr_spill_count: 0
    .symbol:         _ZN7rocprim17ROCPRIM_400000_NS6detail17trampoline_kernelINS0_14default_configENS1_25partition_config_selectorILNS1_17partition_subalgoE9EllbEEZZNS1_14partition_implILS5_9ELb0ES3_jPKlN6thrust23THRUST_200600_302600_NS17counting_iteratorIlNSB_11use_defaultESD_SD_EEPNS0_10empty_typeENS0_5tupleIJPlSF_EEENSH_IJSI_SG_EEENS0_18inequality_wrapperIN6hipcub16HIPCUB_304000_NS8EqualityEEESI_JSF_EEE10hipError_tPvRmT3_T4_T5_T6_T7_T9_mT8_P12ihipStream_tbDpT10_ENKUlT_T0_E_clISt17integral_constantIbLb0EES19_EEDaS14_S15_EUlS14_E_NS1_11comp_targetILNS1_3genE4ELNS1_11target_archE910ELNS1_3gpuE8ELNS1_3repE0EEENS1_30default_config_static_selectorELNS0_4arch9wavefront6targetE0EEEvT1_.kd
    .uniform_work_group_size: 1
    .uses_dynamic_stack: false
    .vgpr_count:     0
    .vgpr_spill_count: 0
    .wavefront_size: 32
  - .args:
      - .offset:         0
        .size:           112
        .value_kind:     by_value
    .group_segment_fixed_size: 0
    .kernarg_segment_align: 8
    .kernarg_segment_size: 112
    .language:       OpenCL C
    .language_version:
      - 2
      - 0
    .max_flat_workgroup_size: 128
    .name:           _ZN7rocprim17ROCPRIM_400000_NS6detail17trampoline_kernelINS0_14default_configENS1_25partition_config_selectorILNS1_17partition_subalgoE9EllbEEZZNS1_14partition_implILS5_9ELb0ES3_jPKlN6thrust23THRUST_200600_302600_NS17counting_iteratorIlNSB_11use_defaultESD_SD_EEPNS0_10empty_typeENS0_5tupleIJPlSF_EEENSH_IJSI_SG_EEENS0_18inequality_wrapperIN6hipcub16HIPCUB_304000_NS8EqualityEEESI_JSF_EEE10hipError_tPvRmT3_T4_T5_T6_T7_T9_mT8_P12ihipStream_tbDpT10_ENKUlT_T0_E_clISt17integral_constantIbLb0EES19_EEDaS14_S15_EUlS14_E_NS1_11comp_targetILNS1_3genE3ELNS1_11target_archE908ELNS1_3gpuE7ELNS1_3repE0EEENS1_30default_config_static_selectorELNS0_4arch9wavefront6targetE0EEEvT1_
    .private_segment_fixed_size: 0
    .sgpr_count:     0
    .sgpr_spill_count: 0
    .symbol:         _ZN7rocprim17ROCPRIM_400000_NS6detail17trampoline_kernelINS0_14default_configENS1_25partition_config_selectorILNS1_17partition_subalgoE9EllbEEZZNS1_14partition_implILS5_9ELb0ES3_jPKlN6thrust23THRUST_200600_302600_NS17counting_iteratorIlNSB_11use_defaultESD_SD_EEPNS0_10empty_typeENS0_5tupleIJPlSF_EEENSH_IJSI_SG_EEENS0_18inequality_wrapperIN6hipcub16HIPCUB_304000_NS8EqualityEEESI_JSF_EEE10hipError_tPvRmT3_T4_T5_T6_T7_T9_mT8_P12ihipStream_tbDpT10_ENKUlT_T0_E_clISt17integral_constantIbLb0EES19_EEDaS14_S15_EUlS14_E_NS1_11comp_targetILNS1_3genE3ELNS1_11target_archE908ELNS1_3gpuE7ELNS1_3repE0EEENS1_30default_config_static_selectorELNS0_4arch9wavefront6targetE0EEEvT1_.kd
    .uniform_work_group_size: 1
    .uses_dynamic_stack: false
    .vgpr_count:     0
    .vgpr_spill_count: 0
    .wavefront_size: 32
  - .args:
      - .offset:         0
        .size:           112
        .value_kind:     by_value
    .group_segment_fixed_size: 0
    .kernarg_segment_align: 8
    .kernarg_segment_size: 112
    .language:       OpenCL C
    .language_version:
      - 2
      - 0
    .max_flat_workgroup_size: 192
    .name:           _ZN7rocprim17ROCPRIM_400000_NS6detail17trampoline_kernelINS0_14default_configENS1_25partition_config_selectorILNS1_17partition_subalgoE9EllbEEZZNS1_14partition_implILS5_9ELb0ES3_jPKlN6thrust23THRUST_200600_302600_NS17counting_iteratorIlNSB_11use_defaultESD_SD_EEPNS0_10empty_typeENS0_5tupleIJPlSF_EEENSH_IJSI_SG_EEENS0_18inequality_wrapperIN6hipcub16HIPCUB_304000_NS8EqualityEEESI_JSF_EEE10hipError_tPvRmT3_T4_T5_T6_T7_T9_mT8_P12ihipStream_tbDpT10_ENKUlT_T0_E_clISt17integral_constantIbLb0EES19_EEDaS14_S15_EUlS14_E_NS1_11comp_targetILNS1_3genE2ELNS1_11target_archE906ELNS1_3gpuE6ELNS1_3repE0EEENS1_30default_config_static_selectorELNS0_4arch9wavefront6targetE0EEEvT1_
    .private_segment_fixed_size: 0
    .sgpr_count:     0
    .sgpr_spill_count: 0
    .symbol:         _ZN7rocprim17ROCPRIM_400000_NS6detail17trampoline_kernelINS0_14default_configENS1_25partition_config_selectorILNS1_17partition_subalgoE9EllbEEZZNS1_14partition_implILS5_9ELb0ES3_jPKlN6thrust23THRUST_200600_302600_NS17counting_iteratorIlNSB_11use_defaultESD_SD_EEPNS0_10empty_typeENS0_5tupleIJPlSF_EEENSH_IJSI_SG_EEENS0_18inequality_wrapperIN6hipcub16HIPCUB_304000_NS8EqualityEEESI_JSF_EEE10hipError_tPvRmT3_T4_T5_T6_T7_T9_mT8_P12ihipStream_tbDpT10_ENKUlT_T0_E_clISt17integral_constantIbLb0EES19_EEDaS14_S15_EUlS14_E_NS1_11comp_targetILNS1_3genE2ELNS1_11target_archE906ELNS1_3gpuE6ELNS1_3repE0EEENS1_30default_config_static_selectorELNS0_4arch9wavefront6targetE0EEEvT1_.kd
    .uniform_work_group_size: 1
    .uses_dynamic_stack: false
    .vgpr_count:     0
    .vgpr_spill_count: 0
    .wavefront_size: 32
  - .args:
      - .offset:         0
        .size:           112
        .value_kind:     by_value
    .group_segment_fixed_size: 0
    .kernarg_segment_align: 8
    .kernarg_segment_size: 112
    .language:       OpenCL C
    .language_version:
      - 2
      - 0
    .max_flat_workgroup_size: 384
    .name:           _ZN7rocprim17ROCPRIM_400000_NS6detail17trampoline_kernelINS0_14default_configENS1_25partition_config_selectorILNS1_17partition_subalgoE9EllbEEZZNS1_14partition_implILS5_9ELb0ES3_jPKlN6thrust23THRUST_200600_302600_NS17counting_iteratorIlNSB_11use_defaultESD_SD_EEPNS0_10empty_typeENS0_5tupleIJPlSF_EEENSH_IJSI_SG_EEENS0_18inequality_wrapperIN6hipcub16HIPCUB_304000_NS8EqualityEEESI_JSF_EEE10hipError_tPvRmT3_T4_T5_T6_T7_T9_mT8_P12ihipStream_tbDpT10_ENKUlT_T0_E_clISt17integral_constantIbLb0EES19_EEDaS14_S15_EUlS14_E_NS1_11comp_targetILNS1_3genE10ELNS1_11target_archE1200ELNS1_3gpuE4ELNS1_3repE0EEENS1_30default_config_static_selectorELNS0_4arch9wavefront6targetE0EEEvT1_
    .private_segment_fixed_size: 0
    .sgpr_count:     0
    .sgpr_spill_count: 0
    .symbol:         _ZN7rocprim17ROCPRIM_400000_NS6detail17trampoline_kernelINS0_14default_configENS1_25partition_config_selectorILNS1_17partition_subalgoE9EllbEEZZNS1_14partition_implILS5_9ELb0ES3_jPKlN6thrust23THRUST_200600_302600_NS17counting_iteratorIlNSB_11use_defaultESD_SD_EEPNS0_10empty_typeENS0_5tupleIJPlSF_EEENSH_IJSI_SG_EEENS0_18inequality_wrapperIN6hipcub16HIPCUB_304000_NS8EqualityEEESI_JSF_EEE10hipError_tPvRmT3_T4_T5_T6_T7_T9_mT8_P12ihipStream_tbDpT10_ENKUlT_T0_E_clISt17integral_constantIbLb0EES19_EEDaS14_S15_EUlS14_E_NS1_11comp_targetILNS1_3genE10ELNS1_11target_archE1200ELNS1_3gpuE4ELNS1_3repE0EEENS1_30default_config_static_selectorELNS0_4arch9wavefront6targetE0EEEvT1_.kd
    .uniform_work_group_size: 1
    .uses_dynamic_stack: false
    .vgpr_count:     0
    .vgpr_spill_count: 0
    .wavefront_size: 32
  - .args:
      - .offset:         0
        .size:           112
        .value_kind:     by_value
    .group_segment_fixed_size: 0
    .kernarg_segment_align: 8
    .kernarg_segment_size: 112
    .language:       OpenCL C
    .language_version:
      - 2
      - 0
    .max_flat_workgroup_size: 512
    .name:           _ZN7rocprim17ROCPRIM_400000_NS6detail17trampoline_kernelINS0_14default_configENS1_25partition_config_selectorILNS1_17partition_subalgoE9EllbEEZZNS1_14partition_implILS5_9ELb0ES3_jPKlN6thrust23THRUST_200600_302600_NS17counting_iteratorIlNSB_11use_defaultESD_SD_EEPNS0_10empty_typeENS0_5tupleIJPlSF_EEENSH_IJSI_SG_EEENS0_18inequality_wrapperIN6hipcub16HIPCUB_304000_NS8EqualityEEESI_JSF_EEE10hipError_tPvRmT3_T4_T5_T6_T7_T9_mT8_P12ihipStream_tbDpT10_ENKUlT_T0_E_clISt17integral_constantIbLb0EES19_EEDaS14_S15_EUlS14_E_NS1_11comp_targetILNS1_3genE9ELNS1_11target_archE1100ELNS1_3gpuE3ELNS1_3repE0EEENS1_30default_config_static_selectorELNS0_4arch9wavefront6targetE0EEEvT1_
    .private_segment_fixed_size: 0
    .sgpr_count:     0
    .sgpr_spill_count: 0
    .symbol:         _ZN7rocprim17ROCPRIM_400000_NS6detail17trampoline_kernelINS0_14default_configENS1_25partition_config_selectorILNS1_17partition_subalgoE9EllbEEZZNS1_14partition_implILS5_9ELb0ES3_jPKlN6thrust23THRUST_200600_302600_NS17counting_iteratorIlNSB_11use_defaultESD_SD_EEPNS0_10empty_typeENS0_5tupleIJPlSF_EEENSH_IJSI_SG_EEENS0_18inequality_wrapperIN6hipcub16HIPCUB_304000_NS8EqualityEEESI_JSF_EEE10hipError_tPvRmT3_T4_T5_T6_T7_T9_mT8_P12ihipStream_tbDpT10_ENKUlT_T0_E_clISt17integral_constantIbLb0EES19_EEDaS14_S15_EUlS14_E_NS1_11comp_targetILNS1_3genE9ELNS1_11target_archE1100ELNS1_3gpuE3ELNS1_3repE0EEENS1_30default_config_static_selectorELNS0_4arch9wavefront6targetE0EEEvT1_.kd
    .uniform_work_group_size: 1
    .uses_dynamic_stack: false
    .vgpr_count:     0
    .vgpr_spill_count: 0
    .wavefront_size: 32
  - .args:
      - .offset:         0
        .size:           112
        .value_kind:     by_value
    .group_segment_fixed_size: 0
    .kernarg_segment_align: 8
    .kernarg_segment_size: 112
    .language:       OpenCL C
    .language_version:
      - 2
      - 0
    .max_flat_workgroup_size: 512
    .name:           _ZN7rocprim17ROCPRIM_400000_NS6detail17trampoline_kernelINS0_14default_configENS1_25partition_config_selectorILNS1_17partition_subalgoE9EllbEEZZNS1_14partition_implILS5_9ELb0ES3_jPKlN6thrust23THRUST_200600_302600_NS17counting_iteratorIlNSB_11use_defaultESD_SD_EEPNS0_10empty_typeENS0_5tupleIJPlSF_EEENSH_IJSI_SG_EEENS0_18inequality_wrapperIN6hipcub16HIPCUB_304000_NS8EqualityEEESI_JSF_EEE10hipError_tPvRmT3_T4_T5_T6_T7_T9_mT8_P12ihipStream_tbDpT10_ENKUlT_T0_E_clISt17integral_constantIbLb0EES19_EEDaS14_S15_EUlS14_E_NS1_11comp_targetILNS1_3genE8ELNS1_11target_archE1030ELNS1_3gpuE2ELNS1_3repE0EEENS1_30default_config_static_selectorELNS0_4arch9wavefront6targetE0EEEvT1_
    .private_segment_fixed_size: 0
    .sgpr_count:     0
    .sgpr_spill_count: 0
    .symbol:         _ZN7rocprim17ROCPRIM_400000_NS6detail17trampoline_kernelINS0_14default_configENS1_25partition_config_selectorILNS1_17partition_subalgoE9EllbEEZZNS1_14partition_implILS5_9ELb0ES3_jPKlN6thrust23THRUST_200600_302600_NS17counting_iteratorIlNSB_11use_defaultESD_SD_EEPNS0_10empty_typeENS0_5tupleIJPlSF_EEENSH_IJSI_SG_EEENS0_18inequality_wrapperIN6hipcub16HIPCUB_304000_NS8EqualityEEESI_JSF_EEE10hipError_tPvRmT3_T4_T5_T6_T7_T9_mT8_P12ihipStream_tbDpT10_ENKUlT_T0_E_clISt17integral_constantIbLb0EES19_EEDaS14_S15_EUlS14_E_NS1_11comp_targetILNS1_3genE8ELNS1_11target_archE1030ELNS1_3gpuE2ELNS1_3repE0EEENS1_30default_config_static_selectorELNS0_4arch9wavefront6targetE0EEEvT1_.kd
    .uniform_work_group_size: 1
    .uses_dynamic_stack: false
    .vgpr_count:     0
    .vgpr_spill_count: 0
    .wavefront_size: 32
  - .args:
      - .offset:         0
        .size:           128
        .value_kind:     by_value
    .group_segment_fixed_size: 0
    .kernarg_segment_align: 8
    .kernarg_segment_size: 128
    .language:       OpenCL C
    .language_version:
      - 2
      - 0
    .max_flat_workgroup_size: 128
    .name:           _ZN7rocprim17ROCPRIM_400000_NS6detail17trampoline_kernelINS0_14default_configENS1_25partition_config_selectorILNS1_17partition_subalgoE9EllbEEZZNS1_14partition_implILS5_9ELb0ES3_jPKlN6thrust23THRUST_200600_302600_NS17counting_iteratorIlNSB_11use_defaultESD_SD_EEPNS0_10empty_typeENS0_5tupleIJPlSF_EEENSH_IJSI_SG_EEENS0_18inequality_wrapperIN6hipcub16HIPCUB_304000_NS8EqualityEEESI_JSF_EEE10hipError_tPvRmT3_T4_T5_T6_T7_T9_mT8_P12ihipStream_tbDpT10_ENKUlT_T0_E_clISt17integral_constantIbLb1EES19_EEDaS14_S15_EUlS14_E_NS1_11comp_targetILNS1_3genE0ELNS1_11target_archE4294967295ELNS1_3gpuE0ELNS1_3repE0EEENS1_30default_config_static_selectorELNS0_4arch9wavefront6targetE0EEEvT1_
    .private_segment_fixed_size: 0
    .sgpr_count:     0
    .sgpr_spill_count: 0
    .symbol:         _ZN7rocprim17ROCPRIM_400000_NS6detail17trampoline_kernelINS0_14default_configENS1_25partition_config_selectorILNS1_17partition_subalgoE9EllbEEZZNS1_14partition_implILS5_9ELb0ES3_jPKlN6thrust23THRUST_200600_302600_NS17counting_iteratorIlNSB_11use_defaultESD_SD_EEPNS0_10empty_typeENS0_5tupleIJPlSF_EEENSH_IJSI_SG_EEENS0_18inequality_wrapperIN6hipcub16HIPCUB_304000_NS8EqualityEEESI_JSF_EEE10hipError_tPvRmT3_T4_T5_T6_T7_T9_mT8_P12ihipStream_tbDpT10_ENKUlT_T0_E_clISt17integral_constantIbLb1EES19_EEDaS14_S15_EUlS14_E_NS1_11comp_targetILNS1_3genE0ELNS1_11target_archE4294967295ELNS1_3gpuE0ELNS1_3repE0EEENS1_30default_config_static_selectorELNS0_4arch9wavefront6targetE0EEEvT1_.kd
    .uniform_work_group_size: 1
    .uses_dynamic_stack: false
    .vgpr_count:     0
    .vgpr_spill_count: 0
    .wavefront_size: 32
  - .args:
      - .offset:         0
        .size:           128
        .value_kind:     by_value
    .group_segment_fixed_size: 0
    .kernarg_segment_align: 8
    .kernarg_segment_size: 128
    .language:       OpenCL C
    .language_version:
      - 2
      - 0
    .max_flat_workgroup_size: 512
    .name:           _ZN7rocprim17ROCPRIM_400000_NS6detail17trampoline_kernelINS0_14default_configENS1_25partition_config_selectorILNS1_17partition_subalgoE9EllbEEZZNS1_14partition_implILS5_9ELb0ES3_jPKlN6thrust23THRUST_200600_302600_NS17counting_iteratorIlNSB_11use_defaultESD_SD_EEPNS0_10empty_typeENS0_5tupleIJPlSF_EEENSH_IJSI_SG_EEENS0_18inequality_wrapperIN6hipcub16HIPCUB_304000_NS8EqualityEEESI_JSF_EEE10hipError_tPvRmT3_T4_T5_T6_T7_T9_mT8_P12ihipStream_tbDpT10_ENKUlT_T0_E_clISt17integral_constantIbLb1EES19_EEDaS14_S15_EUlS14_E_NS1_11comp_targetILNS1_3genE5ELNS1_11target_archE942ELNS1_3gpuE9ELNS1_3repE0EEENS1_30default_config_static_selectorELNS0_4arch9wavefront6targetE0EEEvT1_
    .private_segment_fixed_size: 0
    .sgpr_count:     0
    .sgpr_spill_count: 0
    .symbol:         _ZN7rocprim17ROCPRIM_400000_NS6detail17trampoline_kernelINS0_14default_configENS1_25partition_config_selectorILNS1_17partition_subalgoE9EllbEEZZNS1_14partition_implILS5_9ELb0ES3_jPKlN6thrust23THRUST_200600_302600_NS17counting_iteratorIlNSB_11use_defaultESD_SD_EEPNS0_10empty_typeENS0_5tupleIJPlSF_EEENSH_IJSI_SG_EEENS0_18inequality_wrapperIN6hipcub16HIPCUB_304000_NS8EqualityEEESI_JSF_EEE10hipError_tPvRmT3_T4_T5_T6_T7_T9_mT8_P12ihipStream_tbDpT10_ENKUlT_T0_E_clISt17integral_constantIbLb1EES19_EEDaS14_S15_EUlS14_E_NS1_11comp_targetILNS1_3genE5ELNS1_11target_archE942ELNS1_3gpuE9ELNS1_3repE0EEENS1_30default_config_static_selectorELNS0_4arch9wavefront6targetE0EEEvT1_.kd
    .uniform_work_group_size: 1
    .uses_dynamic_stack: false
    .vgpr_count:     0
    .vgpr_spill_count: 0
    .wavefront_size: 32
  - .args:
      - .offset:         0
        .size:           128
        .value_kind:     by_value
    .group_segment_fixed_size: 0
    .kernarg_segment_align: 8
    .kernarg_segment_size: 128
    .language:       OpenCL C
    .language_version:
      - 2
      - 0
    .max_flat_workgroup_size: 128
    .name:           _ZN7rocprim17ROCPRIM_400000_NS6detail17trampoline_kernelINS0_14default_configENS1_25partition_config_selectorILNS1_17partition_subalgoE9EllbEEZZNS1_14partition_implILS5_9ELb0ES3_jPKlN6thrust23THRUST_200600_302600_NS17counting_iteratorIlNSB_11use_defaultESD_SD_EEPNS0_10empty_typeENS0_5tupleIJPlSF_EEENSH_IJSI_SG_EEENS0_18inequality_wrapperIN6hipcub16HIPCUB_304000_NS8EqualityEEESI_JSF_EEE10hipError_tPvRmT3_T4_T5_T6_T7_T9_mT8_P12ihipStream_tbDpT10_ENKUlT_T0_E_clISt17integral_constantIbLb1EES19_EEDaS14_S15_EUlS14_E_NS1_11comp_targetILNS1_3genE4ELNS1_11target_archE910ELNS1_3gpuE8ELNS1_3repE0EEENS1_30default_config_static_selectorELNS0_4arch9wavefront6targetE0EEEvT1_
    .private_segment_fixed_size: 0
    .sgpr_count:     0
    .sgpr_spill_count: 0
    .symbol:         _ZN7rocprim17ROCPRIM_400000_NS6detail17trampoline_kernelINS0_14default_configENS1_25partition_config_selectorILNS1_17partition_subalgoE9EllbEEZZNS1_14partition_implILS5_9ELb0ES3_jPKlN6thrust23THRUST_200600_302600_NS17counting_iteratorIlNSB_11use_defaultESD_SD_EEPNS0_10empty_typeENS0_5tupleIJPlSF_EEENSH_IJSI_SG_EEENS0_18inequality_wrapperIN6hipcub16HIPCUB_304000_NS8EqualityEEESI_JSF_EEE10hipError_tPvRmT3_T4_T5_T6_T7_T9_mT8_P12ihipStream_tbDpT10_ENKUlT_T0_E_clISt17integral_constantIbLb1EES19_EEDaS14_S15_EUlS14_E_NS1_11comp_targetILNS1_3genE4ELNS1_11target_archE910ELNS1_3gpuE8ELNS1_3repE0EEENS1_30default_config_static_selectorELNS0_4arch9wavefront6targetE0EEEvT1_.kd
    .uniform_work_group_size: 1
    .uses_dynamic_stack: false
    .vgpr_count:     0
    .vgpr_spill_count: 0
    .wavefront_size: 32
  - .args:
      - .offset:         0
        .size:           128
        .value_kind:     by_value
    .group_segment_fixed_size: 0
    .kernarg_segment_align: 8
    .kernarg_segment_size: 128
    .language:       OpenCL C
    .language_version:
      - 2
      - 0
    .max_flat_workgroup_size: 128
    .name:           _ZN7rocprim17ROCPRIM_400000_NS6detail17trampoline_kernelINS0_14default_configENS1_25partition_config_selectorILNS1_17partition_subalgoE9EllbEEZZNS1_14partition_implILS5_9ELb0ES3_jPKlN6thrust23THRUST_200600_302600_NS17counting_iteratorIlNSB_11use_defaultESD_SD_EEPNS0_10empty_typeENS0_5tupleIJPlSF_EEENSH_IJSI_SG_EEENS0_18inequality_wrapperIN6hipcub16HIPCUB_304000_NS8EqualityEEESI_JSF_EEE10hipError_tPvRmT3_T4_T5_T6_T7_T9_mT8_P12ihipStream_tbDpT10_ENKUlT_T0_E_clISt17integral_constantIbLb1EES19_EEDaS14_S15_EUlS14_E_NS1_11comp_targetILNS1_3genE3ELNS1_11target_archE908ELNS1_3gpuE7ELNS1_3repE0EEENS1_30default_config_static_selectorELNS0_4arch9wavefront6targetE0EEEvT1_
    .private_segment_fixed_size: 0
    .sgpr_count:     0
    .sgpr_spill_count: 0
    .symbol:         _ZN7rocprim17ROCPRIM_400000_NS6detail17trampoline_kernelINS0_14default_configENS1_25partition_config_selectorILNS1_17partition_subalgoE9EllbEEZZNS1_14partition_implILS5_9ELb0ES3_jPKlN6thrust23THRUST_200600_302600_NS17counting_iteratorIlNSB_11use_defaultESD_SD_EEPNS0_10empty_typeENS0_5tupleIJPlSF_EEENSH_IJSI_SG_EEENS0_18inequality_wrapperIN6hipcub16HIPCUB_304000_NS8EqualityEEESI_JSF_EEE10hipError_tPvRmT3_T4_T5_T6_T7_T9_mT8_P12ihipStream_tbDpT10_ENKUlT_T0_E_clISt17integral_constantIbLb1EES19_EEDaS14_S15_EUlS14_E_NS1_11comp_targetILNS1_3genE3ELNS1_11target_archE908ELNS1_3gpuE7ELNS1_3repE0EEENS1_30default_config_static_selectorELNS0_4arch9wavefront6targetE0EEEvT1_.kd
    .uniform_work_group_size: 1
    .uses_dynamic_stack: false
    .vgpr_count:     0
    .vgpr_spill_count: 0
    .wavefront_size: 32
  - .args:
      - .offset:         0
        .size:           128
        .value_kind:     by_value
    .group_segment_fixed_size: 0
    .kernarg_segment_align: 8
    .kernarg_segment_size: 128
    .language:       OpenCL C
    .language_version:
      - 2
      - 0
    .max_flat_workgroup_size: 192
    .name:           _ZN7rocprim17ROCPRIM_400000_NS6detail17trampoline_kernelINS0_14default_configENS1_25partition_config_selectorILNS1_17partition_subalgoE9EllbEEZZNS1_14partition_implILS5_9ELb0ES3_jPKlN6thrust23THRUST_200600_302600_NS17counting_iteratorIlNSB_11use_defaultESD_SD_EEPNS0_10empty_typeENS0_5tupleIJPlSF_EEENSH_IJSI_SG_EEENS0_18inequality_wrapperIN6hipcub16HIPCUB_304000_NS8EqualityEEESI_JSF_EEE10hipError_tPvRmT3_T4_T5_T6_T7_T9_mT8_P12ihipStream_tbDpT10_ENKUlT_T0_E_clISt17integral_constantIbLb1EES19_EEDaS14_S15_EUlS14_E_NS1_11comp_targetILNS1_3genE2ELNS1_11target_archE906ELNS1_3gpuE6ELNS1_3repE0EEENS1_30default_config_static_selectorELNS0_4arch9wavefront6targetE0EEEvT1_
    .private_segment_fixed_size: 0
    .sgpr_count:     0
    .sgpr_spill_count: 0
    .symbol:         _ZN7rocprim17ROCPRIM_400000_NS6detail17trampoline_kernelINS0_14default_configENS1_25partition_config_selectorILNS1_17partition_subalgoE9EllbEEZZNS1_14partition_implILS5_9ELb0ES3_jPKlN6thrust23THRUST_200600_302600_NS17counting_iteratorIlNSB_11use_defaultESD_SD_EEPNS0_10empty_typeENS0_5tupleIJPlSF_EEENSH_IJSI_SG_EEENS0_18inequality_wrapperIN6hipcub16HIPCUB_304000_NS8EqualityEEESI_JSF_EEE10hipError_tPvRmT3_T4_T5_T6_T7_T9_mT8_P12ihipStream_tbDpT10_ENKUlT_T0_E_clISt17integral_constantIbLb1EES19_EEDaS14_S15_EUlS14_E_NS1_11comp_targetILNS1_3genE2ELNS1_11target_archE906ELNS1_3gpuE6ELNS1_3repE0EEENS1_30default_config_static_selectorELNS0_4arch9wavefront6targetE0EEEvT1_.kd
    .uniform_work_group_size: 1
    .uses_dynamic_stack: false
    .vgpr_count:     0
    .vgpr_spill_count: 0
    .wavefront_size: 32
  - .args:
      - .offset:         0
        .size:           128
        .value_kind:     by_value
    .group_segment_fixed_size: 0
    .kernarg_segment_align: 8
    .kernarg_segment_size: 128
    .language:       OpenCL C
    .language_version:
      - 2
      - 0
    .max_flat_workgroup_size: 384
    .name:           _ZN7rocprim17ROCPRIM_400000_NS6detail17trampoline_kernelINS0_14default_configENS1_25partition_config_selectorILNS1_17partition_subalgoE9EllbEEZZNS1_14partition_implILS5_9ELb0ES3_jPKlN6thrust23THRUST_200600_302600_NS17counting_iteratorIlNSB_11use_defaultESD_SD_EEPNS0_10empty_typeENS0_5tupleIJPlSF_EEENSH_IJSI_SG_EEENS0_18inequality_wrapperIN6hipcub16HIPCUB_304000_NS8EqualityEEESI_JSF_EEE10hipError_tPvRmT3_T4_T5_T6_T7_T9_mT8_P12ihipStream_tbDpT10_ENKUlT_T0_E_clISt17integral_constantIbLb1EES19_EEDaS14_S15_EUlS14_E_NS1_11comp_targetILNS1_3genE10ELNS1_11target_archE1200ELNS1_3gpuE4ELNS1_3repE0EEENS1_30default_config_static_selectorELNS0_4arch9wavefront6targetE0EEEvT1_
    .private_segment_fixed_size: 0
    .sgpr_count:     0
    .sgpr_spill_count: 0
    .symbol:         _ZN7rocprim17ROCPRIM_400000_NS6detail17trampoline_kernelINS0_14default_configENS1_25partition_config_selectorILNS1_17partition_subalgoE9EllbEEZZNS1_14partition_implILS5_9ELb0ES3_jPKlN6thrust23THRUST_200600_302600_NS17counting_iteratorIlNSB_11use_defaultESD_SD_EEPNS0_10empty_typeENS0_5tupleIJPlSF_EEENSH_IJSI_SG_EEENS0_18inequality_wrapperIN6hipcub16HIPCUB_304000_NS8EqualityEEESI_JSF_EEE10hipError_tPvRmT3_T4_T5_T6_T7_T9_mT8_P12ihipStream_tbDpT10_ENKUlT_T0_E_clISt17integral_constantIbLb1EES19_EEDaS14_S15_EUlS14_E_NS1_11comp_targetILNS1_3genE10ELNS1_11target_archE1200ELNS1_3gpuE4ELNS1_3repE0EEENS1_30default_config_static_selectorELNS0_4arch9wavefront6targetE0EEEvT1_.kd
    .uniform_work_group_size: 1
    .uses_dynamic_stack: false
    .vgpr_count:     0
    .vgpr_spill_count: 0
    .wavefront_size: 32
  - .args:
      - .offset:         0
        .size:           128
        .value_kind:     by_value
    .group_segment_fixed_size: 0
    .kernarg_segment_align: 8
    .kernarg_segment_size: 128
    .language:       OpenCL C
    .language_version:
      - 2
      - 0
    .max_flat_workgroup_size: 512
    .name:           _ZN7rocprim17ROCPRIM_400000_NS6detail17trampoline_kernelINS0_14default_configENS1_25partition_config_selectorILNS1_17partition_subalgoE9EllbEEZZNS1_14partition_implILS5_9ELb0ES3_jPKlN6thrust23THRUST_200600_302600_NS17counting_iteratorIlNSB_11use_defaultESD_SD_EEPNS0_10empty_typeENS0_5tupleIJPlSF_EEENSH_IJSI_SG_EEENS0_18inequality_wrapperIN6hipcub16HIPCUB_304000_NS8EqualityEEESI_JSF_EEE10hipError_tPvRmT3_T4_T5_T6_T7_T9_mT8_P12ihipStream_tbDpT10_ENKUlT_T0_E_clISt17integral_constantIbLb1EES19_EEDaS14_S15_EUlS14_E_NS1_11comp_targetILNS1_3genE9ELNS1_11target_archE1100ELNS1_3gpuE3ELNS1_3repE0EEENS1_30default_config_static_selectorELNS0_4arch9wavefront6targetE0EEEvT1_
    .private_segment_fixed_size: 0
    .sgpr_count:     0
    .sgpr_spill_count: 0
    .symbol:         _ZN7rocprim17ROCPRIM_400000_NS6detail17trampoline_kernelINS0_14default_configENS1_25partition_config_selectorILNS1_17partition_subalgoE9EllbEEZZNS1_14partition_implILS5_9ELb0ES3_jPKlN6thrust23THRUST_200600_302600_NS17counting_iteratorIlNSB_11use_defaultESD_SD_EEPNS0_10empty_typeENS0_5tupleIJPlSF_EEENSH_IJSI_SG_EEENS0_18inequality_wrapperIN6hipcub16HIPCUB_304000_NS8EqualityEEESI_JSF_EEE10hipError_tPvRmT3_T4_T5_T6_T7_T9_mT8_P12ihipStream_tbDpT10_ENKUlT_T0_E_clISt17integral_constantIbLb1EES19_EEDaS14_S15_EUlS14_E_NS1_11comp_targetILNS1_3genE9ELNS1_11target_archE1100ELNS1_3gpuE3ELNS1_3repE0EEENS1_30default_config_static_selectorELNS0_4arch9wavefront6targetE0EEEvT1_.kd
    .uniform_work_group_size: 1
    .uses_dynamic_stack: false
    .vgpr_count:     0
    .vgpr_spill_count: 0
    .wavefront_size: 32
  - .args:
      - .offset:         0
        .size:           128
        .value_kind:     by_value
    .group_segment_fixed_size: 0
    .kernarg_segment_align: 8
    .kernarg_segment_size: 128
    .language:       OpenCL C
    .language_version:
      - 2
      - 0
    .max_flat_workgroup_size: 512
    .name:           _ZN7rocprim17ROCPRIM_400000_NS6detail17trampoline_kernelINS0_14default_configENS1_25partition_config_selectorILNS1_17partition_subalgoE9EllbEEZZNS1_14partition_implILS5_9ELb0ES3_jPKlN6thrust23THRUST_200600_302600_NS17counting_iteratorIlNSB_11use_defaultESD_SD_EEPNS0_10empty_typeENS0_5tupleIJPlSF_EEENSH_IJSI_SG_EEENS0_18inequality_wrapperIN6hipcub16HIPCUB_304000_NS8EqualityEEESI_JSF_EEE10hipError_tPvRmT3_T4_T5_T6_T7_T9_mT8_P12ihipStream_tbDpT10_ENKUlT_T0_E_clISt17integral_constantIbLb1EES19_EEDaS14_S15_EUlS14_E_NS1_11comp_targetILNS1_3genE8ELNS1_11target_archE1030ELNS1_3gpuE2ELNS1_3repE0EEENS1_30default_config_static_selectorELNS0_4arch9wavefront6targetE0EEEvT1_
    .private_segment_fixed_size: 0
    .sgpr_count:     0
    .sgpr_spill_count: 0
    .symbol:         _ZN7rocprim17ROCPRIM_400000_NS6detail17trampoline_kernelINS0_14default_configENS1_25partition_config_selectorILNS1_17partition_subalgoE9EllbEEZZNS1_14partition_implILS5_9ELb0ES3_jPKlN6thrust23THRUST_200600_302600_NS17counting_iteratorIlNSB_11use_defaultESD_SD_EEPNS0_10empty_typeENS0_5tupleIJPlSF_EEENSH_IJSI_SG_EEENS0_18inequality_wrapperIN6hipcub16HIPCUB_304000_NS8EqualityEEESI_JSF_EEE10hipError_tPvRmT3_T4_T5_T6_T7_T9_mT8_P12ihipStream_tbDpT10_ENKUlT_T0_E_clISt17integral_constantIbLb1EES19_EEDaS14_S15_EUlS14_E_NS1_11comp_targetILNS1_3genE8ELNS1_11target_archE1030ELNS1_3gpuE2ELNS1_3repE0EEENS1_30default_config_static_selectorELNS0_4arch9wavefront6targetE0EEEvT1_.kd
    .uniform_work_group_size: 1
    .uses_dynamic_stack: false
    .vgpr_count:     0
    .vgpr_spill_count: 0
    .wavefront_size: 32
  - .args:
      - .offset:         0
        .size:           112
        .value_kind:     by_value
    .group_segment_fixed_size: 0
    .kernarg_segment_align: 8
    .kernarg_segment_size: 112
    .language:       OpenCL C
    .language_version:
      - 2
      - 0
    .max_flat_workgroup_size: 128
    .name:           _ZN7rocprim17ROCPRIM_400000_NS6detail17trampoline_kernelINS0_14default_configENS1_25partition_config_selectorILNS1_17partition_subalgoE9EllbEEZZNS1_14partition_implILS5_9ELb0ES3_jPKlN6thrust23THRUST_200600_302600_NS17counting_iteratorIlNSB_11use_defaultESD_SD_EEPNS0_10empty_typeENS0_5tupleIJPlSF_EEENSH_IJSI_SG_EEENS0_18inequality_wrapperIN6hipcub16HIPCUB_304000_NS8EqualityEEESI_JSF_EEE10hipError_tPvRmT3_T4_T5_T6_T7_T9_mT8_P12ihipStream_tbDpT10_ENKUlT_T0_E_clISt17integral_constantIbLb1EES18_IbLb0EEEEDaS14_S15_EUlS14_E_NS1_11comp_targetILNS1_3genE0ELNS1_11target_archE4294967295ELNS1_3gpuE0ELNS1_3repE0EEENS1_30default_config_static_selectorELNS0_4arch9wavefront6targetE0EEEvT1_
    .private_segment_fixed_size: 0
    .sgpr_count:     0
    .sgpr_spill_count: 0
    .symbol:         _ZN7rocprim17ROCPRIM_400000_NS6detail17trampoline_kernelINS0_14default_configENS1_25partition_config_selectorILNS1_17partition_subalgoE9EllbEEZZNS1_14partition_implILS5_9ELb0ES3_jPKlN6thrust23THRUST_200600_302600_NS17counting_iteratorIlNSB_11use_defaultESD_SD_EEPNS0_10empty_typeENS0_5tupleIJPlSF_EEENSH_IJSI_SG_EEENS0_18inequality_wrapperIN6hipcub16HIPCUB_304000_NS8EqualityEEESI_JSF_EEE10hipError_tPvRmT3_T4_T5_T6_T7_T9_mT8_P12ihipStream_tbDpT10_ENKUlT_T0_E_clISt17integral_constantIbLb1EES18_IbLb0EEEEDaS14_S15_EUlS14_E_NS1_11comp_targetILNS1_3genE0ELNS1_11target_archE4294967295ELNS1_3gpuE0ELNS1_3repE0EEENS1_30default_config_static_selectorELNS0_4arch9wavefront6targetE0EEEvT1_.kd
    .uniform_work_group_size: 1
    .uses_dynamic_stack: false
    .vgpr_count:     0
    .vgpr_spill_count: 0
    .wavefront_size: 32
  - .args:
      - .offset:         0
        .size:           112
        .value_kind:     by_value
    .group_segment_fixed_size: 0
    .kernarg_segment_align: 8
    .kernarg_segment_size: 112
    .language:       OpenCL C
    .language_version:
      - 2
      - 0
    .max_flat_workgroup_size: 512
    .name:           _ZN7rocprim17ROCPRIM_400000_NS6detail17trampoline_kernelINS0_14default_configENS1_25partition_config_selectorILNS1_17partition_subalgoE9EllbEEZZNS1_14partition_implILS5_9ELb0ES3_jPKlN6thrust23THRUST_200600_302600_NS17counting_iteratorIlNSB_11use_defaultESD_SD_EEPNS0_10empty_typeENS0_5tupleIJPlSF_EEENSH_IJSI_SG_EEENS0_18inequality_wrapperIN6hipcub16HIPCUB_304000_NS8EqualityEEESI_JSF_EEE10hipError_tPvRmT3_T4_T5_T6_T7_T9_mT8_P12ihipStream_tbDpT10_ENKUlT_T0_E_clISt17integral_constantIbLb1EES18_IbLb0EEEEDaS14_S15_EUlS14_E_NS1_11comp_targetILNS1_3genE5ELNS1_11target_archE942ELNS1_3gpuE9ELNS1_3repE0EEENS1_30default_config_static_selectorELNS0_4arch9wavefront6targetE0EEEvT1_
    .private_segment_fixed_size: 0
    .sgpr_count:     0
    .sgpr_spill_count: 0
    .symbol:         _ZN7rocprim17ROCPRIM_400000_NS6detail17trampoline_kernelINS0_14default_configENS1_25partition_config_selectorILNS1_17partition_subalgoE9EllbEEZZNS1_14partition_implILS5_9ELb0ES3_jPKlN6thrust23THRUST_200600_302600_NS17counting_iteratorIlNSB_11use_defaultESD_SD_EEPNS0_10empty_typeENS0_5tupleIJPlSF_EEENSH_IJSI_SG_EEENS0_18inequality_wrapperIN6hipcub16HIPCUB_304000_NS8EqualityEEESI_JSF_EEE10hipError_tPvRmT3_T4_T5_T6_T7_T9_mT8_P12ihipStream_tbDpT10_ENKUlT_T0_E_clISt17integral_constantIbLb1EES18_IbLb0EEEEDaS14_S15_EUlS14_E_NS1_11comp_targetILNS1_3genE5ELNS1_11target_archE942ELNS1_3gpuE9ELNS1_3repE0EEENS1_30default_config_static_selectorELNS0_4arch9wavefront6targetE0EEEvT1_.kd
    .uniform_work_group_size: 1
    .uses_dynamic_stack: false
    .vgpr_count:     0
    .vgpr_spill_count: 0
    .wavefront_size: 32
  - .args:
      - .offset:         0
        .size:           112
        .value_kind:     by_value
    .group_segment_fixed_size: 0
    .kernarg_segment_align: 8
    .kernarg_segment_size: 112
    .language:       OpenCL C
    .language_version:
      - 2
      - 0
    .max_flat_workgroup_size: 128
    .name:           _ZN7rocprim17ROCPRIM_400000_NS6detail17trampoline_kernelINS0_14default_configENS1_25partition_config_selectorILNS1_17partition_subalgoE9EllbEEZZNS1_14partition_implILS5_9ELb0ES3_jPKlN6thrust23THRUST_200600_302600_NS17counting_iteratorIlNSB_11use_defaultESD_SD_EEPNS0_10empty_typeENS0_5tupleIJPlSF_EEENSH_IJSI_SG_EEENS0_18inequality_wrapperIN6hipcub16HIPCUB_304000_NS8EqualityEEESI_JSF_EEE10hipError_tPvRmT3_T4_T5_T6_T7_T9_mT8_P12ihipStream_tbDpT10_ENKUlT_T0_E_clISt17integral_constantIbLb1EES18_IbLb0EEEEDaS14_S15_EUlS14_E_NS1_11comp_targetILNS1_3genE4ELNS1_11target_archE910ELNS1_3gpuE8ELNS1_3repE0EEENS1_30default_config_static_selectorELNS0_4arch9wavefront6targetE0EEEvT1_
    .private_segment_fixed_size: 0
    .sgpr_count:     0
    .sgpr_spill_count: 0
    .symbol:         _ZN7rocprim17ROCPRIM_400000_NS6detail17trampoline_kernelINS0_14default_configENS1_25partition_config_selectorILNS1_17partition_subalgoE9EllbEEZZNS1_14partition_implILS5_9ELb0ES3_jPKlN6thrust23THRUST_200600_302600_NS17counting_iteratorIlNSB_11use_defaultESD_SD_EEPNS0_10empty_typeENS0_5tupleIJPlSF_EEENSH_IJSI_SG_EEENS0_18inequality_wrapperIN6hipcub16HIPCUB_304000_NS8EqualityEEESI_JSF_EEE10hipError_tPvRmT3_T4_T5_T6_T7_T9_mT8_P12ihipStream_tbDpT10_ENKUlT_T0_E_clISt17integral_constantIbLb1EES18_IbLb0EEEEDaS14_S15_EUlS14_E_NS1_11comp_targetILNS1_3genE4ELNS1_11target_archE910ELNS1_3gpuE8ELNS1_3repE0EEENS1_30default_config_static_selectorELNS0_4arch9wavefront6targetE0EEEvT1_.kd
    .uniform_work_group_size: 1
    .uses_dynamic_stack: false
    .vgpr_count:     0
    .vgpr_spill_count: 0
    .wavefront_size: 32
  - .args:
      - .offset:         0
        .size:           112
        .value_kind:     by_value
    .group_segment_fixed_size: 0
    .kernarg_segment_align: 8
    .kernarg_segment_size: 112
    .language:       OpenCL C
    .language_version:
      - 2
      - 0
    .max_flat_workgroup_size: 128
    .name:           _ZN7rocprim17ROCPRIM_400000_NS6detail17trampoline_kernelINS0_14default_configENS1_25partition_config_selectorILNS1_17partition_subalgoE9EllbEEZZNS1_14partition_implILS5_9ELb0ES3_jPKlN6thrust23THRUST_200600_302600_NS17counting_iteratorIlNSB_11use_defaultESD_SD_EEPNS0_10empty_typeENS0_5tupleIJPlSF_EEENSH_IJSI_SG_EEENS0_18inequality_wrapperIN6hipcub16HIPCUB_304000_NS8EqualityEEESI_JSF_EEE10hipError_tPvRmT3_T4_T5_T6_T7_T9_mT8_P12ihipStream_tbDpT10_ENKUlT_T0_E_clISt17integral_constantIbLb1EES18_IbLb0EEEEDaS14_S15_EUlS14_E_NS1_11comp_targetILNS1_3genE3ELNS1_11target_archE908ELNS1_3gpuE7ELNS1_3repE0EEENS1_30default_config_static_selectorELNS0_4arch9wavefront6targetE0EEEvT1_
    .private_segment_fixed_size: 0
    .sgpr_count:     0
    .sgpr_spill_count: 0
    .symbol:         _ZN7rocprim17ROCPRIM_400000_NS6detail17trampoline_kernelINS0_14default_configENS1_25partition_config_selectorILNS1_17partition_subalgoE9EllbEEZZNS1_14partition_implILS5_9ELb0ES3_jPKlN6thrust23THRUST_200600_302600_NS17counting_iteratorIlNSB_11use_defaultESD_SD_EEPNS0_10empty_typeENS0_5tupleIJPlSF_EEENSH_IJSI_SG_EEENS0_18inequality_wrapperIN6hipcub16HIPCUB_304000_NS8EqualityEEESI_JSF_EEE10hipError_tPvRmT3_T4_T5_T6_T7_T9_mT8_P12ihipStream_tbDpT10_ENKUlT_T0_E_clISt17integral_constantIbLb1EES18_IbLb0EEEEDaS14_S15_EUlS14_E_NS1_11comp_targetILNS1_3genE3ELNS1_11target_archE908ELNS1_3gpuE7ELNS1_3repE0EEENS1_30default_config_static_selectorELNS0_4arch9wavefront6targetE0EEEvT1_.kd
    .uniform_work_group_size: 1
    .uses_dynamic_stack: false
    .vgpr_count:     0
    .vgpr_spill_count: 0
    .wavefront_size: 32
  - .args:
      - .offset:         0
        .size:           112
        .value_kind:     by_value
    .group_segment_fixed_size: 0
    .kernarg_segment_align: 8
    .kernarg_segment_size: 112
    .language:       OpenCL C
    .language_version:
      - 2
      - 0
    .max_flat_workgroup_size: 192
    .name:           _ZN7rocprim17ROCPRIM_400000_NS6detail17trampoline_kernelINS0_14default_configENS1_25partition_config_selectorILNS1_17partition_subalgoE9EllbEEZZNS1_14partition_implILS5_9ELb0ES3_jPKlN6thrust23THRUST_200600_302600_NS17counting_iteratorIlNSB_11use_defaultESD_SD_EEPNS0_10empty_typeENS0_5tupleIJPlSF_EEENSH_IJSI_SG_EEENS0_18inequality_wrapperIN6hipcub16HIPCUB_304000_NS8EqualityEEESI_JSF_EEE10hipError_tPvRmT3_T4_T5_T6_T7_T9_mT8_P12ihipStream_tbDpT10_ENKUlT_T0_E_clISt17integral_constantIbLb1EES18_IbLb0EEEEDaS14_S15_EUlS14_E_NS1_11comp_targetILNS1_3genE2ELNS1_11target_archE906ELNS1_3gpuE6ELNS1_3repE0EEENS1_30default_config_static_selectorELNS0_4arch9wavefront6targetE0EEEvT1_
    .private_segment_fixed_size: 0
    .sgpr_count:     0
    .sgpr_spill_count: 0
    .symbol:         _ZN7rocprim17ROCPRIM_400000_NS6detail17trampoline_kernelINS0_14default_configENS1_25partition_config_selectorILNS1_17partition_subalgoE9EllbEEZZNS1_14partition_implILS5_9ELb0ES3_jPKlN6thrust23THRUST_200600_302600_NS17counting_iteratorIlNSB_11use_defaultESD_SD_EEPNS0_10empty_typeENS0_5tupleIJPlSF_EEENSH_IJSI_SG_EEENS0_18inequality_wrapperIN6hipcub16HIPCUB_304000_NS8EqualityEEESI_JSF_EEE10hipError_tPvRmT3_T4_T5_T6_T7_T9_mT8_P12ihipStream_tbDpT10_ENKUlT_T0_E_clISt17integral_constantIbLb1EES18_IbLb0EEEEDaS14_S15_EUlS14_E_NS1_11comp_targetILNS1_3genE2ELNS1_11target_archE906ELNS1_3gpuE6ELNS1_3repE0EEENS1_30default_config_static_selectorELNS0_4arch9wavefront6targetE0EEEvT1_.kd
    .uniform_work_group_size: 1
    .uses_dynamic_stack: false
    .vgpr_count:     0
    .vgpr_spill_count: 0
    .wavefront_size: 32
  - .args:
      - .offset:         0
        .size:           112
        .value_kind:     by_value
    .group_segment_fixed_size: 0
    .kernarg_segment_align: 8
    .kernarg_segment_size: 112
    .language:       OpenCL C
    .language_version:
      - 2
      - 0
    .max_flat_workgroup_size: 384
    .name:           _ZN7rocprim17ROCPRIM_400000_NS6detail17trampoline_kernelINS0_14default_configENS1_25partition_config_selectorILNS1_17partition_subalgoE9EllbEEZZNS1_14partition_implILS5_9ELb0ES3_jPKlN6thrust23THRUST_200600_302600_NS17counting_iteratorIlNSB_11use_defaultESD_SD_EEPNS0_10empty_typeENS0_5tupleIJPlSF_EEENSH_IJSI_SG_EEENS0_18inequality_wrapperIN6hipcub16HIPCUB_304000_NS8EqualityEEESI_JSF_EEE10hipError_tPvRmT3_T4_T5_T6_T7_T9_mT8_P12ihipStream_tbDpT10_ENKUlT_T0_E_clISt17integral_constantIbLb1EES18_IbLb0EEEEDaS14_S15_EUlS14_E_NS1_11comp_targetILNS1_3genE10ELNS1_11target_archE1200ELNS1_3gpuE4ELNS1_3repE0EEENS1_30default_config_static_selectorELNS0_4arch9wavefront6targetE0EEEvT1_
    .private_segment_fixed_size: 0
    .sgpr_count:     0
    .sgpr_spill_count: 0
    .symbol:         _ZN7rocprim17ROCPRIM_400000_NS6detail17trampoline_kernelINS0_14default_configENS1_25partition_config_selectorILNS1_17partition_subalgoE9EllbEEZZNS1_14partition_implILS5_9ELb0ES3_jPKlN6thrust23THRUST_200600_302600_NS17counting_iteratorIlNSB_11use_defaultESD_SD_EEPNS0_10empty_typeENS0_5tupleIJPlSF_EEENSH_IJSI_SG_EEENS0_18inequality_wrapperIN6hipcub16HIPCUB_304000_NS8EqualityEEESI_JSF_EEE10hipError_tPvRmT3_T4_T5_T6_T7_T9_mT8_P12ihipStream_tbDpT10_ENKUlT_T0_E_clISt17integral_constantIbLb1EES18_IbLb0EEEEDaS14_S15_EUlS14_E_NS1_11comp_targetILNS1_3genE10ELNS1_11target_archE1200ELNS1_3gpuE4ELNS1_3repE0EEENS1_30default_config_static_selectorELNS0_4arch9wavefront6targetE0EEEvT1_.kd
    .uniform_work_group_size: 1
    .uses_dynamic_stack: false
    .vgpr_count:     0
    .vgpr_spill_count: 0
    .wavefront_size: 32
  - .args:
      - .offset:         0
        .size:           112
        .value_kind:     by_value
    .group_segment_fixed_size: 0
    .kernarg_segment_align: 8
    .kernarg_segment_size: 112
    .language:       OpenCL C
    .language_version:
      - 2
      - 0
    .max_flat_workgroup_size: 512
    .name:           _ZN7rocprim17ROCPRIM_400000_NS6detail17trampoline_kernelINS0_14default_configENS1_25partition_config_selectorILNS1_17partition_subalgoE9EllbEEZZNS1_14partition_implILS5_9ELb0ES3_jPKlN6thrust23THRUST_200600_302600_NS17counting_iteratorIlNSB_11use_defaultESD_SD_EEPNS0_10empty_typeENS0_5tupleIJPlSF_EEENSH_IJSI_SG_EEENS0_18inequality_wrapperIN6hipcub16HIPCUB_304000_NS8EqualityEEESI_JSF_EEE10hipError_tPvRmT3_T4_T5_T6_T7_T9_mT8_P12ihipStream_tbDpT10_ENKUlT_T0_E_clISt17integral_constantIbLb1EES18_IbLb0EEEEDaS14_S15_EUlS14_E_NS1_11comp_targetILNS1_3genE9ELNS1_11target_archE1100ELNS1_3gpuE3ELNS1_3repE0EEENS1_30default_config_static_selectorELNS0_4arch9wavefront6targetE0EEEvT1_
    .private_segment_fixed_size: 0
    .sgpr_count:     0
    .sgpr_spill_count: 0
    .symbol:         _ZN7rocprim17ROCPRIM_400000_NS6detail17trampoline_kernelINS0_14default_configENS1_25partition_config_selectorILNS1_17partition_subalgoE9EllbEEZZNS1_14partition_implILS5_9ELb0ES3_jPKlN6thrust23THRUST_200600_302600_NS17counting_iteratorIlNSB_11use_defaultESD_SD_EEPNS0_10empty_typeENS0_5tupleIJPlSF_EEENSH_IJSI_SG_EEENS0_18inequality_wrapperIN6hipcub16HIPCUB_304000_NS8EqualityEEESI_JSF_EEE10hipError_tPvRmT3_T4_T5_T6_T7_T9_mT8_P12ihipStream_tbDpT10_ENKUlT_T0_E_clISt17integral_constantIbLb1EES18_IbLb0EEEEDaS14_S15_EUlS14_E_NS1_11comp_targetILNS1_3genE9ELNS1_11target_archE1100ELNS1_3gpuE3ELNS1_3repE0EEENS1_30default_config_static_selectorELNS0_4arch9wavefront6targetE0EEEvT1_.kd
    .uniform_work_group_size: 1
    .uses_dynamic_stack: false
    .vgpr_count:     0
    .vgpr_spill_count: 0
    .wavefront_size: 32
  - .args:
      - .offset:         0
        .size:           112
        .value_kind:     by_value
    .group_segment_fixed_size: 0
    .kernarg_segment_align: 8
    .kernarg_segment_size: 112
    .language:       OpenCL C
    .language_version:
      - 2
      - 0
    .max_flat_workgroup_size: 512
    .name:           _ZN7rocprim17ROCPRIM_400000_NS6detail17trampoline_kernelINS0_14default_configENS1_25partition_config_selectorILNS1_17partition_subalgoE9EllbEEZZNS1_14partition_implILS5_9ELb0ES3_jPKlN6thrust23THRUST_200600_302600_NS17counting_iteratorIlNSB_11use_defaultESD_SD_EEPNS0_10empty_typeENS0_5tupleIJPlSF_EEENSH_IJSI_SG_EEENS0_18inequality_wrapperIN6hipcub16HIPCUB_304000_NS8EqualityEEESI_JSF_EEE10hipError_tPvRmT3_T4_T5_T6_T7_T9_mT8_P12ihipStream_tbDpT10_ENKUlT_T0_E_clISt17integral_constantIbLb1EES18_IbLb0EEEEDaS14_S15_EUlS14_E_NS1_11comp_targetILNS1_3genE8ELNS1_11target_archE1030ELNS1_3gpuE2ELNS1_3repE0EEENS1_30default_config_static_selectorELNS0_4arch9wavefront6targetE0EEEvT1_
    .private_segment_fixed_size: 0
    .sgpr_count:     0
    .sgpr_spill_count: 0
    .symbol:         _ZN7rocprim17ROCPRIM_400000_NS6detail17trampoline_kernelINS0_14default_configENS1_25partition_config_selectorILNS1_17partition_subalgoE9EllbEEZZNS1_14partition_implILS5_9ELb0ES3_jPKlN6thrust23THRUST_200600_302600_NS17counting_iteratorIlNSB_11use_defaultESD_SD_EEPNS0_10empty_typeENS0_5tupleIJPlSF_EEENSH_IJSI_SG_EEENS0_18inequality_wrapperIN6hipcub16HIPCUB_304000_NS8EqualityEEESI_JSF_EEE10hipError_tPvRmT3_T4_T5_T6_T7_T9_mT8_P12ihipStream_tbDpT10_ENKUlT_T0_E_clISt17integral_constantIbLb1EES18_IbLb0EEEEDaS14_S15_EUlS14_E_NS1_11comp_targetILNS1_3genE8ELNS1_11target_archE1030ELNS1_3gpuE2ELNS1_3repE0EEENS1_30default_config_static_selectorELNS0_4arch9wavefront6targetE0EEEvT1_.kd
    .uniform_work_group_size: 1
    .uses_dynamic_stack: false
    .vgpr_count:     0
    .vgpr_spill_count: 0
    .wavefront_size: 32
  - .args:
      - .offset:         0
        .size:           128
        .value_kind:     by_value
    .group_segment_fixed_size: 5128
    .kernarg_segment_align: 8
    .kernarg_segment_size: 128
    .language:       OpenCL C
    .language_version:
      - 2
      - 0
    .max_flat_workgroup_size: 128
    .name:           _ZN7rocprim17ROCPRIM_400000_NS6detail17trampoline_kernelINS0_14default_configENS1_25partition_config_selectorILNS1_17partition_subalgoE9EllbEEZZNS1_14partition_implILS5_9ELb0ES3_jPKlN6thrust23THRUST_200600_302600_NS17counting_iteratorIlNSB_11use_defaultESD_SD_EEPNS0_10empty_typeENS0_5tupleIJPlSF_EEENSH_IJSI_SG_EEENS0_18inequality_wrapperIN6hipcub16HIPCUB_304000_NS8EqualityEEESI_JSF_EEE10hipError_tPvRmT3_T4_T5_T6_T7_T9_mT8_P12ihipStream_tbDpT10_ENKUlT_T0_E_clISt17integral_constantIbLb0EES18_IbLb1EEEEDaS14_S15_EUlS14_E_NS1_11comp_targetILNS1_3genE0ELNS1_11target_archE4294967295ELNS1_3gpuE0ELNS1_3repE0EEENS1_30default_config_static_selectorELNS0_4arch9wavefront6targetE0EEEvT1_
    .private_segment_fixed_size: 0
    .sgpr_count:     32
    .sgpr_spill_count: 0
    .symbol:         _ZN7rocprim17ROCPRIM_400000_NS6detail17trampoline_kernelINS0_14default_configENS1_25partition_config_selectorILNS1_17partition_subalgoE9EllbEEZZNS1_14partition_implILS5_9ELb0ES3_jPKlN6thrust23THRUST_200600_302600_NS17counting_iteratorIlNSB_11use_defaultESD_SD_EEPNS0_10empty_typeENS0_5tupleIJPlSF_EEENSH_IJSI_SG_EEENS0_18inequality_wrapperIN6hipcub16HIPCUB_304000_NS8EqualityEEESI_JSF_EEE10hipError_tPvRmT3_T4_T5_T6_T7_T9_mT8_P12ihipStream_tbDpT10_ENKUlT_T0_E_clISt17integral_constantIbLb0EES18_IbLb1EEEEDaS14_S15_EUlS14_E_NS1_11comp_targetILNS1_3genE0ELNS1_11target_archE4294967295ELNS1_3gpuE0ELNS1_3repE0EEENS1_30default_config_static_selectorELNS0_4arch9wavefront6targetE0EEEvT1_.kd
    .uniform_work_group_size: 1
    .uses_dynamic_stack: false
    .vgpr_count:     55
    .vgpr_spill_count: 0
    .wavefront_size: 32
  - .args:
      - .offset:         0
        .size:           128
        .value_kind:     by_value
    .group_segment_fixed_size: 0
    .kernarg_segment_align: 8
    .kernarg_segment_size: 128
    .language:       OpenCL C
    .language_version:
      - 2
      - 0
    .max_flat_workgroup_size: 512
    .name:           _ZN7rocprim17ROCPRIM_400000_NS6detail17trampoline_kernelINS0_14default_configENS1_25partition_config_selectorILNS1_17partition_subalgoE9EllbEEZZNS1_14partition_implILS5_9ELb0ES3_jPKlN6thrust23THRUST_200600_302600_NS17counting_iteratorIlNSB_11use_defaultESD_SD_EEPNS0_10empty_typeENS0_5tupleIJPlSF_EEENSH_IJSI_SG_EEENS0_18inequality_wrapperIN6hipcub16HIPCUB_304000_NS8EqualityEEESI_JSF_EEE10hipError_tPvRmT3_T4_T5_T6_T7_T9_mT8_P12ihipStream_tbDpT10_ENKUlT_T0_E_clISt17integral_constantIbLb0EES18_IbLb1EEEEDaS14_S15_EUlS14_E_NS1_11comp_targetILNS1_3genE5ELNS1_11target_archE942ELNS1_3gpuE9ELNS1_3repE0EEENS1_30default_config_static_selectorELNS0_4arch9wavefront6targetE0EEEvT1_
    .private_segment_fixed_size: 0
    .sgpr_count:     0
    .sgpr_spill_count: 0
    .symbol:         _ZN7rocprim17ROCPRIM_400000_NS6detail17trampoline_kernelINS0_14default_configENS1_25partition_config_selectorILNS1_17partition_subalgoE9EllbEEZZNS1_14partition_implILS5_9ELb0ES3_jPKlN6thrust23THRUST_200600_302600_NS17counting_iteratorIlNSB_11use_defaultESD_SD_EEPNS0_10empty_typeENS0_5tupleIJPlSF_EEENSH_IJSI_SG_EEENS0_18inequality_wrapperIN6hipcub16HIPCUB_304000_NS8EqualityEEESI_JSF_EEE10hipError_tPvRmT3_T4_T5_T6_T7_T9_mT8_P12ihipStream_tbDpT10_ENKUlT_T0_E_clISt17integral_constantIbLb0EES18_IbLb1EEEEDaS14_S15_EUlS14_E_NS1_11comp_targetILNS1_3genE5ELNS1_11target_archE942ELNS1_3gpuE9ELNS1_3repE0EEENS1_30default_config_static_selectorELNS0_4arch9wavefront6targetE0EEEvT1_.kd
    .uniform_work_group_size: 1
    .uses_dynamic_stack: false
    .vgpr_count:     0
    .vgpr_spill_count: 0
    .wavefront_size: 32
  - .args:
      - .offset:         0
        .size:           128
        .value_kind:     by_value
    .group_segment_fixed_size: 0
    .kernarg_segment_align: 8
    .kernarg_segment_size: 128
    .language:       OpenCL C
    .language_version:
      - 2
      - 0
    .max_flat_workgroup_size: 128
    .name:           _ZN7rocprim17ROCPRIM_400000_NS6detail17trampoline_kernelINS0_14default_configENS1_25partition_config_selectorILNS1_17partition_subalgoE9EllbEEZZNS1_14partition_implILS5_9ELb0ES3_jPKlN6thrust23THRUST_200600_302600_NS17counting_iteratorIlNSB_11use_defaultESD_SD_EEPNS0_10empty_typeENS0_5tupleIJPlSF_EEENSH_IJSI_SG_EEENS0_18inequality_wrapperIN6hipcub16HIPCUB_304000_NS8EqualityEEESI_JSF_EEE10hipError_tPvRmT3_T4_T5_T6_T7_T9_mT8_P12ihipStream_tbDpT10_ENKUlT_T0_E_clISt17integral_constantIbLb0EES18_IbLb1EEEEDaS14_S15_EUlS14_E_NS1_11comp_targetILNS1_3genE4ELNS1_11target_archE910ELNS1_3gpuE8ELNS1_3repE0EEENS1_30default_config_static_selectorELNS0_4arch9wavefront6targetE0EEEvT1_
    .private_segment_fixed_size: 0
    .sgpr_count:     0
    .sgpr_spill_count: 0
    .symbol:         _ZN7rocprim17ROCPRIM_400000_NS6detail17trampoline_kernelINS0_14default_configENS1_25partition_config_selectorILNS1_17partition_subalgoE9EllbEEZZNS1_14partition_implILS5_9ELb0ES3_jPKlN6thrust23THRUST_200600_302600_NS17counting_iteratorIlNSB_11use_defaultESD_SD_EEPNS0_10empty_typeENS0_5tupleIJPlSF_EEENSH_IJSI_SG_EEENS0_18inequality_wrapperIN6hipcub16HIPCUB_304000_NS8EqualityEEESI_JSF_EEE10hipError_tPvRmT3_T4_T5_T6_T7_T9_mT8_P12ihipStream_tbDpT10_ENKUlT_T0_E_clISt17integral_constantIbLb0EES18_IbLb1EEEEDaS14_S15_EUlS14_E_NS1_11comp_targetILNS1_3genE4ELNS1_11target_archE910ELNS1_3gpuE8ELNS1_3repE0EEENS1_30default_config_static_selectorELNS0_4arch9wavefront6targetE0EEEvT1_.kd
    .uniform_work_group_size: 1
    .uses_dynamic_stack: false
    .vgpr_count:     0
    .vgpr_spill_count: 0
    .wavefront_size: 32
  - .args:
      - .offset:         0
        .size:           128
        .value_kind:     by_value
    .group_segment_fixed_size: 0
    .kernarg_segment_align: 8
    .kernarg_segment_size: 128
    .language:       OpenCL C
    .language_version:
      - 2
      - 0
    .max_flat_workgroup_size: 128
    .name:           _ZN7rocprim17ROCPRIM_400000_NS6detail17trampoline_kernelINS0_14default_configENS1_25partition_config_selectorILNS1_17partition_subalgoE9EllbEEZZNS1_14partition_implILS5_9ELb0ES3_jPKlN6thrust23THRUST_200600_302600_NS17counting_iteratorIlNSB_11use_defaultESD_SD_EEPNS0_10empty_typeENS0_5tupleIJPlSF_EEENSH_IJSI_SG_EEENS0_18inequality_wrapperIN6hipcub16HIPCUB_304000_NS8EqualityEEESI_JSF_EEE10hipError_tPvRmT3_T4_T5_T6_T7_T9_mT8_P12ihipStream_tbDpT10_ENKUlT_T0_E_clISt17integral_constantIbLb0EES18_IbLb1EEEEDaS14_S15_EUlS14_E_NS1_11comp_targetILNS1_3genE3ELNS1_11target_archE908ELNS1_3gpuE7ELNS1_3repE0EEENS1_30default_config_static_selectorELNS0_4arch9wavefront6targetE0EEEvT1_
    .private_segment_fixed_size: 0
    .sgpr_count:     0
    .sgpr_spill_count: 0
    .symbol:         _ZN7rocprim17ROCPRIM_400000_NS6detail17trampoline_kernelINS0_14default_configENS1_25partition_config_selectorILNS1_17partition_subalgoE9EllbEEZZNS1_14partition_implILS5_9ELb0ES3_jPKlN6thrust23THRUST_200600_302600_NS17counting_iteratorIlNSB_11use_defaultESD_SD_EEPNS0_10empty_typeENS0_5tupleIJPlSF_EEENSH_IJSI_SG_EEENS0_18inequality_wrapperIN6hipcub16HIPCUB_304000_NS8EqualityEEESI_JSF_EEE10hipError_tPvRmT3_T4_T5_T6_T7_T9_mT8_P12ihipStream_tbDpT10_ENKUlT_T0_E_clISt17integral_constantIbLb0EES18_IbLb1EEEEDaS14_S15_EUlS14_E_NS1_11comp_targetILNS1_3genE3ELNS1_11target_archE908ELNS1_3gpuE7ELNS1_3repE0EEENS1_30default_config_static_selectorELNS0_4arch9wavefront6targetE0EEEvT1_.kd
    .uniform_work_group_size: 1
    .uses_dynamic_stack: false
    .vgpr_count:     0
    .vgpr_spill_count: 0
    .wavefront_size: 32
  - .args:
      - .offset:         0
        .size:           128
        .value_kind:     by_value
    .group_segment_fixed_size: 0
    .kernarg_segment_align: 8
    .kernarg_segment_size: 128
    .language:       OpenCL C
    .language_version:
      - 2
      - 0
    .max_flat_workgroup_size: 192
    .name:           _ZN7rocprim17ROCPRIM_400000_NS6detail17trampoline_kernelINS0_14default_configENS1_25partition_config_selectorILNS1_17partition_subalgoE9EllbEEZZNS1_14partition_implILS5_9ELb0ES3_jPKlN6thrust23THRUST_200600_302600_NS17counting_iteratorIlNSB_11use_defaultESD_SD_EEPNS0_10empty_typeENS0_5tupleIJPlSF_EEENSH_IJSI_SG_EEENS0_18inequality_wrapperIN6hipcub16HIPCUB_304000_NS8EqualityEEESI_JSF_EEE10hipError_tPvRmT3_T4_T5_T6_T7_T9_mT8_P12ihipStream_tbDpT10_ENKUlT_T0_E_clISt17integral_constantIbLb0EES18_IbLb1EEEEDaS14_S15_EUlS14_E_NS1_11comp_targetILNS1_3genE2ELNS1_11target_archE906ELNS1_3gpuE6ELNS1_3repE0EEENS1_30default_config_static_selectorELNS0_4arch9wavefront6targetE0EEEvT1_
    .private_segment_fixed_size: 0
    .sgpr_count:     0
    .sgpr_spill_count: 0
    .symbol:         _ZN7rocprim17ROCPRIM_400000_NS6detail17trampoline_kernelINS0_14default_configENS1_25partition_config_selectorILNS1_17partition_subalgoE9EllbEEZZNS1_14partition_implILS5_9ELb0ES3_jPKlN6thrust23THRUST_200600_302600_NS17counting_iteratorIlNSB_11use_defaultESD_SD_EEPNS0_10empty_typeENS0_5tupleIJPlSF_EEENSH_IJSI_SG_EEENS0_18inequality_wrapperIN6hipcub16HIPCUB_304000_NS8EqualityEEESI_JSF_EEE10hipError_tPvRmT3_T4_T5_T6_T7_T9_mT8_P12ihipStream_tbDpT10_ENKUlT_T0_E_clISt17integral_constantIbLb0EES18_IbLb1EEEEDaS14_S15_EUlS14_E_NS1_11comp_targetILNS1_3genE2ELNS1_11target_archE906ELNS1_3gpuE6ELNS1_3repE0EEENS1_30default_config_static_selectorELNS0_4arch9wavefront6targetE0EEEvT1_.kd
    .uniform_work_group_size: 1
    .uses_dynamic_stack: false
    .vgpr_count:     0
    .vgpr_spill_count: 0
    .wavefront_size: 32
  - .args:
      - .offset:         0
        .size:           128
        .value_kind:     by_value
    .group_segment_fixed_size: 0
    .kernarg_segment_align: 8
    .kernarg_segment_size: 128
    .language:       OpenCL C
    .language_version:
      - 2
      - 0
    .max_flat_workgroup_size: 384
    .name:           _ZN7rocprim17ROCPRIM_400000_NS6detail17trampoline_kernelINS0_14default_configENS1_25partition_config_selectorILNS1_17partition_subalgoE9EllbEEZZNS1_14partition_implILS5_9ELb0ES3_jPKlN6thrust23THRUST_200600_302600_NS17counting_iteratorIlNSB_11use_defaultESD_SD_EEPNS0_10empty_typeENS0_5tupleIJPlSF_EEENSH_IJSI_SG_EEENS0_18inequality_wrapperIN6hipcub16HIPCUB_304000_NS8EqualityEEESI_JSF_EEE10hipError_tPvRmT3_T4_T5_T6_T7_T9_mT8_P12ihipStream_tbDpT10_ENKUlT_T0_E_clISt17integral_constantIbLb0EES18_IbLb1EEEEDaS14_S15_EUlS14_E_NS1_11comp_targetILNS1_3genE10ELNS1_11target_archE1200ELNS1_3gpuE4ELNS1_3repE0EEENS1_30default_config_static_selectorELNS0_4arch9wavefront6targetE0EEEvT1_
    .private_segment_fixed_size: 0
    .sgpr_count:     0
    .sgpr_spill_count: 0
    .symbol:         _ZN7rocprim17ROCPRIM_400000_NS6detail17trampoline_kernelINS0_14default_configENS1_25partition_config_selectorILNS1_17partition_subalgoE9EllbEEZZNS1_14partition_implILS5_9ELb0ES3_jPKlN6thrust23THRUST_200600_302600_NS17counting_iteratorIlNSB_11use_defaultESD_SD_EEPNS0_10empty_typeENS0_5tupleIJPlSF_EEENSH_IJSI_SG_EEENS0_18inequality_wrapperIN6hipcub16HIPCUB_304000_NS8EqualityEEESI_JSF_EEE10hipError_tPvRmT3_T4_T5_T6_T7_T9_mT8_P12ihipStream_tbDpT10_ENKUlT_T0_E_clISt17integral_constantIbLb0EES18_IbLb1EEEEDaS14_S15_EUlS14_E_NS1_11comp_targetILNS1_3genE10ELNS1_11target_archE1200ELNS1_3gpuE4ELNS1_3repE0EEENS1_30default_config_static_selectorELNS0_4arch9wavefront6targetE0EEEvT1_.kd
    .uniform_work_group_size: 1
    .uses_dynamic_stack: false
    .vgpr_count:     0
    .vgpr_spill_count: 0
    .wavefront_size: 32
  - .args:
      - .offset:         0
        .size:           128
        .value_kind:     by_value
    .group_segment_fixed_size: 0
    .kernarg_segment_align: 8
    .kernarg_segment_size: 128
    .language:       OpenCL C
    .language_version:
      - 2
      - 0
    .max_flat_workgroup_size: 512
    .name:           _ZN7rocprim17ROCPRIM_400000_NS6detail17trampoline_kernelINS0_14default_configENS1_25partition_config_selectorILNS1_17partition_subalgoE9EllbEEZZNS1_14partition_implILS5_9ELb0ES3_jPKlN6thrust23THRUST_200600_302600_NS17counting_iteratorIlNSB_11use_defaultESD_SD_EEPNS0_10empty_typeENS0_5tupleIJPlSF_EEENSH_IJSI_SG_EEENS0_18inequality_wrapperIN6hipcub16HIPCUB_304000_NS8EqualityEEESI_JSF_EEE10hipError_tPvRmT3_T4_T5_T6_T7_T9_mT8_P12ihipStream_tbDpT10_ENKUlT_T0_E_clISt17integral_constantIbLb0EES18_IbLb1EEEEDaS14_S15_EUlS14_E_NS1_11comp_targetILNS1_3genE9ELNS1_11target_archE1100ELNS1_3gpuE3ELNS1_3repE0EEENS1_30default_config_static_selectorELNS0_4arch9wavefront6targetE0EEEvT1_
    .private_segment_fixed_size: 0
    .sgpr_count:     0
    .sgpr_spill_count: 0
    .symbol:         _ZN7rocprim17ROCPRIM_400000_NS6detail17trampoline_kernelINS0_14default_configENS1_25partition_config_selectorILNS1_17partition_subalgoE9EllbEEZZNS1_14partition_implILS5_9ELb0ES3_jPKlN6thrust23THRUST_200600_302600_NS17counting_iteratorIlNSB_11use_defaultESD_SD_EEPNS0_10empty_typeENS0_5tupleIJPlSF_EEENSH_IJSI_SG_EEENS0_18inequality_wrapperIN6hipcub16HIPCUB_304000_NS8EqualityEEESI_JSF_EEE10hipError_tPvRmT3_T4_T5_T6_T7_T9_mT8_P12ihipStream_tbDpT10_ENKUlT_T0_E_clISt17integral_constantIbLb0EES18_IbLb1EEEEDaS14_S15_EUlS14_E_NS1_11comp_targetILNS1_3genE9ELNS1_11target_archE1100ELNS1_3gpuE3ELNS1_3repE0EEENS1_30default_config_static_selectorELNS0_4arch9wavefront6targetE0EEEvT1_.kd
    .uniform_work_group_size: 1
    .uses_dynamic_stack: false
    .vgpr_count:     0
    .vgpr_spill_count: 0
    .wavefront_size: 32
  - .args:
      - .offset:         0
        .size:           128
        .value_kind:     by_value
    .group_segment_fixed_size: 0
    .kernarg_segment_align: 8
    .kernarg_segment_size: 128
    .language:       OpenCL C
    .language_version:
      - 2
      - 0
    .max_flat_workgroup_size: 512
    .name:           _ZN7rocprim17ROCPRIM_400000_NS6detail17trampoline_kernelINS0_14default_configENS1_25partition_config_selectorILNS1_17partition_subalgoE9EllbEEZZNS1_14partition_implILS5_9ELb0ES3_jPKlN6thrust23THRUST_200600_302600_NS17counting_iteratorIlNSB_11use_defaultESD_SD_EEPNS0_10empty_typeENS0_5tupleIJPlSF_EEENSH_IJSI_SG_EEENS0_18inequality_wrapperIN6hipcub16HIPCUB_304000_NS8EqualityEEESI_JSF_EEE10hipError_tPvRmT3_T4_T5_T6_T7_T9_mT8_P12ihipStream_tbDpT10_ENKUlT_T0_E_clISt17integral_constantIbLb0EES18_IbLb1EEEEDaS14_S15_EUlS14_E_NS1_11comp_targetILNS1_3genE8ELNS1_11target_archE1030ELNS1_3gpuE2ELNS1_3repE0EEENS1_30default_config_static_selectorELNS0_4arch9wavefront6targetE0EEEvT1_
    .private_segment_fixed_size: 0
    .sgpr_count:     0
    .sgpr_spill_count: 0
    .symbol:         _ZN7rocprim17ROCPRIM_400000_NS6detail17trampoline_kernelINS0_14default_configENS1_25partition_config_selectorILNS1_17partition_subalgoE9EllbEEZZNS1_14partition_implILS5_9ELb0ES3_jPKlN6thrust23THRUST_200600_302600_NS17counting_iteratorIlNSB_11use_defaultESD_SD_EEPNS0_10empty_typeENS0_5tupleIJPlSF_EEENSH_IJSI_SG_EEENS0_18inequality_wrapperIN6hipcub16HIPCUB_304000_NS8EqualityEEESI_JSF_EEE10hipError_tPvRmT3_T4_T5_T6_T7_T9_mT8_P12ihipStream_tbDpT10_ENKUlT_T0_E_clISt17integral_constantIbLb0EES18_IbLb1EEEEDaS14_S15_EUlS14_E_NS1_11comp_targetILNS1_3genE8ELNS1_11target_archE1030ELNS1_3gpuE2ELNS1_3repE0EEENS1_30default_config_static_selectorELNS0_4arch9wavefront6targetE0EEEvT1_.kd
    .uniform_work_group_size: 1
    .uses_dynamic_stack: false
    .vgpr_count:     0
    .vgpr_spill_count: 0
    .wavefront_size: 32
  - .args:
      - .address_space:  global
        .offset:         0
        .size:           8
        .value_kind:     global_buffer
      - .address_space:  global
        .offset:         8
        .size:           8
        .value_kind:     global_buffer
      - .address_space:  global
        .offset:         16
        .size:           8
        .value_kind:     global_buffer
      - .offset:         24
        .size:           8
        .value_kind:     by_value
      - .offset:         32
        .size:           4
        .value_kind:     hidden_block_count_x
      - .offset:         36
        .size:           4
        .value_kind:     hidden_block_count_y
      - .offset:         40
        .size:           4
        .value_kind:     hidden_block_count_z
      - .offset:         44
        .size:           2
        .value_kind:     hidden_group_size_x
      - .offset:         46
        .size:           2
        .value_kind:     hidden_group_size_y
      - .offset:         48
        .size:           2
        .value_kind:     hidden_group_size_z
      - .offset:         50
        .size:           2
        .value_kind:     hidden_remainder_x
      - .offset:         52
        .size:           2
        .value_kind:     hidden_remainder_y
      - .offset:         54
        .size:           2
        .value_kind:     hidden_remainder_z
      - .offset:         72
        .size:           8
        .value_kind:     hidden_global_offset_x
      - .offset:         80
        .size:           8
        .value_kind:     hidden_global_offset_y
      - .offset:         88
        .size:           8
        .value_kind:     hidden_global_offset_z
      - .offset:         96
        .size:           2
        .value_kind:     hidden_grid_dims
    .group_segment_fixed_size: 0
    .kernarg_segment_align: 8
    .kernarg_segment_size: 288
    .language:       OpenCL C
    .language_version:
      - 2
      - 0
    .max_flat_workgroup_size: 1024
    .name:           _ZN2at6native12_GLOBAL__N_124krn_partials_per_segmentIiEEvPT_PKS3_PKll
    .private_segment_fixed_size: 0
    .sgpr_count:     16
    .sgpr_spill_count: 0
    .symbol:         _ZN2at6native12_GLOBAL__N_124krn_partials_per_segmentIiEEvPT_PKS3_PKll.kd
    .uniform_work_group_size: 1
    .uses_dynamic_stack: false
    .vgpr_count:     10
    .vgpr_spill_count: 0
    .wavefront_size: 32
  - .args:
      - .address_space:  global
        .offset:         0
        .size:           8
        .value_kind:     global_buffer
      - .address_space:  global
        .offset:         8
        .size:           8
        .value_kind:     global_buffer
      - .address_space:  global
        .offset:         16
        .size:           8
        .value_kind:     global_buffer
      - .address_space:  global
        .offset:         24
        .size:           8
        .value_kind:     global_buffer
    .group_segment_fixed_size: 0
    .kernarg_segment_align: 8
    .kernarg_segment_size: 32
    .language:       OpenCL C
    .language_version:
      - 2
      - 0
    .max_flat_workgroup_size: 1024
    .name:           _ZN2at6native12_GLOBAL__N_131compute_num_of_partial_segmentsIiEEvPKT_S5_PKlPl
    .private_segment_fixed_size: 0
    .sgpr_count:     12
    .sgpr_spill_count: 0
    .symbol:         _ZN2at6native12_GLOBAL__N_131compute_num_of_partial_segmentsIiEEvPKT_S5_PKlPl.kd
    .uniform_work_group_size: 1
    .uses_dynamic_stack: false
    .vgpr_count:     3
    .vgpr_spill_count: 0
    .wavefront_size: 32
  - .args:
      - .address_space:  global
        .offset:         0
        .size:           8
        .value_kind:     global_buffer
      - .address_space:  global
        .offset:         8
        .size:           8
        .value_kind:     global_buffer
      - .address_space:  global
        .offset:         16
        .size:           8
        .value_kind:     global_buffer
      - .address_space:  global
        .offset:         24
        .size:           8
        .value_kind:     global_buffer
      - .address_space:  global
        .offset:         32
        .size:           8
        .value_kind:     global_buffer
      - .offset:         40
        .size:           4
        .value_kind:     hidden_block_count_x
      - .offset:         44
        .size:           4
        .value_kind:     hidden_block_count_y
      - .offset:         48
        .size:           4
        .value_kind:     hidden_block_count_z
      - .offset:         52
        .size:           2
        .value_kind:     hidden_group_size_x
      - .offset:         54
        .size:           2
        .value_kind:     hidden_group_size_y
      - .offset:         56
        .size:           2
        .value_kind:     hidden_group_size_z
      - .offset:         58
        .size:           2
        .value_kind:     hidden_remainder_x
      - .offset:         60
        .size:           2
        .value_kind:     hidden_remainder_y
      - .offset:         62
        .size:           2
        .value_kind:     hidden_remainder_z
      - .offset:         80
        .size:           8
        .value_kind:     hidden_global_offset_x
      - .offset:         88
        .size:           8
        .value_kind:     hidden_global_offset_y
      - .offset:         96
        .size:           8
        .value_kind:     hidden_global_offset_z
      - .offset:         104
        .size:           2
        .value_kind:     hidden_grid_dims
    .group_segment_fixed_size: 0
    .kernarg_segment_align: 8
    .kernarg_segment_size: 296
    .language:       OpenCL C
    .language_version:
      - 2
      - 0
    .max_flat_workgroup_size: 1024
    .name:           _ZN2at6native12_GLOBAL__N_126krn_partial_segment_offsetIiEEvPT_PKS3_S6_S6_PKl
    .private_segment_fixed_size: 0
    .sgpr_count:     14
    .sgpr_spill_count: 0
    .symbol:         _ZN2at6native12_GLOBAL__N_126krn_partial_segment_offsetIiEEvPT_PKS3_S6_S6_PKl.kd
    .uniform_work_group_size: 1
    .uses_dynamic_stack: false
    .vgpr_count:     16
    .vgpr_spill_count: 0
    .wavefront_size: 32
  - .args:
      - .address_space:  global
        .offset:         0
        .size:           8
        .value_kind:     global_buffer
      - .address_space:  global
        .offset:         8
        .size:           8
        .value_kind:     global_buffer
      - .address_space:  global
        .offset:         16
        .size:           8
        .value_kind:     global_buffer
      - .address_space:  global
        .offset:         24
        .size:           8
        .value_kind:     global_buffer
      - .offset:         32
        .size:           4
        .value_kind:     hidden_block_count_x
      - .offset:         36
        .size:           4
        .value_kind:     hidden_block_count_y
      - .offset:         40
        .size:           4
        .value_kind:     hidden_block_count_z
      - .offset:         44
        .size:           2
        .value_kind:     hidden_group_size_x
      - .offset:         46
        .size:           2
        .value_kind:     hidden_group_size_y
      - .offset:         48
        .size:           2
        .value_kind:     hidden_group_size_z
      - .offset:         50
        .size:           2
        .value_kind:     hidden_remainder_x
      - .offset:         52
        .size:           2
        .value_kind:     hidden_remainder_y
      - .offset:         54
        .size:           2
        .value_kind:     hidden_remainder_z
      - .offset:         72
        .size:           8
        .value_kind:     hidden_global_offset_x
      - .offset:         80
        .size:           8
        .value_kind:     hidden_global_offset_y
      - .offset:         88
        .size:           8
        .value_kind:     hidden_global_offset_z
      - .offset:         96
        .size:           2
        .value_kind:     hidden_grid_dims
    .group_segment_fixed_size: 0
    .kernarg_segment_align: 8
    .kernarg_segment_size: 288
    .language:       OpenCL C
    .language_version:
      - 2
      - 0
    .max_flat_workgroup_size: 1024
    .name:           _ZN2at6native12_GLOBAL__N_126krn_partial_to_segment_idxIiEEvPT_PKS3_S6_PKl
    .private_segment_fixed_size: 0
    .sgpr_count:     16
    .sgpr_spill_count: 0
    .symbol:         _ZN2at6native12_GLOBAL__N_126krn_partial_to_segment_idxIiEEvPT_PKS3_S6_PKl.kd
    .uniform_work_group_size: 1
    .uses_dynamic_stack: false
    .vgpr_count:     10
    .vgpr_spill_count: 0
    .wavefront_size: 32
  - .args:
      - .address_space:  global
        .offset:         0
        .size:           8
        .value_kind:     global_buffer
      - .address_space:  global
        .offset:         8
        .size:           8
        .value_kind:     global_buffer
      - .address_space:  global
        .offset:         16
        .size:           8
        .value_kind:     global_buffer
      - .offset:         24
        .size:           8
        .value_kind:     by_value
      - .offset:         32
        .size:           8
        .value_kind:     by_value
      - .address_space:  global
        .offset:         40
        .size:           8
        .value_kind:     global_buffer
      - .address_space:  global
        .offset:         48
        .size:           8
        .value_kind:     global_buffer
      - .address_space:  global
        .offset:         56
        .size:           8
        .value_kind:     global_buffer
      - .address_space:  global
        .offset:         64
        .size:           8
        .value_kind:     global_buffer
      - .address_space:  global
        .offset:         72
        .size:           8
        .value_kind:     global_buffer
      - .address_space:  global
        .offset:         80
        .size:           8
        .value_kind:     global_buffer
      - .offset:         88
        .size:           8
        .value_kind:     by_value
      - .offset:         96
        .size:           8
        .value_kind:     by_value
      - .offset:         104
        .size:           4
        .value_kind:     hidden_block_count_x
      - .offset:         108
        .size:           4
        .value_kind:     hidden_block_count_y
      - .offset:         112
        .size:           4
        .value_kind:     hidden_block_count_z
      - .offset:         116
        .size:           2
        .value_kind:     hidden_group_size_x
      - .offset:         118
        .size:           2
        .value_kind:     hidden_group_size_y
      - .offset:         120
        .size:           2
        .value_kind:     hidden_group_size_z
      - .offset:         122
        .size:           2
        .value_kind:     hidden_remainder_x
      - .offset:         124
        .size:           2
        .value_kind:     hidden_remainder_y
      - .offset:         126
        .size:           2
        .value_kind:     hidden_remainder_z
      - .offset:         144
        .size:           8
        .value_kind:     hidden_global_offset_x
      - .offset:         152
        .size:           8
        .value_kind:     hidden_global_offset_y
      - .offset:         160
        .size:           8
        .value_kind:     hidden_global_offset_z
      - .offset:         168
        .size:           2
        .value_kind:     hidden_grid_dims
    .group_segment_fixed_size: 0
    .kernarg_segment_align: 8
    .kernarg_segment_size: 360
    .language:       OpenCL C
    .language_version:
      - 2
      - 0
    .max_flat_workgroup_size: 1024
    .name:           _ZN2at6native12_GLOBAL__N_137compute_grad_weight_atomic_accumulateIddiEEvPKT1_PKT_S5_llS5_PKlS5_S5_S5_PT0_ll
    .private_segment_fixed_size: 0
    .sgpr_count:     30
    .sgpr_spill_count: 0
    .symbol:         _ZN2at6native12_GLOBAL__N_137compute_grad_weight_atomic_accumulateIddiEEvPKT1_PKT_S5_llS5_PKlS5_S5_S5_PT0_ll.kd
    .uniform_work_group_size: 1
    .uses_dynamic_stack: false
    .vgpr_count:     28
    .vgpr_spill_count: 0
    .wavefront_size: 32
  - .args:
      - .address_space:  global
        .offset:         0
        .size:           8
        .value_kind:     global_buffer
      - .address_space:  global
        .offset:         8
        .size:           8
        .value_kind:     global_buffer
      - .address_space:  global
        .offset:         16
        .size:           8
        .value_kind:     global_buffer
      - .address_space:  global
        .offset:         24
        .size:           8
        .value_kind:     global_buffer
      - .offset:         32
        .size:           8
        .value_kind:     by_value
      - .offset:         40
        .size:           8
        .value_kind:     by_value
      - .offset:         48
        .size:           4
        .value_kind:     by_value
      - .address_space:  global
        .offset:         56
        .size:           8
        .value_kind:     global_buffer
      - .address_space:  global
        .offset:         64
        .size:           8
        .value_kind:     global_buffer
      - .offset:         72
        .size:           8
        .value_kind:     by_value
      - .address_space:  global
        .offset:         80
        .size:           8
        .value_kind:     global_buffer
      - .address_space:  global
        .offset:         88
        .size:           8
        .value_kind:     global_buffer
      - .address_space:  global
        .offset:         96
        .size:           8
        .value_kind:     global_buffer
      - .offset:         104
        .size:           8
        .value_kind:     by_value
      - .offset:         112
        .size:           4
        .value_kind:     hidden_block_count_x
      - .offset:         116
        .size:           4
        .value_kind:     hidden_block_count_y
      - .offset:         120
        .size:           4
        .value_kind:     hidden_block_count_z
      - .offset:         124
        .size:           2
        .value_kind:     hidden_group_size_x
      - .offset:         126
        .size:           2
        .value_kind:     hidden_group_size_y
      - .offset:         128
        .size:           2
        .value_kind:     hidden_group_size_z
      - .offset:         130
        .size:           2
        .value_kind:     hidden_remainder_x
      - .offset:         132
        .size:           2
        .value_kind:     hidden_remainder_y
      - .offset:         134
        .size:           2
        .value_kind:     hidden_remainder_z
      - .offset:         152
        .size:           8
        .value_kind:     hidden_global_offset_x
      - .offset:         160
        .size:           8
        .value_kind:     hidden_global_offset_y
      - .offset:         168
        .size:           8
        .value_kind:     hidden_global_offset_z
      - .offset:         176
        .size:           2
        .value_kind:     hidden_grid_dims
    .group_segment_fixed_size: 0
    .kernarg_segment_align: 8
    .kernarg_segment_size: 368
    .language:       OpenCL C
    .language_version:
      - 2
      - 0
    .max_flat_workgroup_size: 1024
    .name:           _ZN2at6native12_GLOBAL__N_124compute_grad_weight_bagsIdiEEvPKT0_PKT_S5_S5_lliS5_S8_lS5_PKlPNS_14AccumulateTypeIS6_Lb1EE4typeEl
    .private_segment_fixed_size: 0
    .sgpr_count:     30
    .sgpr_spill_count: 0
    .symbol:         _ZN2at6native12_GLOBAL__N_124compute_grad_weight_bagsIdiEEvPKT0_PKT_S5_S5_lliS5_S8_lS5_PKlPNS_14AccumulateTypeIS6_Lb1EE4typeEl.kd
    .uniform_work_group_size: 1
    .uses_dynamic_stack: false
    .vgpr_count:     30
    .vgpr_spill_count: 0
    .wavefront_size: 32
  - .args:
      - .address_space:  global
        .offset:         0
        .size:           8
        .value_kind:     global_buffer
      - .address_space:  global
        .offset:         8
        .size:           8
        .value_kind:     global_buffer
      - .address_space:  global
        .offset:         16
        .size:           8
        .value_kind:     global_buffer
      - .offset:         24
        .size:           8
        .value_kind:     by_value
      - .offset:         32
        .size:           8
        .value_kind:     by_value
      - .address_space:  global
        .offset:         40
        .size:           8
        .value_kind:     global_buffer
      - .address_space:  global
        .offset:         48
        .size:           8
        .value_kind:     global_buffer
      - .address_space:  global
        .offset:         56
        .size:           8
        .value_kind:     global_buffer
      - .offset:         64
        .size:           8
        .value_kind:     by_value
      - .offset:         72
        .size:           4
        .value_kind:     hidden_block_count_x
      - .offset:         76
        .size:           4
        .value_kind:     hidden_block_count_y
      - .offset:         80
        .size:           4
        .value_kind:     hidden_block_count_z
      - .offset:         84
        .size:           2
        .value_kind:     hidden_group_size_x
      - .offset:         86
        .size:           2
        .value_kind:     hidden_group_size_y
      - .offset:         88
        .size:           2
        .value_kind:     hidden_group_size_z
      - .offset:         90
        .size:           2
        .value_kind:     hidden_remainder_x
      - .offset:         92
        .size:           2
        .value_kind:     hidden_remainder_y
      - .offset:         94
        .size:           2
        .value_kind:     hidden_remainder_z
      - .offset:         112
        .size:           8
        .value_kind:     hidden_global_offset_x
      - .offset:         120
        .size:           8
        .value_kind:     hidden_global_offset_y
      - .offset:         128
        .size:           8
        .value_kind:     hidden_global_offset_z
      - .offset:         136
        .size:           2
        .value_kind:     hidden_grid_dims
    .group_segment_fixed_size: 0
    .kernarg_segment_align: 8
    .kernarg_segment_size: 328
    .language:       OpenCL C
    .language_version:
      - 2
      - 0
    .max_flat_workgroup_size: 1024
    .name:           _ZN2at6native12_GLOBAL__N_119compute_grad_weightIdiEEvPKT0_PKT_S5_llS5_PKlPNS_14AccumulateTypeIS6_Lb1EE4typeEl
    .private_segment_fixed_size: 0
    .sgpr_count:     37
    .sgpr_spill_count: 0
    .symbol:         _ZN2at6native12_GLOBAL__N_119compute_grad_weightIdiEEvPKT0_PKT_S5_llS5_PKlPNS_14AccumulateTypeIS6_Lb1EE4typeEl.kd
    .uniform_work_group_size: 1
    .uses_dynamic_stack: false
    .vgpr_count:     28
    .vgpr_spill_count: 0
    .wavefront_size: 32
  - .args:
      - .address_space:  global
        .offset:         0
        .size:           8
        .value_kind:     global_buffer
      - .address_space:  global
        .offset:         8
        .size:           8
        .value_kind:     global_buffer
      - .offset:         16
        .size:           8
        .value_kind:     by_value
      - .address_space:  global
        .offset:         24
        .size:           8
        .value_kind:     global_buffer
      - .address_space:  global
        .offset:         32
        .size:           8
        .value_kind:     global_buffer
      - .address_space:  global
        .offset:         40
        .size:           8
        .value_kind:     global_buffer
      - .address_space:  global
        .offset:         48
        .size:           8
        .value_kind:     global_buffer
      - .address_space:  global
        .offset:         56
        .size:           8
        .value_kind:     global_buffer
      - .offset:         64
        .size:           8
        .value_kind:     by_value
      - .offset:         72
        .size:           8
        .value_kind:     by_value
      - .offset:         80
        .size:           4
        .value_kind:     hidden_block_count_x
      - .offset:         84
        .size:           4
        .value_kind:     hidden_block_count_y
      - .offset:         88
        .size:           4
        .value_kind:     hidden_block_count_z
      - .offset:         92
        .size:           2
        .value_kind:     hidden_group_size_x
      - .offset:         94
        .size:           2
        .value_kind:     hidden_group_size_y
      - .offset:         96
        .size:           2
        .value_kind:     hidden_group_size_z
      - .offset:         98
        .size:           2
        .value_kind:     hidden_remainder_x
      - .offset:         100
        .size:           2
        .value_kind:     hidden_remainder_y
      - .offset:         102
        .size:           2
        .value_kind:     hidden_remainder_z
      - .offset:         120
        .size:           8
        .value_kind:     hidden_global_offset_x
      - .offset:         128
        .size:           8
        .value_kind:     hidden_global_offset_y
      - .offset:         136
        .size:           8
        .value_kind:     hidden_global_offset_z
      - .offset:         144
        .size:           2
        .value_kind:     hidden_grid_dims
    .group_segment_fixed_size: 0
    .kernarg_segment_align: 8
    .kernarg_segment_size: 336
    .language:       OpenCL C
    .language_version:
      - 2
      - 0
    .max_flat_workgroup_size: 1024
    .name:           _ZN2at6native12_GLOBAL__N_115sum_and_scatterIdiEEvPKT0_PT_lS5_PKlPKNS_14AccumulateTypeIS6_Lb1EE4typeES5_S9_ll
    .private_segment_fixed_size: 0
    .sgpr_count:     40
    .sgpr_spill_count: 0
    .symbol:         _ZN2at6native12_GLOBAL__N_115sum_and_scatterIdiEEvPKT0_PT_lS5_PKlPKNS_14AccumulateTypeIS6_Lb1EE4typeES5_S9_ll.kd
    .uniform_work_group_size: 1
    .uses_dynamic_stack: false
    .vgpr_count:     16
    .vgpr_spill_count: 0
    .wavefront_size: 32
  - .args:
      - .address_space:  global
        .offset:         0
        .size:           8
        .value_kind:     global_buffer
      - .address_space:  global
        .offset:         8
        .size:           8
        .value_kind:     global_buffer
      - .address_space:  global
        .offset:         16
        .size:           8
        .value_kind:     global_buffer
      - .offset:         24
        .size:           8
        .value_kind:     by_value
      - .offset:         32
        .size:           8
        .value_kind:     by_value
      - .address_space:  global
        .offset:         40
        .size:           8
        .value_kind:     global_buffer
      - .address_space:  global
        .offset:         48
        .size:           8
        .value_kind:     global_buffer
      - .address_space:  global
        .offset:         56
        .size:           8
        .value_kind:     global_buffer
      - .address_space:  global
        .offset:         64
        .size:           8
        .value_kind:     global_buffer
      - .address_space:  global
        .offset:         72
        .size:           8
        .value_kind:     global_buffer
      - .address_space:  global
        .offset:         80
        .size:           8
        .value_kind:     global_buffer
      - .offset:         88
        .size:           8
        .value_kind:     by_value
      - .offset:         96
        .size:           8
        .value_kind:     by_value
      - .offset:         104
        .size:           4
        .value_kind:     hidden_block_count_x
      - .offset:         108
        .size:           4
        .value_kind:     hidden_block_count_y
      - .offset:         112
        .size:           4
        .value_kind:     hidden_block_count_z
      - .offset:         116
        .size:           2
        .value_kind:     hidden_group_size_x
      - .offset:         118
        .size:           2
        .value_kind:     hidden_group_size_y
      - .offset:         120
        .size:           2
        .value_kind:     hidden_group_size_z
      - .offset:         122
        .size:           2
        .value_kind:     hidden_remainder_x
      - .offset:         124
        .size:           2
        .value_kind:     hidden_remainder_y
      - .offset:         126
        .size:           2
        .value_kind:     hidden_remainder_z
      - .offset:         144
        .size:           8
        .value_kind:     hidden_global_offset_x
      - .offset:         152
        .size:           8
        .value_kind:     hidden_global_offset_y
      - .offset:         160
        .size:           8
        .value_kind:     hidden_global_offset_z
      - .offset:         168
        .size:           2
        .value_kind:     hidden_grid_dims
    .group_segment_fixed_size: 0
    .kernarg_segment_align: 8
    .kernarg_segment_size: 360
    .language:       OpenCL C
    .language_version:
      - 2
      - 0
    .max_flat_workgroup_size: 1024
    .name:           _ZN2at6native12_GLOBAL__N_137compute_grad_weight_atomic_accumulateIffiEEvPKT1_PKT_S5_llS5_PKlS5_S5_S5_PT0_ll
    .private_segment_fixed_size: 0
    .sgpr_count:     30
    .sgpr_spill_count: 0
    .symbol:         _ZN2at6native12_GLOBAL__N_137compute_grad_weight_atomic_accumulateIffiEEvPKT1_PKT_S5_llS5_PKlS5_S5_S5_PT0_ll.kd
    .uniform_work_group_size: 1
    .uses_dynamic_stack: false
    .vgpr_count:     20
    .vgpr_spill_count: 0
    .wavefront_size: 32
  - .args:
      - .address_space:  global
        .offset:         0
        .size:           8
        .value_kind:     global_buffer
      - .address_space:  global
        .offset:         8
        .size:           8
        .value_kind:     global_buffer
      - .address_space:  global
        .offset:         16
        .size:           8
        .value_kind:     global_buffer
      - .address_space:  global
        .offset:         24
        .size:           8
        .value_kind:     global_buffer
      - .offset:         32
        .size:           8
        .value_kind:     by_value
      - .offset:         40
        .size:           8
        .value_kind:     by_value
      - .offset:         48
        .size:           4
        .value_kind:     by_value
      - .address_space:  global
        .offset:         56
        .size:           8
        .value_kind:     global_buffer
      - .address_space:  global
        .offset:         64
        .size:           8
        .value_kind:     global_buffer
      - .offset:         72
        .size:           8
        .value_kind:     by_value
      - .address_space:  global
        .offset:         80
        .size:           8
        .value_kind:     global_buffer
      - .address_space:  global
        .offset:         88
        .size:           8
        .value_kind:     global_buffer
      - .address_space:  global
        .offset:         96
        .size:           8
        .value_kind:     global_buffer
      - .offset:         104
        .size:           8
        .value_kind:     by_value
      - .offset:         112
        .size:           4
        .value_kind:     hidden_block_count_x
      - .offset:         116
        .size:           4
        .value_kind:     hidden_block_count_y
      - .offset:         120
        .size:           4
        .value_kind:     hidden_block_count_z
      - .offset:         124
        .size:           2
        .value_kind:     hidden_group_size_x
      - .offset:         126
        .size:           2
        .value_kind:     hidden_group_size_y
      - .offset:         128
        .size:           2
        .value_kind:     hidden_group_size_z
      - .offset:         130
        .size:           2
        .value_kind:     hidden_remainder_x
      - .offset:         132
        .size:           2
        .value_kind:     hidden_remainder_y
      - .offset:         134
        .size:           2
        .value_kind:     hidden_remainder_z
      - .offset:         152
        .size:           8
        .value_kind:     hidden_global_offset_x
      - .offset:         160
        .size:           8
        .value_kind:     hidden_global_offset_y
      - .offset:         168
        .size:           8
        .value_kind:     hidden_global_offset_z
      - .offset:         176
        .size:           2
        .value_kind:     hidden_grid_dims
    .group_segment_fixed_size: 0
    .kernarg_segment_align: 8
    .kernarg_segment_size: 368
    .language:       OpenCL C
    .language_version:
      - 2
      - 0
    .max_flat_workgroup_size: 1024
    .name:           _ZN2at6native12_GLOBAL__N_124compute_grad_weight_bagsIfiEEvPKT0_PKT_S5_S5_lliS5_S8_lS5_PKlPNS_14AccumulateTypeIS6_Lb1EE4typeEl
    .private_segment_fixed_size: 0
    .sgpr_count:     30
    .sgpr_spill_count: 0
    .symbol:         _ZN2at6native12_GLOBAL__N_124compute_grad_weight_bagsIfiEEvPKT0_PKT_S5_S5_lliS5_S8_lS5_PKlPNS_14AccumulateTypeIS6_Lb1EE4typeEl.kd
    .uniform_work_group_size: 1
    .uses_dynamic_stack: false
    .vgpr_count:     28
    .vgpr_spill_count: 0
    .wavefront_size: 32
  - .args:
      - .address_space:  global
        .offset:         0
        .size:           8
        .value_kind:     global_buffer
      - .address_space:  global
        .offset:         8
        .size:           8
        .value_kind:     global_buffer
      - .address_space:  global
        .offset:         16
        .size:           8
        .value_kind:     global_buffer
      - .offset:         24
        .size:           8
        .value_kind:     by_value
      - .offset:         32
        .size:           8
        .value_kind:     by_value
      - .address_space:  global
        .offset:         40
        .size:           8
        .value_kind:     global_buffer
      - .address_space:  global
        .offset:         48
        .size:           8
        .value_kind:     global_buffer
      - .address_space:  global
        .offset:         56
        .size:           8
        .value_kind:     global_buffer
      - .offset:         64
        .size:           8
        .value_kind:     by_value
      - .offset:         72
        .size:           4
        .value_kind:     hidden_block_count_x
      - .offset:         76
        .size:           4
        .value_kind:     hidden_block_count_y
      - .offset:         80
        .size:           4
        .value_kind:     hidden_block_count_z
      - .offset:         84
        .size:           2
        .value_kind:     hidden_group_size_x
      - .offset:         86
        .size:           2
        .value_kind:     hidden_group_size_y
      - .offset:         88
        .size:           2
        .value_kind:     hidden_group_size_z
      - .offset:         90
        .size:           2
        .value_kind:     hidden_remainder_x
      - .offset:         92
        .size:           2
        .value_kind:     hidden_remainder_y
      - .offset:         94
        .size:           2
        .value_kind:     hidden_remainder_z
      - .offset:         112
        .size:           8
        .value_kind:     hidden_global_offset_x
      - .offset:         120
        .size:           8
        .value_kind:     hidden_global_offset_y
      - .offset:         128
        .size:           8
        .value_kind:     hidden_global_offset_z
      - .offset:         136
        .size:           2
        .value_kind:     hidden_grid_dims
    .group_segment_fixed_size: 0
    .kernarg_segment_align: 8
    .kernarg_segment_size: 328
    .language:       OpenCL C
    .language_version:
      - 2
      - 0
    .max_flat_workgroup_size: 1024
    .name:           _ZN2at6native12_GLOBAL__N_119compute_grad_weightIfiEEvPKT0_PKT_S5_llS5_PKlPNS_14AccumulateTypeIS6_Lb1EE4typeEl
    .private_segment_fixed_size: 0
    .sgpr_count:     37
    .sgpr_spill_count: 0
    .symbol:         _ZN2at6native12_GLOBAL__N_119compute_grad_weightIfiEEvPKT0_PKT_S5_llS5_PKlPNS_14AccumulateTypeIS6_Lb1EE4typeEl.kd
    .uniform_work_group_size: 1
    .uses_dynamic_stack: false
    .vgpr_count:     20
    .vgpr_spill_count: 0
    .wavefront_size: 32
  - .args:
      - .address_space:  global
        .offset:         0
        .size:           8
        .value_kind:     global_buffer
      - .address_space:  global
        .offset:         8
        .size:           8
        .value_kind:     global_buffer
      - .offset:         16
        .size:           8
        .value_kind:     by_value
      - .address_space:  global
        .offset:         24
        .size:           8
        .value_kind:     global_buffer
      - .address_space:  global
        .offset:         32
        .size:           8
        .value_kind:     global_buffer
      - .address_space:  global
        .offset:         40
        .size:           8
        .value_kind:     global_buffer
      - .address_space:  global
        .offset:         48
        .size:           8
        .value_kind:     global_buffer
      - .address_space:  global
        .offset:         56
        .size:           8
        .value_kind:     global_buffer
      - .offset:         64
        .size:           8
        .value_kind:     by_value
      - .offset:         72
        .size:           8
        .value_kind:     by_value
      - .offset:         80
        .size:           4
        .value_kind:     hidden_block_count_x
      - .offset:         84
        .size:           4
        .value_kind:     hidden_block_count_y
      - .offset:         88
        .size:           4
        .value_kind:     hidden_block_count_z
      - .offset:         92
        .size:           2
        .value_kind:     hidden_group_size_x
      - .offset:         94
        .size:           2
        .value_kind:     hidden_group_size_y
      - .offset:         96
        .size:           2
        .value_kind:     hidden_group_size_z
      - .offset:         98
        .size:           2
        .value_kind:     hidden_remainder_x
      - .offset:         100
        .size:           2
        .value_kind:     hidden_remainder_y
      - .offset:         102
        .size:           2
        .value_kind:     hidden_remainder_z
      - .offset:         120
        .size:           8
        .value_kind:     hidden_global_offset_x
      - .offset:         128
        .size:           8
        .value_kind:     hidden_global_offset_y
      - .offset:         136
        .size:           8
        .value_kind:     hidden_global_offset_z
      - .offset:         144
        .size:           2
        .value_kind:     hidden_grid_dims
    .group_segment_fixed_size: 0
    .kernarg_segment_align: 8
    .kernarg_segment_size: 336
    .language:       OpenCL C
    .language_version:
      - 2
      - 0
    .max_flat_workgroup_size: 1024
    .name:           _ZN2at6native12_GLOBAL__N_115sum_and_scatterIfiEEvPKT0_PT_lS5_PKlPKNS_14AccumulateTypeIS6_Lb1EE4typeES5_S9_ll
    .private_segment_fixed_size: 0
    .sgpr_count:     40
    .sgpr_spill_count: 0
    .symbol:         _ZN2at6native12_GLOBAL__N_115sum_and_scatterIfiEEvPKT0_PT_lS5_PKlPKNS_14AccumulateTypeIS6_Lb1EE4typeES5_S9_ll.kd
    .uniform_work_group_size: 1
    .uses_dynamic_stack: false
    .vgpr_count:     16
    .vgpr_spill_count: 0
    .wavefront_size: 32
  - .args:
      - .address_space:  global
        .offset:         0
        .size:           8
        .value_kind:     global_buffer
      - .address_space:  global
        .offset:         8
        .size:           8
        .value_kind:     global_buffer
      - .address_space:  global
        .offset:         16
        .size:           8
        .value_kind:     global_buffer
      - .offset:         24
        .size:           8
        .value_kind:     by_value
      - .offset:         32
        .size:           8
        .value_kind:     by_value
      - .address_space:  global
        .offset:         40
        .size:           8
        .value_kind:     global_buffer
      - .address_space:  global
        .offset:         48
        .size:           8
        .value_kind:     global_buffer
      - .address_space:  global
        .offset:         56
        .size:           8
        .value_kind:     global_buffer
      - .address_space:  global
        .offset:         64
        .size:           8
        .value_kind:     global_buffer
      - .address_space:  global
        .offset:         72
        .size:           8
        .value_kind:     global_buffer
      - .address_space:  global
        .offset:         80
        .size:           8
        .value_kind:     global_buffer
      - .offset:         88
        .size:           8
        .value_kind:     by_value
      - .offset:         96
        .size:           8
        .value_kind:     by_value
      - .offset:         104
        .size:           4
        .value_kind:     hidden_block_count_x
      - .offset:         108
        .size:           4
        .value_kind:     hidden_block_count_y
      - .offset:         112
        .size:           4
        .value_kind:     hidden_block_count_z
      - .offset:         116
        .size:           2
        .value_kind:     hidden_group_size_x
      - .offset:         118
        .size:           2
        .value_kind:     hidden_group_size_y
      - .offset:         120
        .size:           2
        .value_kind:     hidden_group_size_z
      - .offset:         122
        .size:           2
        .value_kind:     hidden_remainder_x
      - .offset:         124
        .size:           2
        .value_kind:     hidden_remainder_y
      - .offset:         126
        .size:           2
        .value_kind:     hidden_remainder_z
      - .offset:         144
        .size:           8
        .value_kind:     hidden_global_offset_x
      - .offset:         152
        .size:           8
        .value_kind:     hidden_global_offset_y
      - .offset:         160
        .size:           8
        .value_kind:     hidden_global_offset_z
      - .offset:         168
        .size:           2
        .value_kind:     hidden_grid_dims
    .group_segment_fixed_size: 0
    .kernarg_segment_align: 8
    .kernarg_segment_size: 360
    .language:       OpenCL C
    .language_version:
      - 2
      - 0
    .max_flat_workgroup_size: 1024
    .name:           _ZN2at6native12_GLOBAL__N_137compute_grad_weight_atomic_accumulateIN3c104HalfEfiEEvPKT1_PKT_S7_llS7_PKlS7_S7_S7_PT0_ll
    .private_segment_fixed_size: 0
    .sgpr_count:     30
    .sgpr_spill_count: 0
    .symbol:         _ZN2at6native12_GLOBAL__N_137compute_grad_weight_atomic_accumulateIN3c104HalfEfiEEvPKT1_PKT_S7_llS7_PKlS7_S7_S7_PT0_ll.kd
    .uniform_work_group_size: 1
    .uses_dynamic_stack: false
    .vgpr_count:     20
    .vgpr_spill_count: 0
    .wavefront_size: 32
  - .args:
      - .address_space:  global
        .offset:         0
        .size:           8
        .value_kind:     global_buffer
      - .address_space:  global
        .offset:         8
        .size:           8
        .value_kind:     global_buffer
      - .address_space:  global
        .offset:         16
        .size:           8
        .value_kind:     global_buffer
      - .address_space:  global
        .offset:         24
        .size:           8
        .value_kind:     global_buffer
      - .offset:         32
        .size:           8
        .value_kind:     by_value
      - .offset:         40
        .size:           8
        .value_kind:     by_value
      - .offset:         48
        .size:           4
        .value_kind:     by_value
      - .address_space:  global
        .offset:         56
        .size:           8
        .value_kind:     global_buffer
      - .address_space:  global
        .offset:         64
        .size:           8
        .value_kind:     global_buffer
      - .offset:         72
        .size:           8
        .value_kind:     by_value
      - .address_space:  global
        .offset:         80
        .size:           8
        .value_kind:     global_buffer
      - .address_space:  global
        .offset:         88
        .size:           8
        .value_kind:     global_buffer
      - .address_space:  global
        .offset:         96
        .size:           8
        .value_kind:     global_buffer
      - .offset:         104
        .size:           8
        .value_kind:     by_value
      - .offset:         112
        .size:           4
        .value_kind:     hidden_block_count_x
      - .offset:         116
        .size:           4
        .value_kind:     hidden_block_count_y
      - .offset:         120
        .size:           4
        .value_kind:     hidden_block_count_z
      - .offset:         124
        .size:           2
        .value_kind:     hidden_group_size_x
      - .offset:         126
        .size:           2
        .value_kind:     hidden_group_size_y
      - .offset:         128
        .size:           2
        .value_kind:     hidden_group_size_z
      - .offset:         130
        .size:           2
        .value_kind:     hidden_remainder_x
      - .offset:         132
        .size:           2
        .value_kind:     hidden_remainder_y
      - .offset:         134
        .size:           2
        .value_kind:     hidden_remainder_z
      - .offset:         152
        .size:           8
        .value_kind:     hidden_global_offset_x
      - .offset:         160
        .size:           8
        .value_kind:     hidden_global_offset_y
      - .offset:         168
        .size:           8
        .value_kind:     hidden_global_offset_z
      - .offset:         176
        .size:           2
        .value_kind:     hidden_grid_dims
    .group_segment_fixed_size: 0
    .kernarg_segment_align: 8
    .kernarg_segment_size: 368
    .language:       OpenCL C
    .language_version:
      - 2
      - 0
    .max_flat_workgroup_size: 1024
    .name:           _ZN2at6native12_GLOBAL__N_124compute_grad_weight_bagsIN3c104HalfEiEEvPKT0_PKT_S7_S7_lliS7_SA_lS7_PKlPNS_14AccumulateTypeIS8_Lb1EE4typeEl
    .private_segment_fixed_size: 0
    .sgpr_count:     30
    .sgpr_spill_count: 0
    .symbol:         _ZN2at6native12_GLOBAL__N_124compute_grad_weight_bagsIN3c104HalfEiEEvPKT0_PKT_S7_S7_lliS7_SA_lS7_PKlPNS_14AccumulateTypeIS8_Lb1EE4typeEl.kd
    .uniform_work_group_size: 1
    .uses_dynamic_stack: false
    .vgpr_count:     28
    .vgpr_spill_count: 0
    .wavefront_size: 32
  - .args:
      - .address_space:  global
        .offset:         0
        .size:           8
        .value_kind:     global_buffer
      - .address_space:  global
        .offset:         8
        .size:           8
        .value_kind:     global_buffer
      - .address_space:  global
        .offset:         16
        .size:           8
        .value_kind:     global_buffer
      - .offset:         24
        .size:           8
        .value_kind:     by_value
      - .offset:         32
        .size:           8
        .value_kind:     by_value
      - .address_space:  global
        .offset:         40
        .size:           8
        .value_kind:     global_buffer
      - .address_space:  global
        .offset:         48
        .size:           8
        .value_kind:     global_buffer
      - .address_space:  global
        .offset:         56
        .size:           8
        .value_kind:     global_buffer
      - .offset:         64
        .size:           8
        .value_kind:     by_value
      - .offset:         72
        .size:           4
        .value_kind:     hidden_block_count_x
      - .offset:         76
        .size:           4
        .value_kind:     hidden_block_count_y
      - .offset:         80
        .size:           4
        .value_kind:     hidden_block_count_z
      - .offset:         84
        .size:           2
        .value_kind:     hidden_group_size_x
      - .offset:         86
        .size:           2
        .value_kind:     hidden_group_size_y
      - .offset:         88
        .size:           2
        .value_kind:     hidden_group_size_z
      - .offset:         90
        .size:           2
        .value_kind:     hidden_remainder_x
      - .offset:         92
        .size:           2
        .value_kind:     hidden_remainder_y
      - .offset:         94
        .size:           2
        .value_kind:     hidden_remainder_z
      - .offset:         112
        .size:           8
        .value_kind:     hidden_global_offset_x
      - .offset:         120
        .size:           8
        .value_kind:     hidden_global_offset_y
      - .offset:         128
        .size:           8
        .value_kind:     hidden_global_offset_z
      - .offset:         136
        .size:           2
        .value_kind:     hidden_grid_dims
    .group_segment_fixed_size: 0
    .kernarg_segment_align: 8
    .kernarg_segment_size: 328
    .language:       OpenCL C
    .language_version:
      - 2
      - 0
    .max_flat_workgroup_size: 1024
    .name:           _ZN2at6native12_GLOBAL__N_119compute_grad_weightIN3c104HalfEiEEvPKT0_PKT_S7_llS7_PKlPNS_14AccumulateTypeIS8_Lb1EE4typeEl
    .private_segment_fixed_size: 0
    .sgpr_count:     37
    .sgpr_spill_count: 0
    .symbol:         _ZN2at6native12_GLOBAL__N_119compute_grad_weightIN3c104HalfEiEEvPKT0_PKT_S7_llS7_PKlPNS_14AccumulateTypeIS8_Lb1EE4typeEl.kd
    .uniform_work_group_size: 1
    .uses_dynamic_stack: false
    .vgpr_count:     20
    .vgpr_spill_count: 0
    .wavefront_size: 32
  - .args:
      - .address_space:  global
        .offset:         0
        .size:           8
        .value_kind:     global_buffer
      - .address_space:  global
        .offset:         8
        .size:           8
        .value_kind:     global_buffer
      - .offset:         16
        .size:           8
        .value_kind:     by_value
      - .address_space:  global
        .offset:         24
        .size:           8
        .value_kind:     global_buffer
      - .address_space:  global
        .offset:         32
        .size:           8
        .value_kind:     global_buffer
      - .address_space:  global
        .offset:         40
        .size:           8
        .value_kind:     global_buffer
      - .address_space:  global
        .offset:         48
        .size:           8
        .value_kind:     global_buffer
      - .address_space:  global
        .offset:         56
        .size:           8
        .value_kind:     global_buffer
      - .offset:         64
        .size:           8
        .value_kind:     by_value
      - .offset:         72
        .size:           8
        .value_kind:     by_value
      - .offset:         80
        .size:           4
        .value_kind:     hidden_block_count_x
      - .offset:         84
        .size:           4
        .value_kind:     hidden_block_count_y
      - .offset:         88
        .size:           4
        .value_kind:     hidden_block_count_z
      - .offset:         92
        .size:           2
        .value_kind:     hidden_group_size_x
      - .offset:         94
        .size:           2
        .value_kind:     hidden_group_size_y
      - .offset:         96
        .size:           2
        .value_kind:     hidden_group_size_z
      - .offset:         98
        .size:           2
        .value_kind:     hidden_remainder_x
      - .offset:         100
        .size:           2
        .value_kind:     hidden_remainder_y
      - .offset:         102
        .size:           2
        .value_kind:     hidden_remainder_z
      - .offset:         120
        .size:           8
        .value_kind:     hidden_global_offset_x
      - .offset:         128
        .size:           8
        .value_kind:     hidden_global_offset_y
      - .offset:         136
        .size:           8
        .value_kind:     hidden_global_offset_z
      - .offset:         144
        .size:           2
        .value_kind:     hidden_grid_dims
    .group_segment_fixed_size: 0
    .kernarg_segment_align: 8
    .kernarg_segment_size: 336
    .language:       OpenCL C
    .language_version:
      - 2
      - 0
    .max_flat_workgroup_size: 1024
    .name:           _ZN2at6native12_GLOBAL__N_115sum_and_scatterIN3c104HalfEiEEvPKT0_PT_lS7_PKlPKNS_14AccumulateTypeIS8_Lb1EE4typeES7_SB_ll
    .private_segment_fixed_size: 0
    .sgpr_count:     40
    .sgpr_spill_count: 0
    .symbol:         _ZN2at6native12_GLOBAL__N_115sum_and_scatterIN3c104HalfEiEEvPKT0_PT_lS7_PKlPKNS_14AccumulateTypeIS8_Lb1EE4typeES7_SB_ll.kd
    .uniform_work_group_size: 1
    .uses_dynamic_stack: false
    .vgpr_count:     16
    .vgpr_spill_count: 0
    .wavefront_size: 32
  - .args:
      - .address_space:  global
        .offset:         0
        .size:           8
        .value_kind:     global_buffer
      - .address_space:  global
        .offset:         8
        .size:           8
        .value_kind:     global_buffer
      - .address_space:  global
        .offset:         16
        .size:           8
        .value_kind:     global_buffer
      - .offset:         24
        .size:           8
        .value_kind:     by_value
      - .offset:         32
        .size:           8
        .value_kind:     by_value
      - .address_space:  global
        .offset:         40
        .size:           8
        .value_kind:     global_buffer
      - .address_space:  global
        .offset:         48
        .size:           8
        .value_kind:     global_buffer
      - .address_space:  global
        .offset:         56
        .size:           8
        .value_kind:     global_buffer
      - .address_space:  global
        .offset:         64
        .size:           8
        .value_kind:     global_buffer
      - .address_space:  global
        .offset:         72
        .size:           8
        .value_kind:     global_buffer
      - .address_space:  global
        .offset:         80
        .size:           8
        .value_kind:     global_buffer
      - .offset:         88
        .size:           8
        .value_kind:     by_value
      - .offset:         96
        .size:           8
        .value_kind:     by_value
      - .offset:         104
        .size:           4
        .value_kind:     hidden_block_count_x
      - .offset:         108
        .size:           4
        .value_kind:     hidden_block_count_y
      - .offset:         112
        .size:           4
        .value_kind:     hidden_block_count_z
      - .offset:         116
        .size:           2
        .value_kind:     hidden_group_size_x
      - .offset:         118
        .size:           2
        .value_kind:     hidden_group_size_y
      - .offset:         120
        .size:           2
        .value_kind:     hidden_group_size_z
      - .offset:         122
        .size:           2
        .value_kind:     hidden_remainder_x
      - .offset:         124
        .size:           2
        .value_kind:     hidden_remainder_y
      - .offset:         126
        .size:           2
        .value_kind:     hidden_remainder_z
      - .offset:         144
        .size:           8
        .value_kind:     hidden_global_offset_x
      - .offset:         152
        .size:           8
        .value_kind:     hidden_global_offset_y
      - .offset:         160
        .size:           8
        .value_kind:     hidden_global_offset_z
      - .offset:         168
        .size:           2
        .value_kind:     hidden_grid_dims
    .group_segment_fixed_size: 0
    .kernarg_segment_align: 8
    .kernarg_segment_size: 360
    .language:       OpenCL C
    .language_version:
      - 2
      - 0
    .max_flat_workgroup_size: 1024
    .name:           _ZN2at6native12_GLOBAL__N_137compute_grad_weight_atomic_accumulateIN3c108BFloat16EfiEEvPKT1_PKT_S7_llS7_PKlS7_S7_S7_PT0_ll
    .private_segment_fixed_size: 0
    .sgpr_count:     30
    .sgpr_spill_count: 0
    .symbol:         _ZN2at6native12_GLOBAL__N_137compute_grad_weight_atomic_accumulateIN3c108BFloat16EfiEEvPKT1_PKT_S7_llS7_PKlS7_S7_S7_PT0_ll.kd
    .uniform_work_group_size: 1
    .uses_dynamic_stack: false
    .vgpr_count:     20
    .vgpr_spill_count: 0
    .wavefront_size: 32
  - .args:
      - .address_space:  global
        .offset:         0
        .size:           8
        .value_kind:     global_buffer
      - .address_space:  global
        .offset:         8
        .size:           8
        .value_kind:     global_buffer
      - .address_space:  global
        .offset:         16
        .size:           8
        .value_kind:     global_buffer
      - .address_space:  global
        .offset:         24
        .size:           8
        .value_kind:     global_buffer
      - .offset:         32
        .size:           8
        .value_kind:     by_value
      - .offset:         40
        .size:           8
        .value_kind:     by_value
      - .offset:         48
        .size:           4
        .value_kind:     by_value
      - .address_space:  global
        .offset:         56
        .size:           8
        .value_kind:     global_buffer
      - .address_space:  global
        .offset:         64
        .size:           8
        .value_kind:     global_buffer
      - .offset:         72
        .size:           8
        .value_kind:     by_value
      - .address_space:  global
        .offset:         80
        .size:           8
        .value_kind:     global_buffer
      - .address_space:  global
        .offset:         88
        .size:           8
        .value_kind:     global_buffer
      - .address_space:  global
        .offset:         96
        .size:           8
        .value_kind:     global_buffer
      - .offset:         104
        .size:           8
        .value_kind:     by_value
      - .offset:         112
        .size:           4
        .value_kind:     hidden_block_count_x
      - .offset:         116
        .size:           4
        .value_kind:     hidden_block_count_y
      - .offset:         120
        .size:           4
        .value_kind:     hidden_block_count_z
      - .offset:         124
        .size:           2
        .value_kind:     hidden_group_size_x
      - .offset:         126
        .size:           2
        .value_kind:     hidden_group_size_y
      - .offset:         128
        .size:           2
        .value_kind:     hidden_group_size_z
      - .offset:         130
        .size:           2
        .value_kind:     hidden_remainder_x
      - .offset:         132
        .size:           2
        .value_kind:     hidden_remainder_y
      - .offset:         134
        .size:           2
        .value_kind:     hidden_remainder_z
      - .offset:         152
        .size:           8
        .value_kind:     hidden_global_offset_x
      - .offset:         160
        .size:           8
        .value_kind:     hidden_global_offset_y
      - .offset:         168
        .size:           8
        .value_kind:     hidden_global_offset_z
      - .offset:         176
        .size:           2
        .value_kind:     hidden_grid_dims
    .group_segment_fixed_size: 0
    .kernarg_segment_align: 8
    .kernarg_segment_size: 368
    .language:       OpenCL C
    .language_version:
      - 2
      - 0
    .max_flat_workgroup_size: 1024
    .name:           _ZN2at6native12_GLOBAL__N_124compute_grad_weight_bagsIN3c108BFloat16EiEEvPKT0_PKT_S7_S7_lliS7_SA_lS7_PKlPNS_14AccumulateTypeIS8_Lb1EE4typeEl
    .private_segment_fixed_size: 0
    .sgpr_count:     30
    .sgpr_spill_count: 0
    .symbol:         _ZN2at6native12_GLOBAL__N_124compute_grad_weight_bagsIN3c108BFloat16EiEEvPKT0_PKT_S7_S7_lliS7_SA_lS7_PKlPNS_14AccumulateTypeIS8_Lb1EE4typeEl.kd
    .uniform_work_group_size: 1
    .uses_dynamic_stack: false
    .vgpr_count:     28
    .vgpr_spill_count: 0
    .wavefront_size: 32
  - .args:
      - .address_space:  global
        .offset:         0
        .size:           8
        .value_kind:     global_buffer
      - .address_space:  global
        .offset:         8
        .size:           8
        .value_kind:     global_buffer
      - .address_space:  global
        .offset:         16
        .size:           8
        .value_kind:     global_buffer
      - .offset:         24
        .size:           8
        .value_kind:     by_value
      - .offset:         32
        .size:           8
        .value_kind:     by_value
      - .address_space:  global
        .offset:         40
        .size:           8
        .value_kind:     global_buffer
      - .address_space:  global
        .offset:         48
        .size:           8
        .value_kind:     global_buffer
      - .address_space:  global
        .offset:         56
        .size:           8
        .value_kind:     global_buffer
      - .offset:         64
        .size:           8
        .value_kind:     by_value
      - .offset:         72
        .size:           4
        .value_kind:     hidden_block_count_x
      - .offset:         76
        .size:           4
        .value_kind:     hidden_block_count_y
      - .offset:         80
        .size:           4
        .value_kind:     hidden_block_count_z
      - .offset:         84
        .size:           2
        .value_kind:     hidden_group_size_x
      - .offset:         86
        .size:           2
        .value_kind:     hidden_group_size_y
      - .offset:         88
        .size:           2
        .value_kind:     hidden_group_size_z
      - .offset:         90
        .size:           2
        .value_kind:     hidden_remainder_x
      - .offset:         92
        .size:           2
        .value_kind:     hidden_remainder_y
      - .offset:         94
        .size:           2
        .value_kind:     hidden_remainder_z
      - .offset:         112
        .size:           8
        .value_kind:     hidden_global_offset_x
      - .offset:         120
        .size:           8
        .value_kind:     hidden_global_offset_y
      - .offset:         128
        .size:           8
        .value_kind:     hidden_global_offset_z
      - .offset:         136
        .size:           2
        .value_kind:     hidden_grid_dims
    .group_segment_fixed_size: 0
    .kernarg_segment_align: 8
    .kernarg_segment_size: 328
    .language:       OpenCL C
    .language_version:
      - 2
      - 0
    .max_flat_workgroup_size: 1024
    .name:           _ZN2at6native12_GLOBAL__N_119compute_grad_weightIN3c108BFloat16EiEEvPKT0_PKT_S7_llS7_PKlPNS_14AccumulateTypeIS8_Lb1EE4typeEl
    .private_segment_fixed_size: 0
    .sgpr_count:     37
    .sgpr_spill_count: 0
    .symbol:         _ZN2at6native12_GLOBAL__N_119compute_grad_weightIN3c108BFloat16EiEEvPKT0_PKT_S7_llS7_PKlPNS_14AccumulateTypeIS8_Lb1EE4typeEl.kd
    .uniform_work_group_size: 1
    .uses_dynamic_stack: false
    .vgpr_count:     20
    .vgpr_spill_count: 0
    .wavefront_size: 32
  - .args:
      - .address_space:  global
        .offset:         0
        .size:           8
        .value_kind:     global_buffer
      - .address_space:  global
        .offset:         8
        .size:           8
        .value_kind:     global_buffer
      - .offset:         16
        .size:           8
        .value_kind:     by_value
      - .address_space:  global
        .offset:         24
        .size:           8
        .value_kind:     global_buffer
      - .address_space:  global
        .offset:         32
        .size:           8
        .value_kind:     global_buffer
      - .address_space:  global
        .offset:         40
        .size:           8
        .value_kind:     global_buffer
      - .address_space:  global
        .offset:         48
        .size:           8
        .value_kind:     global_buffer
      - .address_space:  global
        .offset:         56
        .size:           8
        .value_kind:     global_buffer
      - .offset:         64
        .size:           8
        .value_kind:     by_value
      - .offset:         72
        .size:           8
        .value_kind:     by_value
      - .offset:         80
        .size:           4
        .value_kind:     hidden_block_count_x
      - .offset:         84
        .size:           4
        .value_kind:     hidden_block_count_y
      - .offset:         88
        .size:           4
        .value_kind:     hidden_block_count_z
      - .offset:         92
        .size:           2
        .value_kind:     hidden_group_size_x
      - .offset:         94
        .size:           2
        .value_kind:     hidden_group_size_y
      - .offset:         96
        .size:           2
        .value_kind:     hidden_group_size_z
      - .offset:         98
        .size:           2
        .value_kind:     hidden_remainder_x
      - .offset:         100
        .size:           2
        .value_kind:     hidden_remainder_y
      - .offset:         102
        .size:           2
        .value_kind:     hidden_remainder_z
      - .offset:         120
        .size:           8
        .value_kind:     hidden_global_offset_x
      - .offset:         128
        .size:           8
        .value_kind:     hidden_global_offset_y
      - .offset:         136
        .size:           8
        .value_kind:     hidden_global_offset_z
      - .offset:         144
        .size:           2
        .value_kind:     hidden_grid_dims
    .group_segment_fixed_size: 0
    .kernarg_segment_align: 8
    .kernarg_segment_size: 336
    .language:       OpenCL C
    .language_version:
      - 2
      - 0
    .max_flat_workgroup_size: 1024
    .name:           _ZN2at6native12_GLOBAL__N_115sum_and_scatterIN3c108BFloat16EiEEvPKT0_PT_lS7_PKlPKNS_14AccumulateTypeIS8_Lb1EE4typeES7_SB_ll
    .private_segment_fixed_size: 0
    .sgpr_count:     40
    .sgpr_spill_count: 0
    .symbol:         _ZN2at6native12_GLOBAL__N_115sum_and_scatterIN3c108BFloat16EiEEvPKT0_PT_lS7_PKlPKNS_14AccumulateTypeIS8_Lb1EE4typeES7_SB_ll.kd
    .uniform_work_group_size: 1
    .uses_dynamic_stack: false
    .vgpr_count:     16
    .vgpr_spill_count: 0
    .wavefront_size: 32
  - .args:
      - .address_space:  global
        .offset:         0
        .size:           8
        .value_kind:     global_buffer
      - .address_space:  global
        .offset:         8
        .size:           8
        .value_kind:     global_buffer
      - .address_space:  global
        .offset:         16
        .size:           8
        .value_kind:     global_buffer
      - .offset:         24
        .size:           8
        .value_kind:     by_value
      - .offset:         32
        .size:           4
        .value_kind:     hidden_block_count_x
      - .offset:         36
        .size:           4
        .value_kind:     hidden_block_count_y
      - .offset:         40
        .size:           4
        .value_kind:     hidden_block_count_z
      - .offset:         44
        .size:           2
        .value_kind:     hidden_group_size_x
      - .offset:         46
        .size:           2
        .value_kind:     hidden_group_size_y
      - .offset:         48
        .size:           2
        .value_kind:     hidden_group_size_z
      - .offset:         50
        .size:           2
        .value_kind:     hidden_remainder_x
      - .offset:         52
        .size:           2
        .value_kind:     hidden_remainder_y
      - .offset:         54
        .size:           2
        .value_kind:     hidden_remainder_z
      - .offset:         72
        .size:           8
        .value_kind:     hidden_global_offset_x
      - .offset:         80
        .size:           8
        .value_kind:     hidden_global_offset_y
      - .offset:         88
        .size:           8
        .value_kind:     hidden_global_offset_z
      - .offset:         96
        .size:           2
        .value_kind:     hidden_grid_dims
    .group_segment_fixed_size: 0
    .kernarg_segment_align: 8
    .kernarg_segment_size: 288
    .language:       OpenCL C
    .language_version:
      - 2
      - 0
    .max_flat_workgroup_size: 1024
    .name:           _ZN2at6native12_GLOBAL__N_124krn_partials_per_segmentIlEEvPT_PKS3_PKll
    .private_segment_fixed_size: 0
    .sgpr_count:     16
    .sgpr_spill_count: 0
    .symbol:         _ZN2at6native12_GLOBAL__N_124krn_partials_per_segmentIlEEvPT_PKS3_PKll.kd
    .uniform_work_group_size: 1
    .uses_dynamic_stack: false
    .vgpr_count:     8
    .vgpr_spill_count: 0
    .wavefront_size: 32
  - .args:
      - .address_space:  global
        .offset:         0
        .size:           8
        .value_kind:     global_buffer
      - .address_space:  global
        .offset:         8
        .size:           8
        .value_kind:     global_buffer
      - .address_space:  global
        .offset:         16
        .size:           8
        .value_kind:     global_buffer
      - .address_space:  global
        .offset:         24
        .size:           8
        .value_kind:     global_buffer
    .group_segment_fixed_size: 0
    .kernarg_segment_align: 8
    .kernarg_segment_size: 32
    .language:       OpenCL C
    .language_version:
      - 2
      - 0
    .max_flat_workgroup_size: 1024
    .name:           _ZN2at6native12_GLOBAL__N_131compute_num_of_partial_segmentsIlEEvPKT_S5_PKlPl
    .private_segment_fixed_size: 0
    .sgpr_count:     12
    .sgpr_spill_count: 0
    .symbol:         _ZN2at6native12_GLOBAL__N_131compute_num_of_partial_segmentsIlEEvPKT_S5_PKlPl.kd
    .uniform_work_group_size: 1
    .uses_dynamic_stack: false
    .vgpr_count:     3
    .vgpr_spill_count: 0
    .wavefront_size: 32
  - .args:
      - .address_space:  global
        .offset:         0
        .size:           8
        .value_kind:     global_buffer
      - .address_space:  global
        .offset:         8
        .size:           8
        .value_kind:     global_buffer
      - .address_space:  global
        .offset:         16
        .size:           8
        .value_kind:     global_buffer
      - .address_space:  global
        .offset:         24
        .size:           8
        .value_kind:     global_buffer
      - .address_space:  global
        .offset:         32
        .size:           8
        .value_kind:     global_buffer
      - .offset:         40
        .size:           4
        .value_kind:     hidden_block_count_x
      - .offset:         44
        .size:           4
        .value_kind:     hidden_block_count_y
      - .offset:         48
        .size:           4
        .value_kind:     hidden_block_count_z
      - .offset:         52
        .size:           2
        .value_kind:     hidden_group_size_x
      - .offset:         54
        .size:           2
        .value_kind:     hidden_group_size_y
      - .offset:         56
        .size:           2
        .value_kind:     hidden_group_size_z
      - .offset:         58
        .size:           2
        .value_kind:     hidden_remainder_x
      - .offset:         60
        .size:           2
        .value_kind:     hidden_remainder_y
      - .offset:         62
        .size:           2
        .value_kind:     hidden_remainder_z
      - .offset:         80
        .size:           8
        .value_kind:     hidden_global_offset_x
      - .offset:         88
        .size:           8
        .value_kind:     hidden_global_offset_y
      - .offset:         96
        .size:           8
        .value_kind:     hidden_global_offset_z
      - .offset:         104
        .size:           2
        .value_kind:     hidden_grid_dims
    .group_segment_fixed_size: 0
    .kernarg_segment_align: 8
    .kernarg_segment_size: 296
    .language:       OpenCL C
    .language_version:
      - 2
      - 0
    .max_flat_workgroup_size: 1024
    .name:           _ZN2at6native12_GLOBAL__N_126krn_partial_segment_offsetIlEEvPT_PKS3_S6_S6_PKl
    .private_segment_fixed_size: 0
    .sgpr_count:     14
    .sgpr_spill_count: 0
    .symbol:         _ZN2at6native12_GLOBAL__N_126krn_partial_segment_offsetIlEEvPT_PKS3_S6_S6_PKl.kd
    .uniform_work_group_size: 1
    .uses_dynamic_stack: false
    .vgpr_count:     10
    .vgpr_spill_count: 0
    .wavefront_size: 32
  - .args:
      - .address_space:  global
        .offset:         0
        .size:           8
        .value_kind:     global_buffer
      - .address_space:  global
        .offset:         8
        .size:           8
        .value_kind:     global_buffer
      - .address_space:  global
        .offset:         16
        .size:           8
        .value_kind:     global_buffer
      - .address_space:  global
        .offset:         24
        .size:           8
        .value_kind:     global_buffer
      - .offset:         32
        .size:           4
        .value_kind:     hidden_block_count_x
      - .offset:         36
        .size:           4
        .value_kind:     hidden_block_count_y
      - .offset:         40
        .size:           4
        .value_kind:     hidden_block_count_z
      - .offset:         44
        .size:           2
        .value_kind:     hidden_group_size_x
      - .offset:         46
        .size:           2
        .value_kind:     hidden_group_size_y
      - .offset:         48
        .size:           2
        .value_kind:     hidden_group_size_z
      - .offset:         50
        .size:           2
        .value_kind:     hidden_remainder_x
      - .offset:         52
        .size:           2
        .value_kind:     hidden_remainder_y
      - .offset:         54
        .size:           2
        .value_kind:     hidden_remainder_z
      - .offset:         72
        .size:           8
        .value_kind:     hidden_global_offset_x
      - .offset:         80
        .size:           8
        .value_kind:     hidden_global_offset_y
      - .offset:         88
        .size:           8
        .value_kind:     hidden_global_offset_z
      - .offset:         96
        .size:           2
        .value_kind:     hidden_grid_dims
    .group_segment_fixed_size: 0
    .kernarg_segment_align: 8
    .kernarg_segment_size: 288
    .language:       OpenCL C
    .language_version:
      - 2
      - 0
    .max_flat_workgroup_size: 1024
    .name:           _ZN2at6native12_GLOBAL__N_126krn_partial_to_segment_idxIlEEvPT_PKS3_S6_PKl
    .private_segment_fixed_size: 0
    .sgpr_count:     16
    .sgpr_spill_count: 0
    .symbol:         _ZN2at6native12_GLOBAL__N_126krn_partial_to_segment_idxIlEEvPT_PKS3_S6_PKl.kd
    .uniform_work_group_size: 1
    .uses_dynamic_stack: false
    .vgpr_count:     6
    .vgpr_spill_count: 0
    .wavefront_size: 32
  - .args:
      - .address_space:  global
        .offset:         0
        .size:           8
        .value_kind:     global_buffer
      - .address_space:  global
        .offset:         8
        .size:           8
        .value_kind:     global_buffer
      - .address_space:  global
        .offset:         16
        .size:           8
        .value_kind:     global_buffer
      - .offset:         24
        .size:           8
        .value_kind:     by_value
      - .offset:         32
        .size:           8
        .value_kind:     by_value
      - .address_space:  global
        .offset:         40
        .size:           8
        .value_kind:     global_buffer
      - .address_space:  global
        .offset:         48
        .size:           8
        .value_kind:     global_buffer
      - .address_space:  global
        .offset:         56
        .size:           8
        .value_kind:     global_buffer
      - .address_space:  global
        .offset:         64
        .size:           8
        .value_kind:     global_buffer
      - .address_space:  global
        .offset:         72
        .size:           8
        .value_kind:     global_buffer
      - .address_space:  global
        .offset:         80
        .size:           8
        .value_kind:     global_buffer
      - .offset:         88
        .size:           8
        .value_kind:     by_value
      - .offset:         96
        .size:           8
        .value_kind:     by_value
      - .offset:         104
        .size:           4
        .value_kind:     hidden_block_count_x
      - .offset:         108
        .size:           4
        .value_kind:     hidden_block_count_y
      - .offset:         112
        .size:           4
        .value_kind:     hidden_block_count_z
      - .offset:         116
        .size:           2
        .value_kind:     hidden_group_size_x
      - .offset:         118
        .size:           2
        .value_kind:     hidden_group_size_y
      - .offset:         120
        .size:           2
        .value_kind:     hidden_group_size_z
      - .offset:         122
        .size:           2
        .value_kind:     hidden_remainder_x
      - .offset:         124
        .size:           2
        .value_kind:     hidden_remainder_y
      - .offset:         126
        .size:           2
        .value_kind:     hidden_remainder_z
      - .offset:         144
        .size:           8
        .value_kind:     hidden_global_offset_x
      - .offset:         152
        .size:           8
        .value_kind:     hidden_global_offset_y
      - .offset:         160
        .size:           8
        .value_kind:     hidden_global_offset_z
      - .offset:         168
        .size:           2
        .value_kind:     hidden_grid_dims
    .group_segment_fixed_size: 0
    .kernarg_segment_align: 8
    .kernarg_segment_size: 360
    .language:       OpenCL C
    .language_version:
      - 2
      - 0
    .max_flat_workgroup_size: 1024
    .name:           _ZN2at6native12_GLOBAL__N_137compute_grad_weight_atomic_accumulateIddlEEvPKT1_PKT_S5_llS5_PKlS5_S5_S5_PT0_ll
    .private_segment_fixed_size: 0
    .sgpr_count:     30
    .sgpr_spill_count: 0
    .symbol:         _ZN2at6native12_GLOBAL__N_137compute_grad_weight_atomic_accumulateIddlEEvPKT1_PKT_S5_llS5_PKlS5_S5_S5_PT0_ll.kd
    .uniform_work_group_size: 1
    .uses_dynamic_stack: false
    .vgpr_count:     28
    .vgpr_spill_count: 0
    .wavefront_size: 32
  - .args:
      - .address_space:  global
        .offset:         0
        .size:           8
        .value_kind:     global_buffer
      - .address_space:  global
        .offset:         8
        .size:           8
        .value_kind:     global_buffer
      - .address_space:  global
        .offset:         16
        .size:           8
        .value_kind:     global_buffer
      - .address_space:  global
        .offset:         24
        .size:           8
        .value_kind:     global_buffer
      - .offset:         32
        .size:           8
        .value_kind:     by_value
      - .offset:         40
        .size:           8
        .value_kind:     by_value
      - .offset:         48
        .size:           4
        .value_kind:     by_value
      - .address_space:  global
        .offset:         56
        .size:           8
        .value_kind:     global_buffer
      - .address_space:  global
        .offset:         64
        .size:           8
        .value_kind:     global_buffer
      - .offset:         72
        .size:           8
        .value_kind:     by_value
      - .address_space:  global
        .offset:         80
        .size:           8
        .value_kind:     global_buffer
      - .address_space:  global
        .offset:         88
        .size:           8
        .value_kind:     global_buffer
      - .address_space:  global
        .offset:         96
        .size:           8
        .value_kind:     global_buffer
      - .offset:         104
        .size:           8
        .value_kind:     by_value
      - .offset:         112
        .size:           4
        .value_kind:     hidden_block_count_x
      - .offset:         116
        .size:           4
        .value_kind:     hidden_block_count_y
      - .offset:         120
        .size:           4
        .value_kind:     hidden_block_count_z
      - .offset:         124
        .size:           2
        .value_kind:     hidden_group_size_x
      - .offset:         126
        .size:           2
        .value_kind:     hidden_group_size_y
      - .offset:         128
        .size:           2
        .value_kind:     hidden_group_size_z
      - .offset:         130
        .size:           2
        .value_kind:     hidden_remainder_x
      - .offset:         132
        .size:           2
        .value_kind:     hidden_remainder_y
      - .offset:         134
        .size:           2
        .value_kind:     hidden_remainder_z
      - .offset:         152
        .size:           8
        .value_kind:     hidden_global_offset_x
      - .offset:         160
        .size:           8
        .value_kind:     hidden_global_offset_y
      - .offset:         168
        .size:           8
        .value_kind:     hidden_global_offset_z
      - .offset:         176
        .size:           2
        .value_kind:     hidden_grid_dims
    .group_segment_fixed_size: 0
    .kernarg_segment_align: 8
    .kernarg_segment_size: 368
    .language:       OpenCL C
    .language_version:
      - 2
      - 0
    .max_flat_workgroup_size: 1024
    .name:           _ZN2at6native12_GLOBAL__N_124compute_grad_weight_bagsIdlEEvPKT0_PKT_S5_S5_lliS5_S8_lS5_PKlPNS_14AccumulateTypeIS6_Lb1EE4typeEl
    .private_segment_fixed_size: 0
    .sgpr_count:     30
    .sgpr_spill_count: 0
    .symbol:         _ZN2at6native12_GLOBAL__N_124compute_grad_weight_bagsIdlEEvPKT0_PKT_S5_S5_lliS5_S8_lS5_PKlPNS_14AccumulateTypeIS6_Lb1EE4typeEl.kd
    .uniform_work_group_size: 1
    .uses_dynamic_stack: false
    .vgpr_count:     32
    .vgpr_spill_count: 0
    .wavefront_size: 32
  - .args:
      - .address_space:  global
        .offset:         0
        .size:           8
        .value_kind:     global_buffer
      - .address_space:  global
        .offset:         8
        .size:           8
        .value_kind:     global_buffer
      - .address_space:  global
        .offset:         16
        .size:           8
        .value_kind:     global_buffer
      - .offset:         24
        .size:           8
        .value_kind:     by_value
      - .offset:         32
        .size:           8
        .value_kind:     by_value
      - .address_space:  global
        .offset:         40
        .size:           8
        .value_kind:     global_buffer
      - .address_space:  global
        .offset:         48
        .size:           8
        .value_kind:     global_buffer
      - .address_space:  global
        .offset:         56
        .size:           8
        .value_kind:     global_buffer
      - .offset:         64
        .size:           8
        .value_kind:     by_value
      - .offset:         72
        .size:           4
        .value_kind:     hidden_block_count_x
      - .offset:         76
        .size:           4
        .value_kind:     hidden_block_count_y
      - .offset:         80
        .size:           4
        .value_kind:     hidden_block_count_z
      - .offset:         84
        .size:           2
        .value_kind:     hidden_group_size_x
      - .offset:         86
        .size:           2
        .value_kind:     hidden_group_size_y
      - .offset:         88
        .size:           2
        .value_kind:     hidden_group_size_z
      - .offset:         90
        .size:           2
        .value_kind:     hidden_remainder_x
      - .offset:         92
        .size:           2
        .value_kind:     hidden_remainder_y
      - .offset:         94
        .size:           2
        .value_kind:     hidden_remainder_z
      - .offset:         112
        .size:           8
        .value_kind:     hidden_global_offset_x
      - .offset:         120
        .size:           8
        .value_kind:     hidden_global_offset_y
      - .offset:         128
        .size:           8
        .value_kind:     hidden_global_offset_z
      - .offset:         136
        .size:           2
        .value_kind:     hidden_grid_dims
    .group_segment_fixed_size: 0
    .kernarg_segment_align: 8
    .kernarg_segment_size: 328
    .language:       OpenCL C
    .language_version:
      - 2
      - 0
    .max_flat_workgroup_size: 1024
    .name:           _ZN2at6native12_GLOBAL__N_119compute_grad_weightIdlEEvPKT0_PKT_S5_llS5_PKlPNS_14AccumulateTypeIS6_Lb1EE4typeEl
    .private_segment_fixed_size: 0
    .sgpr_count:     38
    .sgpr_spill_count: 0
    .symbol:         _ZN2at6native12_GLOBAL__N_119compute_grad_weightIdlEEvPKT0_PKT_S5_llS5_PKlPNS_14AccumulateTypeIS6_Lb1EE4typeEl.kd
    .uniform_work_group_size: 1
    .uses_dynamic_stack: false
    .vgpr_count:     28
    .vgpr_spill_count: 0
    .wavefront_size: 32
  - .args:
      - .address_space:  global
        .offset:         0
        .size:           8
        .value_kind:     global_buffer
      - .address_space:  global
        .offset:         8
        .size:           8
        .value_kind:     global_buffer
      - .offset:         16
        .size:           8
        .value_kind:     by_value
      - .address_space:  global
        .offset:         24
        .size:           8
        .value_kind:     global_buffer
      - .address_space:  global
        .offset:         32
        .size:           8
        .value_kind:     global_buffer
      - .address_space:  global
        .offset:         40
        .size:           8
        .value_kind:     global_buffer
      - .address_space:  global
        .offset:         48
        .size:           8
        .value_kind:     global_buffer
      - .address_space:  global
        .offset:         56
        .size:           8
        .value_kind:     global_buffer
      - .offset:         64
        .size:           8
        .value_kind:     by_value
      - .offset:         72
        .size:           8
        .value_kind:     by_value
      - .offset:         80
        .size:           4
        .value_kind:     hidden_block_count_x
      - .offset:         84
        .size:           4
        .value_kind:     hidden_block_count_y
      - .offset:         88
        .size:           4
        .value_kind:     hidden_block_count_z
      - .offset:         92
        .size:           2
        .value_kind:     hidden_group_size_x
      - .offset:         94
        .size:           2
        .value_kind:     hidden_group_size_y
      - .offset:         96
        .size:           2
        .value_kind:     hidden_group_size_z
      - .offset:         98
        .size:           2
        .value_kind:     hidden_remainder_x
      - .offset:         100
        .size:           2
        .value_kind:     hidden_remainder_y
      - .offset:         102
        .size:           2
        .value_kind:     hidden_remainder_z
      - .offset:         120
        .size:           8
        .value_kind:     hidden_global_offset_x
      - .offset:         128
        .size:           8
        .value_kind:     hidden_global_offset_y
      - .offset:         136
        .size:           8
        .value_kind:     hidden_global_offset_z
      - .offset:         144
        .size:           2
        .value_kind:     hidden_grid_dims
    .group_segment_fixed_size: 0
    .kernarg_segment_align: 8
    .kernarg_segment_size: 336
    .language:       OpenCL C
    .language_version:
      - 2
      - 0
    .max_flat_workgroup_size: 1024
    .name:           _ZN2at6native12_GLOBAL__N_115sum_and_scatterIdlEEvPKT0_PT_lS5_PKlPKNS_14AccumulateTypeIS6_Lb1EE4typeES5_S9_ll
    .private_segment_fixed_size: 0
    .sgpr_count:     40
    .sgpr_spill_count: 0
    .symbol:         _ZN2at6native12_GLOBAL__N_115sum_and_scatterIdlEEvPKT0_PT_lS5_PKlPKNS_14AccumulateTypeIS6_Lb1EE4typeES5_S9_ll.kd
    .uniform_work_group_size: 1
    .uses_dynamic_stack: false
    .vgpr_count:     16
    .vgpr_spill_count: 0
    .wavefront_size: 32
  - .args:
      - .address_space:  global
        .offset:         0
        .size:           8
        .value_kind:     global_buffer
      - .address_space:  global
        .offset:         8
        .size:           8
        .value_kind:     global_buffer
      - .address_space:  global
        .offset:         16
        .size:           8
        .value_kind:     global_buffer
      - .offset:         24
        .size:           8
        .value_kind:     by_value
      - .offset:         32
        .size:           8
        .value_kind:     by_value
      - .address_space:  global
        .offset:         40
        .size:           8
        .value_kind:     global_buffer
      - .address_space:  global
        .offset:         48
        .size:           8
        .value_kind:     global_buffer
      - .address_space:  global
        .offset:         56
        .size:           8
        .value_kind:     global_buffer
      - .address_space:  global
        .offset:         64
        .size:           8
        .value_kind:     global_buffer
      - .address_space:  global
        .offset:         72
        .size:           8
        .value_kind:     global_buffer
      - .address_space:  global
        .offset:         80
        .size:           8
        .value_kind:     global_buffer
      - .offset:         88
        .size:           8
        .value_kind:     by_value
      - .offset:         96
        .size:           8
        .value_kind:     by_value
      - .offset:         104
        .size:           4
        .value_kind:     hidden_block_count_x
      - .offset:         108
        .size:           4
        .value_kind:     hidden_block_count_y
      - .offset:         112
        .size:           4
        .value_kind:     hidden_block_count_z
      - .offset:         116
        .size:           2
        .value_kind:     hidden_group_size_x
      - .offset:         118
        .size:           2
        .value_kind:     hidden_group_size_y
      - .offset:         120
        .size:           2
        .value_kind:     hidden_group_size_z
      - .offset:         122
        .size:           2
        .value_kind:     hidden_remainder_x
      - .offset:         124
        .size:           2
        .value_kind:     hidden_remainder_y
      - .offset:         126
        .size:           2
        .value_kind:     hidden_remainder_z
      - .offset:         144
        .size:           8
        .value_kind:     hidden_global_offset_x
      - .offset:         152
        .size:           8
        .value_kind:     hidden_global_offset_y
      - .offset:         160
        .size:           8
        .value_kind:     hidden_global_offset_z
      - .offset:         168
        .size:           2
        .value_kind:     hidden_grid_dims
    .group_segment_fixed_size: 0
    .kernarg_segment_align: 8
    .kernarg_segment_size: 360
    .language:       OpenCL C
    .language_version:
      - 2
      - 0
    .max_flat_workgroup_size: 1024
    .name:           _ZN2at6native12_GLOBAL__N_137compute_grad_weight_atomic_accumulateIfflEEvPKT1_PKT_S5_llS5_PKlS5_S5_S5_PT0_ll
    .private_segment_fixed_size: 0
    .sgpr_count:     30
    .sgpr_spill_count: 0
    .symbol:         _ZN2at6native12_GLOBAL__N_137compute_grad_weight_atomic_accumulateIfflEEvPKT1_PKT_S5_llS5_PKlS5_S5_S5_PT0_ll.kd
    .uniform_work_group_size: 1
    .uses_dynamic_stack: false
    .vgpr_count:     23
    .vgpr_spill_count: 0
    .wavefront_size: 32
  - .args:
      - .address_space:  global
        .offset:         0
        .size:           8
        .value_kind:     global_buffer
      - .address_space:  global
        .offset:         8
        .size:           8
        .value_kind:     global_buffer
      - .address_space:  global
        .offset:         16
        .size:           8
        .value_kind:     global_buffer
      - .address_space:  global
        .offset:         24
        .size:           8
        .value_kind:     global_buffer
      - .offset:         32
        .size:           8
        .value_kind:     by_value
      - .offset:         40
        .size:           8
        .value_kind:     by_value
      - .offset:         48
        .size:           4
        .value_kind:     by_value
      - .address_space:  global
        .offset:         56
        .size:           8
        .value_kind:     global_buffer
      - .address_space:  global
        .offset:         64
        .size:           8
        .value_kind:     global_buffer
      - .offset:         72
        .size:           8
        .value_kind:     by_value
      - .address_space:  global
        .offset:         80
        .size:           8
        .value_kind:     global_buffer
      - .address_space:  global
        .offset:         88
        .size:           8
        .value_kind:     global_buffer
      - .address_space:  global
        .offset:         96
        .size:           8
        .value_kind:     global_buffer
      - .offset:         104
        .size:           8
        .value_kind:     by_value
      - .offset:         112
        .size:           4
        .value_kind:     hidden_block_count_x
      - .offset:         116
        .size:           4
        .value_kind:     hidden_block_count_y
      - .offset:         120
        .size:           4
        .value_kind:     hidden_block_count_z
      - .offset:         124
        .size:           2
        .value_kind:     hidden_group_size_x
      - .offset:         126
        .size:           2
        .value_kind:     hidden_group_size_y
      - .offset:         128
        .size:           2
        .value_kind:     hidden_group_size_z
      - .offset:         130
        .size:           2
        .value_kind:     hidden_remainder_x
      - .offset:         132
        .size:           2
        .value_kind:     hidden_remainder_y
      - .offset:         134
        .size:           2
        .value_kind:     hidden_remainder_z
      - .offset:         152
        .size:           8
        .value_kind:     hidden_global_offset_x
      - .offset:         160
        .size:           8
        .value_kind:     hidden_global_offset_y
      - .offset:         168
        .size:           8
        .value_kind:     hidden_global_offset_z
      - .offset:         176
        .size:           2
        .value_kind:     hidden_grid_dims
    .group_segment_fixed_size: 0
    .kernarg_segment_align: 8
    .kernarg_segment_size: 368
    .language:       OpenCL C
    .language_version:
      - 2
      - 0
    .max_flat_workgroup_size: 1024
    .name:           _ZN2at6native12_GLOBAL__N_124compute_grad_weight_bagsIflEEvPKT0_PKT_S5_S5_lliS5_S8_lS5_PKlPNS_14AccumulateTypeIS6_Lb1EE4typeEl
    .private_segment_fixed_size: 0
    .sgpr_count:     30
    .sgpr_spill_count: 0
    .symbol:         _ZN2at6native12_GLOBAL__N_124compute_grad_weight_bagsIflEEvPKT0_PKT_S5_S5_lliS5_S8_lS5_PKlPNS_14AccumulateTypeIS6_Lb1EE4typeEl.kd
    .uniform_work_group_size: 1
    .uses_dynamic_stack: false
    .vgpr_count:     30
    .vgpr_spill_count: 0
    .wavefront_size: 32
  - .args:
      - .address_space:  global
        .offset:         0
        .size:           8
        .value_kind:     global_buffer
      - .address_space:  global
        .offset:         8
        .size:           8
        .value_kind:     global_buffer
      - .address_space:  global
        .offset:         16
        .size:           8
        .value_kind:     global_buffer
      - .offset:         24
        .size:           8
        .value_kind:     by_value
      - .offset:         32
        .size:           8
        .value_kind:     by_value
      - .address_space:  global
        .offset:         40
        .size:           8
        .value_kind:     global_buffer
      - .address_space:  global
        .offset:         48
        .size:           8
        .value_kind:     global_buffer
      - .address_space:  global
        .offset:         56
        .size:           8
        .value_kind:     global_buffer
      - .offset:         64
        .size:           8
        .value_kind:     by_value
      - .offset:         72
        .size:           4
        .value_kind:     hidden_block_count_x
      - .offset:         76
        .size:           4
        .value_kind:     hidden_block_count_y
      - .offset:         80
        .size:           4
        .value_kind:     hidden_block_count_z
      - .offset:         84
        .size:           2
        .value_kind:     hidden_group_size_x
      - .offset:         86
        .size:           2
        .value_kind:     hidden_group_size_y
      - .offset:         88
        .size:           2
        .value_kind:     hidden_group_size_z
      - .offset:         90
        .size:           2
        .value_kind:     hidden_remainder_x
      - .offset:         92
        .size:           2
        .value_kind:     hidden_remainder_y
      - .offset:         94
        .size:           2
        .value_kind:     hidden_remainder_z
      - .offset:         112
        .size:           8
        .value_kind:     hidden_global_offset_x
      - .offset:         120
        .size:           8
        .value_kind:     hidden_global_offset_y
      - .offset:         128
        .size:           8
        .value_kind:     hidden_global_offset_z
      - .offset:         136
        .size:           2
        .value_kind:     hidden_grid_dims
    .group_segment_fixed_size: 0
    .kernarg_segment_align: 8
    .kernarg_segment_size: 328
    .language:       OpenCL C
    .language_version:
      - 2
      - 0
    .max_flat_workgroup_size: 1024
    .name:           _ZN2at6native12_GLOBAL__N_119compute_grad_weightIflEEvPKT0_PKT_S5_llS5_PKlPNS_14AccumulateTypeIS6_Lb1EE4typeEl
    .private_segment_fixed_size: 0
    .sgpr_count:     38
    .sgpr_spill_count: 0
    .symbol:         _ZN2at6native12_GLOBAL__N_119compute_grad_weightIflEEvPKT0_PKT_S5_llS5_PKlPNS_14AccumulateTypeIS6_Lb1EE4typeEl.kd
    .uniform_work_group_size: 1
    .uses_dynamic_stack: false
    .vgpr_count:     21
    .vgpr_spill_count: 0
    .wavefront_size: 32
  - .args:
      - .address_space:  global
        .offset:         0
        .size:           8
        .value_kind:     global_buffer
      - .address_space:  global
        .offset:         8
        .size:           8
        .value_kind:     global_buffer
      - .offset:         16
        .size:           8
        .value_kind:     by_value
      - .address_space:  global
        .offset:         24
        .size:           8
        .value_kind:     global_buffer
      - .address_space:  global
        .offset:         32
        .size:           8
        .value_kind:     global_buffer
      - .address_space:  global
        .offset:         40
        .size:           8
        .value_kind:     global_buffer
      - .address_space:  global
        .offset:         48
        .size:           8
        .value_kind:     global_buffer
      - .address_space:  global
        .offset:         56
        .size:           8
        .value_kind:     global_buffer
      - .offset:         64
        .size:           8
        .value_kind:     by_value
      - .offset:         72
        .size:           8
        .value_kind:     by_value
      - .offset:         80
        .size:           4
        .value_kind:     hidden_block_count_x
      - .offset:         84
        .size:           4
        .value_kind:     hidden_block_count_y
      - .offset:         88
        .size:           4
        .value_kind:     hidden_block_count_z
      - .offset:         92
        .size:           2
        .value_kind:     hidden_group_size_x
      - .offset:         94
        .size:           2
        .value_kind:     hidden_group_size_y
      - .offset:         96
        .size:           2
        .value_kind:     hidden_group_size_z
      - .offset:         98
        .size:           2
        .value_kind:     hidden_remainder_x
      - .offset:         100
        .size:           2
        .value_kind:     hidden_remainder_y
      - .offset:         102
        .size:           2
        .value_kind:     hidden_remainder_z
      - .offset:         120
        .size:           8
        .value_kind:     hidden_global_offset_x
      - .offset:         128
        .size:           8
        .value_kind:     hidden_global_offset_y
      - .offset:         136
        .size:           8
        .value_kind:     hidden_global_offset_z
      - .offset:         144
        .size:           2
        .value_kind:     hidden_grid_dims
    .group_segment_fixed_size: 0
    .kernarg_segment_align: 8
    .kernarg_segment_size: 336
    .language:       OpenCL C
    .language_version:
      - 2
      - 0
    .max_flat_workgroup_size: 1024
    .name:           _ZN2at6native12_GLOBAL__N_115sum_and_scatterIflEEvPKT0_PT_lS5_PKlPKNS_14AccumulateTypeIS6_Lb1EE4typeES5_S9_ll
    .private_segment_fixed_size: 0
    .sgpr_count:     40
    .sgpr_spill_count: 0
    .symbol:         _ZN2at6native12_GLOBAL__N_115sum_and_scatterIflEEvPKT0_PT_lS5_PKlPKNS_14AccumulateTypeIS6_Lb1EE4typeES5_S9_ll.kd
    .uniform_work_group_size: 1
    .uses_dynamic_stack: false
    .vgpr_count:     16
    .vgpr_spill_count: 0
    .wavefront_size: 32
  - .args:
      - .address_space:  global
        .offset:         0
        .size:           8
        .value_kind:     global_buffer
      - .address_space:  global
        .offset:         8
        .size:           8
        .value_kind:     global_buffer
      - .address_space:  global
        .offset:         16
        .size:           8
        .value_kind:     global_buffer
      - .offset:         24
        .size:           8
        .value_kind:     by_value
      - .offset:         32
        .size:           8
        .value_kind:     by_value
      - .address_space:  global
        .offset:         40
        .size:           8
        .value_kind:     global_buffer
      - .address_space:  global
        .offset:         48
        .size:           8
        .value_kind:     global_buffer
      - .address_space:  global
        .offset:         56
        .size:           8
        .value_kind:     global_buffer
      - .address_space:  global
        .offset:         64
        .size:           8
        .value_kind:     global_buffer
      - .address_space:  global
        .offset:         72
        .size:           8
        .value_kind:     global_buffer
      - .address_space:  global
        .offset:         80
        .size:           8
        .value_kind:     global_buffer
      - .offset:         88
        .size:           8
        .value_kind:     by_value
      - .offset:         96
        .size:           8
        .value_kind:     by_value
      - .offset:         104
        .size:           4
        .value_kind:     hidden_block_count_x
      - .offset:         108
        .size:           4
        .value_kind:     hidden_block_count_y
      - .offset:         112
        .size:           4
        .value_kind:     hidden_block_count_z
      - .offset:         116
        .size:           2
        .value_kind:     hidden_group_size_x
      - .offset:         118
        .size:           2
        .value_kind:     hidden_group_size_y
      - .offset:         120
        .size:           2
        .value_kind:     hidden_group_size_z
      - .offset:         122
        .size:           2
        .value_kind:     hidden_remainder_x
      - .offset:         124
        .size:           2
        .value_kind:     hidden_remainder_y
      - .offset:         126
        .size:           2
        .value_kind:     hidden_remainder_z
      - .offset:         144
        .size:           8
        .value_kind:     hidden_global_offset_x
      - .offset:         152
        .size:           8
        .value_kind:     hidden_global_offset_y
      - .offset:         160
        .size:           8
        .value_kind:     hidden_global_offset_z
      - .offset:         168
        .size:           2
        .value_kind:     hidden_grid_dims
    .group_segment_fixed_size: 0
    .kernarg_segment_align: 8
    .kernarg_segment_size: 360
    .language:       OpenCL C
    .language_version:
      - 2
      - 0
    .max_flat_workgroup_size: 1024
    .name:           _ZN2at6native12_GLOBAL__N_137compute_grad_weight_atomic_accumulateIN3c104HalfEflEEvPKT1_PKT_S7_llS7_PKlS7_S7_S7_PT0_ll
    .private_segment_fixed_size: 0
    .sgpr_count:     30
    .sgpr_spill_count: 0
    .symbol:         _ZN2at6native12_GLOBAL__N_137compute_grad_weight_atomic_accumulateIN3c104HalfEflEEvPKT1_PKT_S7_llS7_PKlS7_S7_S7_PT0_ll.kd
    .uniform_work_group_size: 1
    .uses_dynamic_stack: false
    .vgpr_count:     23
    .vgpr_spill_count: 0
    .wavefront_size: 32
  - .args:
      - .address_space:  global
        .offset:         0
        .size:           8
        .value_kind:     global_buffer
      - .address_space:  global
        .offset:         8
        .size:           8
        .value_kind:     global_buffer
      - .address_space:  global
        .offset:         16
        .size:           8
        .value_kind:     global_buffer
      - .address_space:  global
        .offset:         24
        .size:           8
        .value_kind:     global_buffer
      - .offset:         32
        .size:           8
        .value_kind:     by_value
      - .offset:         40
        .size:           8
        .value_kind:     by_value
      - .offset:         48
        .size:           4
        .value_kind:     by_value
      - .address_space:  global
        .offset:         56
        .size:           8
        .value_kind:     global_buffer
      - .address_space:  global
        .offset:         64
        .size:           8
        .value_kind:     global_buffer
      - .offset:         72
        .size:           8
        .value_kind:     by_value
      - .address_space:  global
        .offset:         80
        .size:           8
        .value_kind:     global_buffer
      - .address_space:  global
        .offset:         88
        .size:           8
        .value_kind:     global_buffer
      - .address_space:  global
        .offset:         96
        .size:           8
        .value_kind:     global_buffer
      - .offset:         104
        .size:           8
        .value_kind:     by_value
      - .offset:         112
        .size:           4
        .value_kind:     hidden_block_count_x
      - .offset:         116
        .size:           4
        .value_kind:     hidden_block_count_y
      - .offset:         120
        .size:           4
        .value_kind:     hidden_block_count_z
      - .offset:         124
        .size:           2
        .value_kind:     hidden_group_size_x
      - .offset:         126
        .size:           2
        .value_kind:     hidden_group_size_y
      - .offset:         128
        .size:           2
        .value_kind:     hidden_group_size_z
      - .offset:         130
        .size:           2
        .value_kind:     hidden_remainder_x
      - .offset:         132
        .size:           2
        .value_kind:     hidden_remainder_y
      - .offset:         134
        .size:           2
        .value_kind:     hidden_remainder_z
      - .offset:         152
        .size:           8
        .value_kind:     hidden_global_offset_x
      - .offset:         160
        .size:           8
        .value_kind:     hidden_global_offset_y
      - .offset:         168
        .size:           8
        .value_kind:     hidden_global_offset_z
      - .offset:         176
        .size:           2
        .value_kind:     hidden_grid_dims
    .group_segment_fixed_size: 0
    .kernarg_segment_align: 8
    .kernarg_segment_size: 368
    .language:       OpenCL C
    .language_version:
      - 2
      - 0
    .max_flat_workgroup_size: 1024
    .name:           _ZN2at6native12_GLOBAL__N_124compute_grad_weight_bagsIN3c104HalfElEEvPKT0_PKT_S7_S7_lliS7_SA_lS7_PKlPNS_14AccumulateTypeIS8_Lb1EE4typeEl
    .private_segment_fixed_size: 0
    .sgpr_count:     30
    .sgpr_spill_count: 0
    .symbol:         _ZN2at6native12_GLOBAL__N_124compute_grad_weight_bagsIN3c104HalfElEEvPKT0_PKT_S7_S7_lliS7_SA_lS7_PKlPNS_14AccumulateTypeIS8_Lb1EE4typeEl.kd
    .uniform_work_group_size: 1
    .uses_dynamic_stack: false
    .vgpr_count:     30
    .vgpr_spill_count: 0
    .wavefront_size: 32
  - .args:
      - .address_space:  global
        .offset:         0
        .size:           8
        .value_kind:     global_buffer
      - .address_space:  global
        .offset:         8
        .size:           8
        .value_kind:     global_buffer
      - .address_space:  global
        .offset:         16
        .size:           8
        .value_kind:     global_buffer
      - .offset:         24
        .size:           8
        .value_kind:     by_value
      - .offset:         32
        .size:           8
        .value_kind:     by_value
      - .address_space:  global
        .offset:         40
        .size:           8
        .value_kind:     global_buffer
      - .address_space:  global
        .offset:         48
        .size:           8
        .value_kind:     global_buffer
      - .address_space:  global
        .offset:         56
        .size:           8
        .value_kind:     global_buffer
      - .offset:         64
        .size:           8
        .value_kind:     by_value
      - .offset:         72
        .size:           4
        .value_kind:     hidden_block_count_x
      - .offset:         76
        .size:           4
        .value_kind:     hidden_block_count_y
      - .offset:         80
        .size:           4
        .value_kind:     hidden_block_count_z
      - .offset:         84
        .size:           2
        .value_kind:     hidden_group_size_x
      - .offset:         86
        .size:           2
        .value_kind:     hidden_group_size_y
      - .offset:         88
        .size:           2
        .value_kind:     hidden_group_size_z
      - .offset:         90
        .size:           2
        .value_kind:     hidden_remainder_x
      - .offset:         92
        .size:           2
        .value_kind:     hidden_remainder_y
      - .offset:         94
        .size:           2
        .value_kind:     hidden_remainder_z
      - .offset:         112
        .size:           8
        .value_kind:     hidden_global_offset_x
      - .offset:         120
        .size:           8
        .value_kind:     hidden_global_offset_y
      - .offset:         128
        .size:           8
        .value_kind:     hidden_global_offset_z
      - .offset:         136
        .size:           2
        .value_kind:     hidden_grid_dims
    .group_segment_fixed_size: 0
    .kernarg_segment_align: 8
    .kernarg_segment_size: 328
    .language:       OpenCL C
    .language_version:
      - 2
      - 0
    .max_flat_workgroup_size: 1024
    .name:           _ZN2at6native12_GLOBAL__N_119compute_grad_weightIN3c104HalfElEEvPKT0_PKT_S7_llS7_PKlPNS_14AccumulateTypeIS8_Lb1EE4typeEl
    .private_segment_fixed_size: 0
    .sgpr_count:     38
    .sgpr_spill_count: 0
    .symbol:         _ZN2at6native12_GLOBAL__N_119compute_grad_weightIN3c104HalfElEEvPKT0_PKT_S7_llS7_PKlPNS_14AccumulateTypeIS8_Lb1EE4typeEl.kd
    .uniform_work_group_size: 1
    .uses_dynamic_stack: false
    .vgpr_count:     21
    .vgpr_spill_count: 0
    .wavefront_size: 32
  - .args:
      - .address_space:  global
        .offset:         0
        .size:           8
        .value_kind:     global_buffer
      - .address_space:  global
        .offset:         8
        .size:           8
        .value_kind:     global_buffer
      - .offset:         16
        .size:           8
        .value_kind:     by_value
      - .address_space:  global
        .offset:         24
        .size:           8
        .value_kind:     global_buffer
      - .address_space:  global
        .offset:         32
        .size:           8
        .value_kind:     global_buffer
      - .address_space:  global
        .offset:         40
        .size:           8
        .value_kind:     global_buffer
      - .address_space:  global
        .offset:         48
        .size:           8
        .value_kind:     global_buffer
      - .address_space:  global
        .offset:         56
        .size:           8
        .value_kind:     global_buffer
      - .offset:         64
        .size:           8
        .value_kind:     by_value
      - .offset:         72
        .size:           8
        .value_kind:     by_value
      - .offset:         80
        .size:           4
        .value_kind:     hidden_block_count_x
      - .offset:         84
        .size:           4
        .value_kind:     hidden_block_count_y
      - .offset:         88
        .size:           4
        .value_kind:     hidden_block_count_z
      - .offset:         92
        .size:           2
        .value_kind:     hidden_group_size_x
      - .offset:         94
        .size:           2
        .value_kind:     hidden_group_size_y
      - .offset:         96
        .size:           2
        .value_kind:     hidden_group_size_z
      - .offset:         98
        .size:           2
        .value_kind:     hidden_remainder_x
      - .offset:         100
        .size:           2
        .value_kind:     hidden_remainder_y
      - .offset:         102
        .size:           2
        .value_kind:     hidden_remainder_z
      - .offset:         120
        .size:           8
        .value_kind:     hidden_global_offset_x
      - .offset:         128
        .size:           8
        .value_kind:     hidden_global_offset_y
      - .offset:         136
        .size:           8
        .value_kind:     hidden_global_offset_z
      - .offset:         144
        .size:           2
        .value_kind:     hidden_grid_dims
    .group_segment_fixed_size: 0
    .kernarg_segment_align: 8
    .kernarg_segment_size: 336
    .language:       OpenCL C
    .language_version:
      - 2
      - 0
    .max_flat_workgroup_size: 1024
    .name:           _ZN2at6native12_GLOBAL__N_115sum_and_scatterIN3c104HalfElEEvPKT0_PT_lS7_PKlPKNS_14AccumulateTypeIS8_Lb1EE4typeES7_SB_ll
    .private_segment_fixed_size: 0
    .sgpr_count:     40
    .sgpr_spill_count: 0
    .symbol:         _ZN2at6native12_GLOBAL__N_115sum_and_scatterIN3c104HalfElEEvPKT0_PT_lS7_PKlPKNS_14AccumulateTypeIS8_Lb1EE4typeES7_SB_ll.kd
    .uniform_work_group_size: 1
    .uses_dynamic_stack: false
    .vgpr_count:     16
    .vgpr_spill_count: 0
    .wavefront_size: 32
  - .args:
      - .address_space:  global
        .offset:         0
        .size:           8
        .value_kind:     global_buffer
      - .address_space:  global
        .offset:         8
        .size:           8
        .value_kind:     global_buffer
      - .address_space:  global
        .offset:         16
        .size:           8
        .value_kind:     global_buffer
      - .offset:         24
        .size:           8
        .value_kind:     by_value
      - .offset:         32
        .size:           8
        .value_kind:     by_value
      - .address_space:  global
        .offset:         40
        .size:           8
        .value_kind:     global_buffer
      - .address_space:  global
        .offset:         48
        .size:           8
        .value_kind:     global_buffer
      - .address_space:  global
        .offset:         56
        .size:           8
        .value_kind:     global_buffer
      - .address_space:  global
        .offset:         64
        .size:           8
        .value_kind:     global_buffer
      - .address_space:  global
        .offset:         72
        .size:           8
        .value_kind:     global_buffer
      - .address_space:  global
        .offset:         80
        .size:           8
        .value_kind:     global_buffer
      - .offset:         88
        .size:           8
        .value_kind:     by_value
      - .offset:         96
        .size:           8
        .value_kind:     by_value
      - .offset:         104
        .size:           4
        .value_kind:     hidden_block_count_x
      - .offset:         108
        .size:           4
        .value_kind:     hidden_block_count_y
      - .offset:         112
        .size:           4
        .value_kind:     hidden_block_count_z
      - .offset:         116
        .size:           2
        .value_kind:     hidden_group_size_x
      - .offset:         118
        .size:           2
        .value_kind:     hidden_group_size_y
      - .offset:         120
        .size:           2
        .value_kind:     hidden_group_size_z
      - .offset:         122
        .size:           2
        .value_kind:     hidden_remainder_x
      - .offset:         124
        .size:           2
        .value_kind:     hidden_remainder_y
      - .offset:         126
        .size:           2
        .value_kind:     hidden_remainder_z
      - .offset:         144
        .size:           8
        .value_kind:     hidden_global_offset_x
      - .offset:         152
        .size:           8
        .value_kind:     hidden_global_offset_y
      - .offset:         160
        .size:           8
        .value_kind:     hidden_global_offset_z
      - .offset:         168
        .size:           2
        .value_kind:     hidden_grid_dims
    .group_segment_fixed_size: 0
    .kernarg_segment_align: 8
    .kernarg_segment_size: 360
    .language:       OpenCL C
    .language_version:
      - 2
      - 0
    .max_flat_workgroup_size: 1024
    .name:           _ZN2at6native12_GLOBAL__N_137compute_grad_weight_atomic_accumulateIN3c108BFloat16EflEEvPKT1_PKT_S7_llS7_PKlS7_S7_S7_PT0_ll
    .private_segment_fixed_size: 0
    .sgpr_count:     30
    .sgpr_spill_count: 0
    .symbol:         _ZN2at6native12_GLOBAL__N_137compute_grad_weight_atomic_accumulateIN3c108BFloat16EflEEvPKT1_PKT_S7_llS7_PKlS7_S7_S7_PT0_ll.kd
    .uniform_work_group_size: 1
    .uses_dynamic_stack: false
    .vgpr_count:     23
    .vgpr_spill_count: 0
    .wavefront_size: 32
  - .args:
      - .address_space:  global
        .offset:         0
        .size:           8
        .value_kind:     global_buffer
      - .address_space:  global
        .offset:         8
        .size:           8
        .value_kind:     global_buffer
      - .address_space:  global
        .offset:         16
        .size:           8
        .value_kind:     global_buffer
      - .address_space:  global
        .offset:         24
        .size:           8
        .value_kind:     global_buffer
      - .offset:         32
        .size:           8
        .value_kind:     by_value
      - .offset:         40
        .size:           8
        .value_kind:     by_value
      - .offset:         48
        .size:           4
        .value_kind:     by_value
      - .address_space:  global
        .offset:         56
        .size:           8
        .value_kind:     global_buffer
      - .address_space:  global
        .offset:         64
        .size:           8
        .value_kind:     global_buffer
      - .offset:         72
        .size:           8
        .value_kind:     by_value
      - .address_space:  global
        .offset:         80
        .size:           8
        .value_kind:     global_buffer
      - .address_space:  global
        .offset:         88
        .size:           8
        .value_kind:     global_buffer
      - .address_space:  global
        .offset:         96
        .size:           8
        .value_kind:     global_buffer
      - .offset:         104
        .size:           8
        .value_kind:     by_value
      - .offset:         112
        .size:           4
        .value_kind:     hidden_block_count_x
      - .offset:         116
        .size:           4
        .value_kind:     hidden_block_count_y
      - .offset:         120
        .size:           4
        .value_kind:     hidden_block_count_z
      - .offset:         124
        .size:           2
        .value_kind:     hidden_group_size_x
      - .offset:         126
        .size:           2
        .value_kind:     hidden_group_size_y
      - .offset:         128
        .size:           2
        .value_kind:     hidden_group_size_z
      - .offset:         130
        .size:           2
        .value_kind:     hidden_remainder_x
      - .offset:         132
        .size:           2
        .value_kind:     hidden_remainder_y
      - .offset:         134
        .size:           2
        .value_kind:     hidden_remainder_z
      - .offset:         152
        .size:           8
        .value_kind:     hidden_global_offset_x
      - .offset:         160
        .size:           8
        .value_kind:     hidden_global_offset_y
      - .offset:         168
        .size:           8
        .value_kind:     hidden_global_offset_z
      - .offset:         176
        .size:           2
        .value_kind:     hidden_grid_dims
    .group_segment_fixed_size: 0
    .kernarg_segment_align: 8
    .kernarg_segment_size: 368
    .language:       OpenCL C
    .language_version:
      - 2
      - 0
    .max_flat_workgroup_size: 1024
    .name:           _ZN2at6native12_GLOBAL__N_124compute_grad_weight_bagsIN3c108BFloat16ElEEvPKT0_PKT_S7_S7_lliS7_SA_lS7_PKlPNS_14AccumulateTypeIS8_Lb1EE4typeEl
    .private_segment_fixed_size: 0
    .sgpr_count:     30
    .sgpr_spill_count: 0
    .symbol:         _ZN2at6native12_GLOBAL__N_124compute_grad_weight_bagsIN3c108BFloat16ElEEvPKT0_PKT_S7_S7_lliS7_SA_lS7_PKlPNS_14AccumulateTypeIS8_Lb1EE4typeEl.kd
    .uniform_work_group_size: 1
    .uses_dynamic_stack: false
    .vgpr_count:     30
    .vgpr_spill_count: 0
    .wavefront_size: 32
  - .args:
      - .address_space:  global
        .offset:         0
        .size:           8
        .value_kind:     global_buffer
      - .address_space:  global
        .offset:         8
        .size:           8
        .value_kind:     global_buffer
      - .address_space:  global
        .offset:         16
        .size:           8
        .value_kind:     global_buffer
      - .offset:         24
        .size:           8
        .value_kind:     by_value
      - .offset:         32
        .size:           8
        .value_kind:     by_value
      - .address_space:  global
        .offset:         40
        .size:           8
        .value_kind:     global_buffer
      - .address_space:  global
        .offset:         48
        .size:           8
        .value_kind:     global_buffer
      - .address_space:  global
        .offset:         56
        .size:           8
        .value_kind:     global_buffer
      - .offset:         64
        .size:           8
        .value_kind:     by_value
      - .offset:         72
        .size:           4
        .value_kind:     hidden_block_count_x
      - .offset:         76
        .size:           4
        .value_kind:     hidden_block_count_y
      - .offset:         80
        .size:           4
        .value_kind:     hidden_block_count_z
      - .offset:         84
        .size:           2
        .value_kind:     hidden_group_size_x
      - .offset:         86
        .size:           2
        .value_kind:     hidden_group_size_y
      - .offset:         88
        .size:           2
        .value_kind:     hidden_group_size_z
      - .offset:         90
        .size:           2
        .value_kind:     hidden_remainder_x
      - .offset:         92
        .size:           2
        .value_kind:     hidden_remainder_y
      - .offset:         94
        .size:           2
        .value_kind:     hidden_remainder_z
      - .offset:         112
        .size:           8
        .value_kind:     hidden_global_offset_x
      - .offset:         120
        .size:           8
        .value_kind:     hidden_global_offset_y
      - .offset:         128
        .size:           8
        .value_kind:     hidden_global_offset_z
      - .offset:         136
        .size:           2
        .value_kind:     hidden_grid_dims
    .group_segment_fixed_size: 0
    .kernarg_segment_align: 8
    .kernarg_segment_size: 328
    .language:       OpenCL C
    .language_version:
      - 2
      - 0
    .max_flat_workgroup_size: 1024
    .name:           _ZN2at6native12_GLOBAL__N_119compute_grad_weightIN3c108BFloat16ElEEvPKT0_PKT_S7_llS7_PKlPNS_14AccumulateTypeIS8_Lb1EE4typeEl
    .private_segment_fixed_size: 0
    .sgpr_count:     38
    .sgpr_spill_count: 0
    .symbol:         _ZN2at6native12_GLOBAL__N_119compute_grad_weightIN3c108BFloat16ElEEvPKT0_PKT_S7_llS7_PKlPNS_14AccumulateTypeIS8_Lb1EE4typeEl.kd
    .uniform_work_group_size: 1
    .uses_dynamic_stack: false
    .vgpr_count:     21
    .vgpr_spill_count: 0
    .wavefront_size: 32
  - .args:
      - .address_space:  global
        .offset:         0
        .size:           8
        .value_kind:     global_buffer
      - .address_space:  global
        .offset:         8
        .size:           8
        .value_kind:     global_buffer
      - .offset:         16
        .size:           8
        .value_kind:     by_value
      - .address_space:  global
        .offset:         24
        .size:           8
        .value_kind:     global_buffer
      - .address_space:  global
        .offset:         32
        .size:           8
        .value_kind:     global_buffer
      - .address_space:  global
        .offset:         40
        .size:           8
        .value_kind:     global_buffer
      - .address_space:  global
        .offset:         48
        .size:           8
        .value_kind:     global_buffer
      - .address_space:  global
        .offset:         56
        .size:           8
        .value_kind:     global_buffer
      - .offset:         64
        .size:           8
        .value_kind:     by_value
      - .offset:         72
        .size:           8
        .value_kind:     by_value
      - .offset:         80
        .size:           4
        .value_kind:     hidden_block_count_x
      - .offset:         84
        .size:           4
        .value_kind:     hidden_block_count_y
      - .offset:         88
        .size:           4
        .value_kind:     hidden_block_count_z
      - .offset:         92
        .size:           2
        .value_kind:     hidden_group_size_x
      - .offset:         94
        .size:           2
        .value_kind:     hidden_group_size_y
      - .offset:         96
        .size:           2
        .value_kind:     hidden_group_size_z
      - .offset:         98
        .size:           2
        .value_kind:     hidden_remainder_x
      - .offset:         100
        .size:           2
        .value_kind:     hidden_remainder_y
      - .offset:         102
        .size:           2
        .value_kind:     hidden_remainder_z
      - .offset:         120
        .size:           8
        .value_kind:     hidden_global_offset_x
      - .offset:         128
        .size:           8
        .value_kind:     hidden_global_offset_y
      - .offset:         136
        .size:           8
        .value_kind:     hidden_global_offset_z
      - .offset:         144
        .size:           2
        .value_kind:     hidden_grid_dims
    .group_segment_fixed_size: 0
    .kernarg_segment_align: 8
    .kernarg_segment_size: 336
    .language:       OpenCL C
    .language_version:
      - 2
      - 0
    .max_flat_workgroup_size: 1024
    .name:           _ZN2at6native12_GLOBAL__N_115sum_and_scatterIN3c108BFloat16ElEEvPKT0_PT_lS7_PKlPKNS_14AccumulateTypeIS8_Lb1EE4typeES7_SB_ll
    .private_segment_fixed_size: 0
    .sgpr_count:     40
    .sgpr_spill_count: 0
    .symbol:         _ZN2at6native12_GLOBAL__N_115sum_and_scatterIN3c108BFloat16ElEEvPKT0_PT_lS7_PKlPKNS_14AccumulateTypeIS8_Lb1EE4typeES7_SB_ll.kd
    .uniform_work_group_size: 1
    .uses_dynamic_stack: false
    .vgpr_count:     16
    .vgpr_spill_count: 0
    .wavefront_size: 32
amdhsa.target:   amdgcn-amd-amdhsa--gfx1250
amdhsa.version:
  - 1
  - 2
...

	.end_amdgpu_metadata
